;; amdgpu-corpus repo=ROCm/rocBLAS kind=compiled arch=gfx1250 opt=O3
	.amdgcn_target "amdgcn-amd-amdhsa--gfx1250"
	.amdhsa_code_object_version 6
	.section	.text._ZL26rocblas_hemvn_kernel_upperILb1ELi64ELi4ELi33ELi32ELi16ElPK19rocblas_complex_numIfES3_PS1_EviT6_lT7_lT5_lS6_lS7_lS5_lT8_i,"axG",@progbits,_ZL26rocblas_hemvn_kernel_upperILb1ELi64ELi4ELi33ELi32ELi16ElPK19rocblas_complex_numIfES3_PS1_EviT6_lT7_lT5_lS6_lS7_lS5_lT8_i,comdat
	.globl	_ZL26rocblas_hemvn_kernel_upperILb1ELi64ELi4ELi33ELi32ELi16ElPK19rocblas_complex_numIfES3_PS1_EviT6_lT7_lT5_lS6_lS7_lS5_lT8_i ; -- Begin function _ZL26rocblas_hemvn_kernel_upperILb1ELi64ELi4ELi33ELi32ELi16ElPK19rocblas_complex_numIfES3_PS1_EviT6_lT7_lT5_lS6_lS7_lS5_lT8_i
	.p2align	8
	.type	_ZL26rocblas_hemvn_kernel_upperILb1ELi64ELi4ELi33ELi32ELi16ElPK19rocblas_complex_numIfES3_PS1_EviT6_lT7_lT5_lS6_lS7_lS5_lT8_i,@function
_ZL26rocblas_hemvn_kernel_upperILb1ELi64ELi4ELi33ELi32ELi16ElPK19rocblas_complex_numIfES3_PS1_EviT6_lT7_lT5_lS6_lS7_lS5_lT8_i: ; @_ZL26rocblas_hemvn_kernel_upperILb1ELi64ELi4ELi33ELi32ELi16ElPK19rocblas_complex_numIfES3_PS1_EviT6_lT7_lT5_lS6_lS7_lS5_lT8_i
; %bb.0:
	s_clause 0x1
	s_load_b64 s[4:5], s[0:1], 0x84
	s_load_b32 s33, s[0:1], 0x70
	s_bfe_u32 s2, ttmp6, 0x40014
	s_lshr_b32 s3, ttmp7, 16
	s_add_co_i32 s2, s2, 1
	s_bfe_u32 s6, ttmp6, 0x40008
	s_mul_i32 s7, s3, s2
	s_getreg_b32 s2, hwreg(HW_REG_IB_STS2, 6, 4)
	s_add_co_i32 s6, s6, s7
	s_mov_b32 s35, 0
	s_wait_kmcnt 0x0
	s_lshr_b32 s7, s4, 16
	s_and_b32 s4, s4, 0xffff
	s_and_b32 s5, s5, 0xffff
	s_mul_i32 s4, s7, s4
	s_cmp_eq_u32 s2, 0
	s_mul_i32 s4, s4, s5
	s_cselect_b32 s34, s3, s6
	s_cmp_lg_u32 s4, 0x100
	s_cselect_b32 s3, -1, 0
	s_cmp_ge_u32 s34, s33
	s_cselect_b32 s4, -1, 0
	s_delay_alu instid0(SALU_CYCLE_1) | instskip(NEXT) | instid1(SALU_CYCLE_1)
	s_or_b32 s3, s3, s4
	s_and_b32 vcc_lo, exec_lo, s3
	s_cbranch_vccnz .LBB0_165
; %bb.1:
	s_load_b32 s4, s[0:1], 0x0
	s_add_nc_u64 s[8:9], s[0:1], 0x78
	s_clause 0x2
	s_load_b512 s[36:51], s[0:1], 0x8
	s_load_b64 s[6:7], s[0:1], 0x68
	s_load_b256 s[24:31], s[0:1], 0x48
	s_wait_xcnt 0x0
	s_bfe_u32 s0, ttmp6, 0x4000c
	v_and_b32_e32 v178, 0x3ff, v0
	s_add_co_i32 s0, s0, 1
	v_bfe_u32 v1, v0, 10, 10
	s_and_b32 s1, ttmp6, 15
	s_mul_i32 s3, ttmp9, s0
	v_dual_mov_b32 v59, 0 :: v_dual_bitop2_b32 v56, 31, v0 bitop3:0x40
	s_add_co_i32 s1, s1, s3
	v_lshl_add_u32 v36, v1, 6, v178
	s_load_b32 s52, s[8:9], 0x0
	s_delay_alu instid0(VALU_DEP_2) | instskip(SKIP_1) | instid1(VALU_DEP_3)
	v_dual_mov_b32 v57, v59 :: v_dual_lshlrev_b32 v60, 3, v178
	v_lshlrev_b32_e32 v38, 3, v56
	v_lshrrev_b32_e32 v37, 5, v36
	s_mov_b32 s53, s35
	v_and_b32_e32 v45, 0x7fe0, v36
	s_wait_kmcnt 0x0
	s_ashr_i32 s5, s4, 31
	s_cmp_eq_u32 s2, 0
	v_mad_nc_u64_u32 v[2:3], s44, v37, v[56:57]
	s_cselect_b32 s54, ttmp9, s1
	s_lshr_b32 s1, s5, 26
	s_lshl_b32 s22, s54, 6
	s_add_co_i32 s1, s4, s1
	v_dual_add_nc_u32 v62, s22, v178 :: v_dual_add_nc_u32 v40, 8, v37
	s_and_not1_b32 s1, s1, 63
	s_lshl_b64 s[2:3], s[50:51], 3
	s_lshl_b64 s[8:9], s[42:43], 3
	s_delay_alu instid0(VALU_DEP_1) | instskip(NEXT) | instid1(VALU_DEP_3)
	v_dual_ashrrev_i32 v63, 31, v62 :: v_dual_lshlrev_b32 v43, 2, v37
	v_mad_u32 v3, s45, v37, v3
	s_add_co_i32 s10, s52, -1
	s_mul_u64 s[56:57], s[52:53], s[4:5]
	s_delay_alu instid0(VALU_DEP_2)
	v_mul_u64_e32 v[4:5], s[24:25], v[62:63]
	s_sub_co_i32 s53, s4, s1
	s_cmp_eq_u32 s54, s10
	s_add_nc_u64 s[8:9], s[40:41], s[8:9]
	s_cselect_b32 s42, s53, 0
	v_lshl_or_b32 v44, v56, 8, v38
	s_cmp_lg_u32 s42, 0
	v_dual_lshlrev_b32 v58, 5, v1 :: v_dual_bitop2_b32 v8, 2, v43 bitop3:0x54
	s_cselect_b32 s72, -1, 0
	s_cmp_eq_u32 s42, 0
	v_lshlrev_b64_e32 v[2:3], 3, v[2:3]
	s_cselect_b32 s14, -1, 0
	s_ashr_i32 s23, s22, 31
	v_dual_add_nc_u32 v180, v44, v45 :: v_dual_bitop2_b32 v9, 3, v43 bitop3:0x54
	s_lshl_b64 s[12:13], s[22:23], 3
	s_add_nc_u64 s[10:11], s[48:49], s[2:3]
	s_add_nc_u64 s[8:9], s[8:9], s[12:13]
	s_delay_alu instid0(VALU_DEP_1)
	v_cmp_eq_u32_e64 s12, v9, v56
	v_add_nc_u64_e32 v[6:7], s[8:9], v[2:3]
	s_mul_u64 s[8:9], s[44:45], s[22:23]
	v_add_nc_u64_e32 v[10:11], 0x118, v[58:59]
	v_add_nc_u64_e32 v[12:13], 0x180, v[58:59]
	;; [unrolled: 1-line block ×5, first 2 shown]
	v_lshl_add_u64 v[64:65], s[8:9], 3, v[6:7]
	v_add_nc_u64_e32 v[6:7], 0x110, v[58:59]
	v_cmp_le_u32_e64 s9, v8, v56
	v_add_nc_u64_e32 v[20:21], 0x200, v[58:59]
	v_add_nc_u64_e32 v[22:23], 0x208, v[58:59]
	v_lshl_add_u64 v[66:67], v[4:5], 3, s[10:11]
	v_add_nc_u64_e32 v[4:5], 0x100, v[58:59]
	v_cmp_eq_u32_e64 s10, v8, v56
	v_cmp_le_u32_e64 s11, v9, v56
	v_add_nc_u64_e32 v[8:9], 0x108, v[58:59]
	v_add_nc_u64_e32 v[24:25], 0x210, v[58:59]
	;; [unrolled: 1-line block ×7, first 2 shown]
	v_mul_u64_e32 v[4:5], s[44:45], v[4:5]
	v_mul_u64_e32 v[6:7], s[44:45], v[6:7]
	;; [unrolled: 1-line block ×16, first 2 shown]
	s_ashr_i32 s55, s54, 31
	v_dual_add_nc_u32 v41, 16, v37 :: v_dual_add_nc_u32 v42, 24, v37
	s_mul_u64 s[4:5], s[4:5], s[54:55]
	s_sub_co_i32 s20, s42, 32
	s_lshl_b64 s[4:5], s[4:5], 3
	v_mul_u32_u24_e32 v39, 0x108, v37
	s_add_nc_u64 s[40:41], s[6:7], s[4:5]
	v_cmp_gt_i32_e64 s4, s42, v41
	v_cmp_gt_i32_e64 s5, s42, v42
	v_cmp_le_u32_e64 s6, v43, v56
	v_cmp_eq_u32_e64 s7, v43, v56
	v_cmp_ge_u32_e64 s8, v43, v56
	v_or_b32_e32 v43, 1, v43
	v_cmp_gt_i32_e64 s17, s20, v41
	v_cmp_gt_i32_e64 s18, s20, v42
	v_lshrrev_b32_e32 v41, 4, v36
	v_and_b32_e32 v42, 15, v0
	v_dual_add_nc_u32 v187, v38, v39 :: v_dual_bitop2_b32 v0, 48, v0 bitop3:0x40
	v_cmp_gt_i32_e32 vcc_lo, s42, v178
	v_or_b32_e32 v46, 32, v56
	v_sub_nc_u64_e32 v[68:69], v[4:5], v[2:3]
	v_sub_nc_u64_e32 v[70:71], v[6:7], v[2:3]
	;; [unrolled: 1-line block ×16, first 2 shown]
	v_dual_lshlrev_b32 v2, 5, v41 :: v_dual_lshlrev_b32 v0, 3, v0
	v_mul_u32_u24_e32 v4, 33, v56
	v_cmp_gt_i32_e64 s3, s42, v40
	s_or_b32 s64, s14, vcc_lo
	v_cmp_gt_i32_e64 s14, s20, v40
	v_mul_u32_u24_e32 v40, 0x420, v37
	v_cmp_eq_u32_e64 s15, v43, v56
	v_mul_u32_u24_e32 v43, 0x108, v43
	v_or_b32_e32 v3, 0x78, v60
	v_mad_u32_u24 v182, 0x218, v42, v2
	v_mad_u32_u24 v183, 0x218, v42, v0
	v_dual_lshlrev_b32 v0, 3, v37 :: v_dual_lshlrev_b32 v185, 3, v4
	v_lshlrev_b32_e32 v190, 2, v1
	v_mul_i32_i24_e32 v2, 0xffffffe8, v41
	v_cmp_eq_u32_e64 s0, 0, v1
	v_sub_nc_u64_e32 v[100:101], 0, v[56:57]
	v_mov_b64_e32 v[102:103], 0
	s_add_co_i32 s65, s54, 1
	v_cmp_gt_i32_e64 s1, s42, v56
	v_cmp_gt_i32_e64 s2, s42, v37
	s_ashr_i32 s43, s42, 31
	s_xor_b32 s55, s64, -1
	s_lshl_b64 s[48:49], s[44:45], 6
	s_lshl_b64 s[50:51], s[44:45], 7
	v_cmp_gt_i32_e64 s13, s42, v46
	v_mad_u32_u24 v179, 0x108, v56, v38
	v_add_nc_u32_e32 v181, 0x2380, v45
	v_cmp_gt_u32_e64 s16, 32, v36
	v_cmp_gt_u32_e64 s19, 64, v36
	v_mad_u32_u24 v184, 0x218, v42, v3
	s_lshl_b64 s[60:61], s[44:45], 5
	v_cmp_gt_i32_e64 s20, s20, v37
	v_cmp_eq_u32_e64 s21, 1, v37
	v_mul_i32_i24_e32 v186, 0xffffffe8, v37
	v_dual_add_nc_u32 v188, v38, v40 :: v_dual_add_nc_u32 v189, v38, v43
	v_mad_u32_u24 v191, 0x860, v1, v60
	v_mad_u32_u24 v192, 0x218, v1, v60
	v_add_nc_u32_e32 v193, v185, v0
	v_dual_mov_b32 v61, v59 :: v_dual_add_nc_u32 v194, 0x2380, v0
	v_dual_add_nc_u32 v195, v182, v2 :: v_dual_add_nc_u32 v197, 8, v180
	v_add_nc_u32_e32 v196, 0x2380, v60
	v_dual_add_nc_u32 v198, 16, v180 :: v_dual_add_nc_u32 v199, 24, v180
	v_add_nc_u32_e32 v200, 0x2180, v60
	v_add_nc_u32_e32 v201, 0x2180, v58
	v_dual_add_nc_u32 v205, 16, v190 :: v_dual_bitop2_b32 v202, 1, v190 bitop3:0x54
	v_dual_add_nc_u32 v206, 17, v190 :: v_dual_bitop2_b32 v203, 2, v190 bitop3:0x54
	;; [unrolled: 1-line block ×3, first 2 shown]
	v_dual_add_nc_u32 v208, 19, v190 :: v_dual_add_nc_u32 v209, 32, v190
	v_dual_add_nc_u32 v210, 33, v190 :: v_dual_add_nc_u32 v211, 34, v190
	;; [unrolled: 1-line block ×4, first 2 shown]
	v_add_nc_u32_e32 v215, 51, v190
	s_mul_u64 s[62:63], s[24:25], s[22:23]
	s_cmp_lt_u32 s65, s52
	s_mul_u64 s[58:59], s[44:45], 0xc0
	s_sub_nc_u64 s[62:63], 0, s[62:63]
	s_cselect_b32 s73, -1, 0
	s_add_co_i32 s74, s52, -2
	s_and_b32 s75, s0, s64
	s_mov_b64 s[64:65], 0xffffffffffffff00
	s_mov_b64 s[66:67], 0xfffffffffffffef8
	s_sub_nc_u64 s[68:69], 0, s[42:43]
	s_add_co_i32 s76, s22, 64
	s_lshl_b64 s[44:45], s[44:45], 9
	s_branch .LBB0_4
.LBB0_2:                                ;   in Loop: Header=BB0_4 Depth=1
	s_wait_xcnt 0x0
	s_or_b32 exec_lo, exec_lo, s70
.LBB0_3:                                ;   in Loop: Header=BB0_4 Depth=1
	s_add_co_i32 s34, s34, 0x10000
	s_delay_alu instid0(SALU_CYCLE_1)
	s_cmp_lt_u32 s34, s33
	s_cbranch_scc0 .LBB0_165
.LBB0_4:                                ; =>This Loop Header: Depth=1
                                        ;     Child Loop BB0_107 Depth 2
	s_mul_u64 s[22:23], s[38:39], s[34:35]
	s_delay_alu instid0(SALU_CYCLE_1) | instskip(NEXT) | instid1(SALU_CYCLE_1)
	s_lshl_b64 s[22:23], s[22:23], 3
	s_add_nc_u64 s[22:23], s[36:37], s[22:23]
	global_load_b64 v[0:1], v59, s[22:23]
	s_wait_xcnt 0x0
	s_mov_b32 s23, -1
	s_wait_loadcnt 0x0
	v_or_b32_e32 v0, v0, v1
	s_delay_alu instid0(VALU_DEP_1) | instskip(NEXT) | instid1(VALU_DEP_1)
	v_and_b32_e32 v0, 0x7fffffff, v0
	v_cmp_ne_u32_e64 s22, 0, v0
	s_and_b32 vcc_lo, exec_lo, s22
	s_cbranch_vccnz .LBB0_6
; %bb.5:                                ;   in Loop: Header=BB0_4 Depth=1
	s_mul_u64 s[70:71], s[30:31], s[34:35]
	s_delay_alu instid0(SALU_CYCLE_1) | instskip(NEXT) | instid1(SALU_CYCLE_1)
	s_lshl_b64 s[70:71], s[70:71], 3
	s_add_nc_u64 s[70:71], s[28:29], s[70:71]
	global_load_b64 v[0:1], v59, s[70:71]
	s_wait_loadcnt 0x0
	v_cmp_neq_f32_e32 vcc_lo, 1.0, v0
	v_cmp_neq_f32_e64 s23, 0, v1
	s_or_b32 s23, vcc_lo, s23
.LBB0_6:                                ;   in Loop: Header=BB0_4 Depth=1
	s_delay_alu instid0(SALU_CYCLE_1)
	s_and_not1_b32 vcc_lo, exec_lo, s23
	s_cbranch_vccnz .LBB0_3
; %bb.7:                                ;   in Loop: Header=BB0_4 Depth=1
	s_and_not1_b32 vcc_lo, exec_lo, s22
	s_cbranch_vccnz .LBB0_3
; %bb.8:                                ;   in Loop: Header=BB0_4 Depth=1
	s_mul_u64 s[22:23], s[26:27], s[34:35]
	s_delay_alu instid0(SALU_CYCLE_1)
	v_lshl_add_u64 v[12:13], s[22:23], 3, v[66:67]
	s_wait_xcnt 0x0
	s_and_saveexec_b32 s22, s0
	s_cbranch_execz .LBB0_13
; %bb.9:                                ;   in Loop: Header=BB0_4 Depth=1
	s_and_saveexec_b32 s23, s55
	s_delay_alu instid0(SALU_CYCLE_1)
	s_xor_b32 s23, exec_lo, s23
; %bb.10:                               ;   in Loop: Header=BB0_4 Depth=1
	ds_store_b64 v196, v[102:103]
; %bb.11:                               ;   in Loop: Header=BB0_4 Depth=1
	s_and_not1_saveexec_b32 s23, s23
	s_cbranch_execz .LBB0_13
; %bb.12:                               ;   in Loop: Header=BB0_4 Depth=1
	global_load_b64 v[0:1], v[12:13], off
	s_wait_loadcnt 0x0
	ds_store_b64 v196, v[0:1]
.LBB0_13:                               ;   in Loop: Header=BB0_4 Depth=1
	s_wait_xcnt 0x0
	s_or_b32 exec_lo, exec_lo, s22
	s_mul_u64 s[22:23], s[46:47], s[34:35]
	s_and_b32 vcc_lo, exec_lo, s72
	v_lshl_add_u64 v[2:3], s[22:23], 3, v[64:65]
	s_mov_b32 s22, -1
                                        ; implicit-def: $vgpr0_vgpr1
	s_cbranch_vccz .LBB0_23
; %bb.14:                               ;   in Loop: Header=BB0_4 Depth=1
	s_delay_alu instid0(VALU_DEP_1) | instskip(SKIP_2) | instid1(VALU_DEP_3)
	v_lshl_add_u64 v[0:1], v[100:101], 3, v[2:3]
	v_dual_mov_b32 v6, 0 :: v_dual_mov_b32 v4, 0
	v_mov_b32_e32 v5, 0
	v_lshl_add_u64 v[0:1], s[42:43], 3, v[0:1]
	s_delay_alu instid0(VALU_DEP_1) | instskip(NEXT) | instid1(VALU_DEP_1)
	v_add_nc_u64_e32 v[0:1], -8, v[0:1]
	v_dual_cndmask_b32 v1, v1, v3, s1 :: v_dual_cndmask_b32 v0, v0, v2, s1
	s_and_saveexec_b32 s22, s2
	s_cbranch_execz .LBB0_16
; %bb.15:                               ;   in Loop: Header=BB0_4 Depth=1
	global_load_b64 v[4:5], v[0:1], off
.LBB0_16:                               ;   in Loop: Header=BB0_4 Depth=1
	s_wait_xcnt 0x0
	s_or_b32 exec_lo, exec_lo, s22
	v_mov_b32_e32 v7, 0
	s_wait_loadcnt 0x0
	ds_store_b64 v187, v[4:5]
	s_and_saveexec_b32 s22, s3
	s_cbranch_execz .LBB0_18
; %bb.17:                               ;   in Loop: Header=BB0_4 Depth=1
	v_add_nc_u64_e32 v[4:5], s[48:49], v[0:1]
	global_load_b64 v[6:7], v[4:5], off
.LBB0_18:                               ;   in Loop: Header=BB0_4 Depth=1
	s_wait_xcnt 0x0
	s_or_b32 exec_lo, exec_lo, s22
	v_dual_mov_b32 v4, 0 :: v_dual_mov_b32 v8, 0
	v_mov_b32_e32 v9, 0
	s_wait_loadcnt 0x0
	ds_store_b64 v187, v[6:7] offset:2112
	s_and_saveexec_b32 s22, s4
	s_cbranch_execz .LBB0_20
; %bb.19:                               ;   in Loop: Header=BB0_4 Depth=1
	v_add_nc_u64_e32 v[6:7], s[50:51], v[0:1]
	global_load_b64 v[8:9], v[6:7], off
.LBB0_20:                               ;   in Loop: Header=BB0_4 Depth=1
	s_wait_xcnt 0x0
	s_or_b32 exec_lo, exec_lo, s22
	v_mov_b32_e32 v5, 0
	s_wait_loadcnt 0x0
	ds_store_b64 v187, v[8:9] offset:4224
	s_and_saveexec_b32 s22, s5
	s_cbranch_execz .LBB0_22
; %bb.21:                               ;   in Loop: Header=BB0_4 Depth=1
	v_add_nc_u64_e32 v[4:5], s[58:59], v[0:1]
	global_load_b64 v[4:5], v[4:5], off
.LBB0_22:                               ;   in Loop: Header=BB0_4 Depth=1
	s_wait_xcnt 0x0
	s_or_b32 exec_lo, exec_lo, s22
	v_lshlrev_b32_e32 v58, 3, v56
	s_mov_b32 s22, 0
	s_wait_loadcnt 0x0
	ds_store_b64 v187, v[4:5] offset:6336
	v_add_nc_u64_e32 v[0:1], v[0:1], v[58:59]
	s_delay_alu instid0(VALU_DEP_1) | instskip(NEXT) | instid1(VALU_DEP_1)
	v_lshl_add_u64 v[0:1], s[68:69], 3, v[0:1]
	v_add_nc_u64_e32 v[0:1], 8, v[0:1]
	s_delay_alu instid0(VALU_DEP_1)
	v_dual_cndmask_b32 v1, v1, v3, s1 :: v_dual_cndmask_b32 v0, v0, v2, s1
.LBB0_23:                               ;   in Loop: Header=BB0_4 Depth=1
	s_and_b32 vcc_lo, exec_lo, s22
	s_cbranch_vccz .LBB0_25
; %bb.24:                               ;   in Loop: Header=BB0_4 Depth=1
	v_add_nc_u64_e32 v[0:1], s[48:49], v[2:3]
	s_delay_alu instid0(VALU_DEP_1) | instskip(NEXT) | instid1(VALU_DEP_1)
	v_add_nc_u64_e32 v[4:5], s[48:49], v[0:1]
	v_add_nc_u64_e32 v[6:7], s[48:49], v[4:5]
	s_clause 0x3
	global_load_b64 v[8:9], v[2:3], off
	global_load_b64 v[10:11], v[0:1], off
	;; [unrolled: 1-line block ×4, first 2 shown]
	s_wait_xcnt 0x2
	v_mov_b64_e32 v[0:1], v[2:3]
	s_wait_loadcnt 0x3
	ds_store_b64 v187, v[8:9]
	s_wait_loadcnt 0x2
	ds_store_b64 v187, v[10:11] offset:2112
	s_wait_loadcnt 0x1
	ds_store_b64 v187, v[4:5] offset:4224
	;; [unrolled: 2-line block ×3, first 2 shown]
.LBB0_25:                               ;   in Loop: Header=BB0_4 Depth=1
	s_mov_b32 s22, 0
	s_wait_dscnt 0x0
	s_barrier_signal -1
	s_barrier_wait -1
	s_wait_xcnt 0x0
	s_and_saveexec_b32 s23, s6
	s_delay_alu instid0(SALU_CYCLE_1)
	s_xor_b32 s23, exec_lo, s23
; %bb.26:                               ;   in Loop: Header=BB0_4 Depth=1
	s_and_b32 s22, s7, exec_lo
; %bb.27:                               ;   in Loop: Header=BB0_4 Depth=1
	s_or_saveexec_b32 s23, s23
	v_dual_mov_b32 v2, 0 :: v_dual_mov_b32 v3, v179
	s_xor_b32 exec_lo, exec_lo, s23
	s_cbranch_execz .LBB0_29
; %bb.28:                               ;   in Loop: Header=BB0_4 Depth=1
	ds_load_b64 v[4:5], v188
	v_mov_b32_e32 v3, v180
	s_or_b32 s22, s22, exec_lo
	s_wait_dscnt 0x0
	v_xor_b32_e32 v2, 0x80000000, v5
	ds_store_b32 v180, v4
.LBB0_29:                               ;   in Loop: Header=BB0_4 Depth=1
	s_or_b32 exec_lo, exec_lo, s23
	s_and_saveexec_b32 s23, s22
; %bb.30:                               ;   in Loop: Header=BB0_4 Depth=1
	ds_store_b32 v3, v2 offset:4
; %bb.31:                               ;   in Loop: Header=BB0_4 Depth=1
	s_or_b32 exec_lo, exec_lo, s23
	s_mov_b32 s22, 0
                                        ; implicit-def: $vgpr2
	s_and_saveexec_b32 s23, s8
	s_delay_alu instid0(SALU_CYCLE_1)
	s_xor_b32 s23, exec_lo, s23
	s_cbranch_execnz .LBB0_161
; %bb.32:                               ;   in Loop: Header=BB0_4 Depth=1
	s_or_saveexec_b32 s23, s23
	v_mov_b32_e32 v3, v197
	s_xor_b32 exec_lo, exec_lo, s23
	s_cbranch_execnz .LBB0_162
.LBB0_33:                               ;   in Loop: Header=BB0_4 Depth=1
	s_or_b32 exec_lo, exec_lo, s23
	s_and_saveexec_b32 s23, s22
.LBB0_34:                               ;   in Loop: Header=BB0_4 Depth=1
	ds_store_b32 v3, v2 offset:4
.LBB0_35:                               ;   in Loop: Header=BB0_4 Depth=1
	s_or_b32 exec_lo, exec_lo, s23
	s_mov_b32 s22, 0
	s_and_saveexec_b32 s23, s9
	s_delay_alu instid0(SALU_CYCLE_1)
	s_xor_b32 s23, exec_lo, s23
; %bb.36:                               ;   in Loop: Header=BB0_4 Depth=1
	s_and_b32 s22, s10, exec_lo
; %bb.37:                               ;   in Loop: Header=BB0_4 Depth=1
	s_or_saveexec_b32 s23, s23
	v_dual_mov_b32 v2, 0 :: v_dual_mov_b32 v3, v179
	s_xor_b32 exec_lo, exec_lo, s23
	s_cbranch_execz .LBB0_39
; %bb.38:                               ;   in Loop: Header=BB0_4 Depth=1
	ds_load_b64 v[4:5], v189 offset:264
	v_mov_b32_e32 v3, v198
	s_or_b32 s22, s22, exec_lo
	s_wait_dscnt 0x0
	v_xor_b32_e32 v2, 0x80000000, v5
	ds_store_b32 v198, v4
.LBB0_39:                               ;   in Loop: Header=BB0_4 Depth=1
	s_or_b32 exec_lo, exec_lo, s23
	s_and_saveexec_b32 s23, s22
; %bb.40:                               ;   in Loop: Header=BB0_4 Depth=1
	ds_store_b32 v3, v2 offset:4
; %bb.41:                               ;   in Loop: Header=BB0_4 Depth=1
	s_or_b32 exec_lo, exec_lo, s23
	s_mov_b32 s22, 0
	s_and_saveexec_b32 s23, s11
	s_delay_alu instid0(SALU_CYCLE_1)
	s_xor_b32 s23, exec_lo, s23
; %bb.42:                               ;   in Loop: Header=BB0_4 Depth=1
	s_and_b32 s22, s12, exec_lo
; %bb.43:                               ;   in Loop: Header=BB0_4 Depth=1
	s_or_saveexec_b32 s23, s23
	v_dual_mov_b32 v2, 0 :: v_dual_mov_b32 v3, v179
	s_xor_b32 exec_lo, exec_lo, s23
	s_cbranch_execz .LBB0_45
; %bb.44:                               ;   in Loop: Header=BB0_4 Depth=1
	ds_load_b64 v[4:5], v189 offset:528
	v_mov_b32_e32 v3, v199
	s_or_b32 s22, s22, exec_lo
	s_wait_dscnt 0x0
	v_xor_b32_e32 v2, 0x80000000, v5
	ds_store_b32 v199, v4
.LBB0_45:                               ;   in Loop: Header=BB0_4 Depth=1
	s_or_b32 exec_lo, exec_lo, s23
	s_and_saveexec_b32 s23, s22
; %bb.46:                               ;   in Loop: Header=BB0_4 Depth=1
	ds_store_b32 v3, v2 offset:4
; %bb.47:                               ;   in Loop: Header=BB0_4 Depth=1
	s_or_b32 exec_lo, exec_lo, s23
	s_wait_dscnt 0x0
	s_barrier_signal -1
	s_barrier_wait -1
	ds_load_b64 v[10:11], v188
	ds_load_b128 v[2:5], v181
	ds_load_2addr_b64 v[6:9], v189 offset1:33
	ds_load_b128 v[14:17], v181 offset:16
	ds_load_b64 v[18:19], v189 offset:528
	v_mov_b64_e32 v[104:105], 0
	s_wait_dscnt 0x0
	s_barrier_signal -1
	s_barrier_wait -1
	v_pk_mul_f32 v[20:21], v[2:3], v[10:11] op_sel:[1,1] op_sel_hi:[0,1]
	v_dual_mov_b32 v22, v5 :: v_dual_mov_b32 v23, v4
	v_pk_mul_f32 v[24:25], v[14:15], v[8:9] op_sel:[1,1] op_sel_hi:[0,1]
	v_dual_mov_b32 v28, v17 :: v_dual_mov_b32 v29, v16
	s_delay_alu instid0(VALU_DEP_4) | instskip(NEXT) | instid1(VALU_DEP_4)
	v_pk_fma_f32 v[26:27], v[2:3], v[10:11], v[20:21] op_sel_hi:[1,0,1]
	v_pk_mul_f32 v[22:23], v[22:23], v[6:7] op_sel:[0,1]
	v_pk_fma_f32 v[2:3], v[2:3], v[10:11], v[20:21] neg_lo:[0,0,1] neg_hi:[0,0,1]
	v_pk_fma_f32 v[20:21], v[14:15], v[8:9], v[24:25] op_sel_hi:[1,0,1]
	s_delay_alu instid0(VALU_DEP_3)
	v_pk_fma_f32 v[10:11], v[4:5], v[6:7], v[22:23] op_sel_hi:[1,0,1]
	v_mov_b32_e32 v3, v27
	v_pk_fma_f32 v[4:5], v[4:5], v[6:7], v[22:23] neg_lo:[0,0,1] neg_hi:[0,0,1]
	v_pk_mul_f32 v[26:27], v[28:29], v[18:19] op_sel:[0,1]
	v_pk_fma_f32 v[6:7], v[14:15], v[8:9], v[24:25] neg_lo:[0,0,1] neg_hi:[0,0,1]
	v_mov_b32_e32 v5, v11
	v_pk_add_f32 v[2:3], v[2:3], 0 op_sel_hi:[1,0]
	s_delay_alu instid0(VALU_DEP_4) | instskip(SKIP_1) | instid1(VALU_DEP_3)
	v_pk_fma_f32 v[8:9], v[16:17], v[18:19], v[26:27] op_sel_hi:[1,0,1]
	v_mov_b32_e32 v7, v21
	v_pk_add_f32 v[2:3], v[2:3], v[4:5]
	v_pk_fma_f32 v[4:5], v[16:17], v[18:19], v[26:27] neg_lo:[0,0,1] neg_hi:[0,0,1]
	s_delay_alu instid0(VALU_DEP_4) | instskip(NEXT) | instid1(VALU_DEP_3)
	v_mov_b32_e32 v5, v9
	v_pk_add_f32 v[2:3], v[2:3], v[6:7]
	s_delay_alu instid0(VALU_DEP_1)
	v_pk_add_f32 v[2:3], v[2:3], v[4:5]
	ds_store_b64 v193, v[2:3]
	s_wait_dscnt 0x0
	s_barrier_signal -1
	s_barrier_wait -1
	s_and_saveexec_b32 s22, s16
	s_cbranch_execz .LBB0_49
; %bb.48:                               ;   in Loop: Header=BB0_4 Depth=1
	ds_load_2addr_b64 v[2:5], v185 offset1:7
	ds_load_2addr_b64 v[6:9], v185 offset0:1 offset1:2
	ds_load_2addr_b64 v[14:17], v185 offset0:3 offset1:4
	;; [unrolled: 1-line block ×3, first 2 shown]
	s_wait_dscnt 0x2
	v_dual_add_f32 v2, v6, v2 :: v_dual_add_f32 v3, v7, v3
	s_delay_alu instid0(VALU_DEP_1) | instskip(SKIP_1) | instid1(VALU_DEP_1)
	v_dual_add_f32 v2, v8, v2 :: v_dual_add_f32 v3, v9, v3
	s_wait_dscnt 0x1
	v_dual_add_f32 v2, v2, v14 :: v_dual_add_f32 v3, v3, v15
	s_delay_alu instid0(VALU_DEP_1) | instskip(SKIP_1) | instid1(VALU_DEP_1)
	v_dual_add_f32 v2, v2, v16 :: v_dual_add_f32 v3, v3, v17
	s_wait_dscnt 0x0
	v_dual_add_f32 v2, v2, v18 :: v_dual_add_f32 v3, v3, v19
	s_delay_alu instid0(VALU_DEP_1) | instskip(NEXT) | instid1(VALU_DEP_1)
	v_dual_add_f32 v2, v2, v20 :: v_dual_add_f32 v3, v3, v21
	v_pk_add_f32 v[104:105], v[2:3], v[4:5]
.LBB0_49:                               ;   in Loop: Header=BB0_4 Depth=1
	s_or_b32 exec_lo, exec_lo, s22
	v_lshl_add_u64 v[4:5], s[60:61], 3, v[0:1]
	s_and_b32 vcc_lo, exec_lo, s72
	s_mov_b32 s22, -1
	s_barrier_signal -1
	s_delay_alu instid0(VALU_DEP_1)
	v_add_nc_u64_e32 v[2:3], 0x100, v[4:5]
	s_barrier_wait -1
                                        ; implicit-def: $vgpr0_vgpr1
	s_cbranch_vccz .LBB0_59
; %bb.50:                               ;   in Loop: Header=BB0_4 Depth=1
	v_lshl_add_u64 v[0:1], v[100:101], 3, v[4:5]
	v_dual_mov_b32 v8, 0 :: v_dual_mov_b32 v6, 0
	v_mov_b32_e32 v7, 0
	s_delay_alu instid0(VALU_DEP_3) | instskip(NEXT) | instid1(VALU_DEP_1)
	v_lshl_add_u64 v[0:1], s[42:43], 3, v[0:1]
	v_add_nc_u64_e32 v[0:1], -8, v[0:1]
	s_delay_alu instid0(VALU_DEP_1)
	v_dual_cndmask_b32 v1, v1, v3, s13 :: v_dual_cndmask_b32 v0, v0, v2, s13
	s_and_saveexec_b32 s22, s20
	s_cbranch_execz .LBB0_52
; %bb.51:                               ;   in Loop: Header=BB0_4 Depth=1
	global_load_b64 v[6:7], v[0:1], off
.LBB0_52:                               ;   in Loop: Header=BB0_4 Depth=1
	s_wait_xcnt 0x0
	s_or_b32 exec_lo, exec_lo, s22
	v_mov_b32_e32 v9, 0
	s_wait_loadcnt 0x0
	ds_store_b64 v187, v[6:7]
	s_and_saveexec_b32 s22, s14
	s_cbranch_execz .LBB0_54
; %bb.53:                               ;   in Loop: Header=BB0_4 Depth=1
	v_add_nc_u64_e32 v[6:7], s[48:49], v[0:1]
	global_load_b64 v[8:9], v[6:7], off
.LBB0_54:                               ;   in Loop: Header=BB0_4 Depth=1
	s_wait_xcnt 0x0
	s_or_b32 exec_lo, exec_lo, s22
	v_dual_mov_b32 v6, 0 :: v_dual_mov_b32 v10, 0
	v_mov_b32_e32 v11, 0
	s_wait_loadcnt 0x0
	ds_store_b64 v187, v[8:9] offset:2112
	s_and_saveexec_b32 s22, s17
	s_cbranch_execz .LBB0_56
; %bb.55:                               ;   in Loop: Header=BB0_4 Depth=1
	v_add_nc_u64_e32 v[8:9], s[50:51], v[0:1]
	global_load_b64 v[10:11], v[8:9], off
.LBB0_56:                               ;   in Loop: Header=BB0_4 Depth=1
	s_wait_xcnt 0x0
	s_or_b32 exec_lo, exec_lo, s22
	v_mov_b32_e32 v7, 0
	s_wait_loadcnt 0x0
	ds_store_b64 v187, v[10:11] offset:4224
	s_and_saveexec_b32 s22, s18
	s_cbranch_execz .LBB0_58
; %bb.57:                               ;   in Loop: Header=BB0_4 Depth=1
	v_add_nc_u64_e32 v[6:7], s[58:59], v[0:1]
	global_load_b64 v[6:7], v[6:7], off
.LBB0_58:                               ;   in Loop: Header=BB0_4 Depth=1
	s_wait_xcnt 0x0
	s_or_b32 exec_lo, exec_lo, s22
	v_lshlrev_b32_e32 v58, 3, v56
	s_mov_b32 s22, 0
	s_wait_loadcnt 0x0
	ds_store_b64 v187, v[6:7] offset:6336
	v_add_nc_u64_e32 v[0:1], v[0:1], v[58:59]
	s_delay_alu instid0(VALU_DEP_1) | instskip(NEXT) | instid1(VALU_DEP_1)
	v_lshl_add_u64 v[0:1], s[68:69], 3, v[0:1]
	v_add_nc_u64_e32 v[0:1], 0x108, v[0:1]
	s_delay_alu instid0(VALU_DEP_1)
	v_dual_cndmask_b32 v1, v1, v3, s13 :: v_dual_cndmask_b32 v0, v0, v2, s13
.LBB0_59:                               ;   in Loop: Header=BB0_4 Depth=1
	s_and_b32 vcc_lo, exec_lo, s22
	s_cbranch_vccz .LBB0_61
; %bb.60:                               ;   in Loop: Header=BB0_4 Depth=1
	v_add_nc_u64_e32 v[0:1], s[48:49], v[4:5]
	s_delay_alu instid0(VALU_DEP_1) | instskip(NEXT) | instid1(VALU_DEP_1)
	v_add_nc_u64_e32 v[6:7], s[48:49], v[0:1]
	v_add_nc_u64_e32 v[8:9], s[48:49], v[6:7]
	s_clause 0x3
	global_load_b64 v[4:5], v[4:5], off offset:256
	global_load_b64 v[10:11], v[0:1], off offset:256
	;; [unrolled: 1-line block ×4, first 2 shown]
	s_wait_xcnt 0x2
	v_mov_b64_e32 v[0:1], v[2:3]
	s_wait_loadcnt 0x3
	ds_store_b64 v187, v[4:5]
	s_wait_loadcnt 0x2
	ds_store_b64 v187, v[10:11] offset:2112
	s_wait_loadcnt 0x1
	ds_store_b64 v187, v[6:7] offset:4224
	;; [unrolled: 2-line block ×3, first 2 shown]
.LBB0_61:                               ;   in Loop: Header=BB0_4 Depth=1
	s_mov_b32 s22, 0
	s_wait_dscnt 0x0
	s_barrier_signal -1
	s_barrier_wait -1
	s_wait_xcnt 0x0
	s_and_saveexec_b32 s23, s6
	s_delay_alu instid0(SALU_CYCLE_1)
	s_xor_b32 s23, exec_lo, s23
; %bb.62:                               ;   in Loop: Header=BB0_4 Depth=1
	s_and_b32 s22, s7, exec_lo
; %bb.63:                               ;   in Loop: Header=BB0_4 Depth=1
	s_or_saveexec_b32 s23, s23
	v_dual_mov_b32 v2, 0 :: v_dual_mov_b32 v3, v179
	s_xor_b32 exec_lo, exec_lo, s23
	s_cbranch_execz .LBB0_65
; %bb.64:                               ;   in Loop: Header=BB0_4 Depth=1
	ds_load_b64 v[4:5], v188
	v_mov_b32_e32 v3, v180
	s_or_b32 s22, s22, exec_lo
	s_wait_dscnt 0x0
	v_xor_b32_e32 v2, 0x80000000, v5
	ds_store_b32 v180, v4
.LBB0_65:                               ;   in Loop: Header=BB0_4 Depth=1
	s_or_b32 exec_lo, exec_lo, s23
	s_and_saveexec_b32 s23, s22
; %bb.66:                               ;   in Loop: Header=BB0_4 Depth=1
	ds_store_b32 v3, v2 offset:4
; %bb.67:                               ;   in Loop: Header=BB0_4 Depth=1
	s_or_b32 exec_lo, exec_lo, s23
	s_mov_b32 s22, 0
                                        ; implicit-def: $vgpr2
	s_and_saveexec_b32 s23, s8
	s_delay_alu instid0(SALU_CYCLE_1)
	s_xor_b32 s23, exec_lo, s23
	s_cbranch_execnz .LBB0_163
; %bb.68:                               ;   in Loop: Header=BB0_4 Depth=1
	s_or_saveexec_b32 s23, s23
	v_mov_b32_e32 v3, v197
	s_xor_b32 exec_lo, exec_lo, s23
	s_cbranch_execnz .LBB0_164
.LBB0_69:                               ;   in Loop: Header=BB0_4 Depth=1
	s_or_b32 exec_lo, exec_lo, s23
	s_and_saveexec_b32 s23, s22
.LBB0_70:                               ;   in Loop: Header=BB0_4 Depth=1
	ds_store_b32 v3, v2 offset:4
.LBB0_71:                               ;   in Loop: Header=BB0_4 Depth=1
	s_or_b32 exec_lo, exec_lo, s23
	s_mov_b32 s22, 0
	s_and_saveexec_b32 s23, s9
	s_delay_alu instid0(SALU_CYCLE_1)
	s_xor_b32 s23, exec_lo, s23
; %bb.72:                               ;   in Loop: Header=BB0_4 Depth=1
	s_and_b32 s22, s10, exec_lo
; %bb.73:                               ;   in Loop: Header=BB0_4 Depth=1
	s_or_saveexec_b32 s23, s23
	v_dual_mov_b32 v2, 0 :: v_dual_mov_b32 v3, v179
	s_xor_b32 exec_lo, exec_lo, s23
	s_cbranch_execz .LBB0_75
; %bb.74:                               ;   in Loop: Header=BB0_4 Depth=1
	ds_load_b64 v[4:5], v189 offset:264
	v_mov_b32_e32 v3, v198
	s_or_b32 s22, s22, exec_lo
	s_wait_dscnt 0x0
	v_xor_b32_e32 v2, 0x80000000, v5
	ds_store_b32 v198, v4
.LBB0_75:                               ;   in Loop: Header=BB0_4 Depth=1
	s_or_b32 exec_lo, exec_lo, s23
	s_and_saveexec_b32 s23, s22
; %bb.76:                               ;   in Loop: Header=BB0_4 Depth=1
	ds_store_b32 v3, v2 offset:4
; %bb.77:                               ;   in Loop: Header=BB0_4 Depth=1
	s_or_b32 exec_lo, exec_lo, s23
	s_mov_b32 s22, 0
	s_and_saveexec_b32 s23, s11
	s_delay_alu instid0(SALU_CYCLE_1)
	s_xor_b32 s23, exec_lo, s23
; %bb.78:                               ;   in Loop: Header=BB0_4 Depth=1
	s_and_b32 s22, s12, exec_lo
; %bb.79:                               ;   in Loop: Header=BB0_4 Depth=1
	s_or_saveexec_b32 s23, s23
	v_dual_mov_b32 v2, 0 :: v_dual_mov_b32 v3, v179
	s_xor_b32 exec_lo, exec_lo, s23
	s_cbranch_execz .LBB0_81
; %bb.80:                               ;   in Loop: Header=BB0_4 Depth=1
	ds_load_b64 v[4:5], v189 offset:528
	v_mov_b32_e32 v3, v199
	s_or_b32 s22, s22, exec_lo
	s_wait_dscnt 0x0
	v_xor_b32_e32 v2, 0x80000000, v5
	ds_store_b32 v199, v4
.LBB0_81:                               ;   in Loop: Header=BB0_4 Depth=1
	s_or_b32 exec_lo, exec_lo, s23
	s_and_saveexec_b32 s23, s22
; %bb.82:                               ;   in Loop: Header=BB0_4 Depth=1
	ds_store_b32 v3, v2 offset:4
; %bb.83:                               ;   in Loop: Header=BB0_4 Depth=1
	s_or_b32 exec_lo, exec_lo, s23
	s_wait_dscnt 0x0
	s_barrier_signal -1
	s_barrier_wait -1
	ds_load_b64 v[10:11], v188
	ds_load_b128 v[2:5], v181 offset:256
	ds_load_2addr_b64 v[6:9], v189 offset1:33
	ds_load_b128 v[14:17], v181 offset:272
	ds_load_b64 v[18:19], v189 offset:528
	s_wait_dscnt 0x0
	s_barrier_signal -1
	s_barrier_wait -1
	v_pk_mul_f32 v[20:21], v[2:3], v[10:11] op_sel:[1,1] op_sel_hi:[0,1]
	v_dual_mov_b32 v22, v5 :: v_dual_mov_b32 v23, v4
	v_pk_mul_f32 v[24:25], v[14:15], v[8:9] op_sel:[1,1] op_sel_hi:[0,1]
	v_dual_mov_b32 v28, v17 :: v_dual_mov_b32 v29, v16
	s_delay_alu instid0(VALU_DEP_4) | instskip(NEXT) | instid1(VALU_DEP_4)
	v_pk_fma_f32 v[26:27], v[2:3], v[10:11], v[20:21] op_sel_hi:[1,0,1]
	v_pk_mul_f32 v[22:23], v[22:23], v[6:7] op_sel:[0,1]
	v_pk_fma_f32 v[2:3], v[2:3], v[10:11], v[20:21] neg_lo:[0,0,1] neg_hi:[0,0,1]
	v_pk_fma_f32 v[20:21], v[14:15], v[8:9], v[24:25] op_sel_hi:[1,0,1]
	s_delay_alu instid0(VALU_DEP_3)
	v_pk_fma_f32 v[10:11], v[4:5], v[6:7], v[22:23] op_sel_hi:[1,0,1]
	v_mov_b32_e32 v3, v27
	v_pk_fma_f32 v[4:5], v[4:5], v[6:7], v[22:23] neg_lo:[0,0,1] neg_hi:[0,0,1]
	v_pk_mul_f32 v[26:27], v[28:29], v[18:19] op_sel:[0,1]
	v_pk_fma_f32 v[6:7], v[14:15], v[8:9], v[24:25] neg_lo:[0,0,1] neg_hi:[0,0,1]
	v_mov_b32_e32 v5, v11
	v_pk_add_f32 v[2:3], v[2:3], 0 op_sel_hi:[1,0]
	s_delay_alu instid0(VALU_DEP_4) | instskip(SKIP_1) | instid1(VALU_DEP_3)
	v_pk_fma_f32 v[8:9], v[16:17], v[18:19], v[26:27] op_sel_hi:[1,0,1]
	v_mov_b32_e32 v7, v21
	v_pk_add_f32 v[2:3], v[2:3], v[4:5]
	v_pk_fma_f32 v[4:5], v[16:17], v[18:19], v[26:27] neg_lo:[0,0,1] neg_hi:[0,0,1]
	s_delay_alu instid0(VALU_DEP_4) | instskip(NEXT) | instid1(VALU_DEP_3)
	v_mov_b32_e32 v5, v9
	v_pk_add_f32 v[2:3], v[2:3], v[6:7]
	s_delay_alu instid0(VALU_DEP_1)
	v_pk_add_f32 v[2:3], v[2:3], v[4:5]
	ds_store_b64 v193, v[2:3]
	s_wait_dscnt 0x0
	s_barrier_signal -1
	s_barrier_wait -1
	s_and_saveexec_b32 s22, s21
	s_cbranch_execz .LBB0_85
; %bb.84:                               ;   in Loop: Header=BB0_4 Depth=1
	ds_load_2addr_b64 v[2:5], v185 offset1:7
	ds_load_2addr_b64 v[6:9], v185 offset0:1 offset1:2
	ds_load_2addr_b64 v[14:17], v185 offset0:3 offset1:4
	;; [unrolled: 1-line block ×3, first 2 shown]
	s_wait_dscnt 0x2
	v_dual_add_f32 v2, v6, v2 :: v_dual_add_f32 v3, v7, v3
	s_delay_alu instid0(VALU_DEP_1) | instskip(SKIP_1) | instid1(VALU_DEP_1)
	v_dual_add_f32 v2, v8, v2 :: v_dual_add_f32 v3, v9, v3
	s_wait_dscnt 0x1
	v_dual_add_f32 v2, v2, v14 :: v_dual_add_f32 v3, v3, v15
	s_delay_alu instid0(VALU_DEP_1) | instskip(SKIP_1) | instid1(VALU_DEP_1)
	v_dual_add_f32 v2, v2, v16 :: v_dual_add_f32 v3, v3, v17
	s_wait_dscnt 0x0
	v_dual_add_f32 v2, v2, v18 :: v_dual_add_f32 v3, v3, v19
	s_delay_alu instid0(VALU_DEP_1) | instskip(NEXT) | instid1(VALU_DEP_1)
	v_pk_add_f32 v[2:3], v[2:3], v[20:21]
	v_pk_add_f32 v[104:105], v[2:3], v[4:5]
.LBB0_85:                               ;   in Loop: Header=BB0_4 Depth=1
	s_or_b32 exec_lo, exec_lo, s22
	v_add_nc_u64_e32 v[2:3], s[64:65], v[0:1]
	s_and_b32 vcc_lo, exec_lo, s72
	s_mov_b32 s22, -1
	s_barrier_signal -1
	s_barrier_wait -1
                                        ; implicit-def: $vgpr14_vgpr15
	s_cbranch_vccz .LBB0_95
; %bb.86:                               ;   in Loop: Header=BB0_4 Depth=1
	v_lshl_add_u64 v[4:5], v[100:101], 3, v[0:1]
	v_dual_mov_b32 v8, 0 :: v_dual_mov_b32 v6, 0
	v_mov_b32_e32 v7, 0
	s_delay_alu instid0(VALU_DEP_3) | instskip(NEXT) | instid1(VALU_DEP_1)
	v_lshl_add_u64 v[4:5], s[42:43], 3, v[4:5]
	v_add_nc_u64_e32 v[4:5], s[66:67], v[4:5]
	s_delay_alu instid0(VALU_DEP_1)
	v_dual_cndmask_b32 v5, v5, v3, s1 :: v_dual_cndmask_b32 v4, v4, v2, s1
	s_and_saveexec_b32 s22, s20
	s_cbranch_execz .LBB0_88
; %bb.87:                               ;   in Loop: Header=BB0_4 Depth=1
	global_load_b64 v[6:7], v[4:5], off
.LBB0_88:                               ;   in Loop: Header=BB0_4 Depth=1
	s_wait_xcnt 0x0
	s_or_b32 exec_lo, exec_lo, s22
	v_mov_b32_e32 v9, 0
	s_wait_loadcnt 0x0
	ds_store_b64 v187, v[6:7]
	s_and_saveexec_b32 s22, s14
	s_cbranch_execz .LBB0_90
; %bb.89:                               ;   in Loop: Header=BB0_4 Depth=1
	v_add_nc_u64_e32 v[6:7], s[48:49], v[4:5]
	global_load_b64 v[8:9], v[6:7], off
.LBB0_90:                               ;   in Loop: Header=BB0_4 Depth=1
	s_wait_xcnt 0x0
	s_or_b32 exec_lo, exec_lo, s22
	v_dual_mov_b32 v6, 0 :: v_dual_mov_b32 v10, 0
	v_mov_b32_e32 v11, 0
	s_wait_loadcnt 0x0
	ds_store_b64 v187, v[8:9] offset:2112
	s_and_saveexec_b32 s22, s17
	s_cbranch_execz .LBB0_92
; %bb.91:                               ;   in Loop: Header=BB0_4 Depth=1
	v_add_nc_u64_e32 v[8:9], s[50:51], v[4:5]
	global_load_b64 v[10:11], v[8:9], off
.LBB0_92:                               ;   in Loop: Header=BB0_4 Depth=1
	s_wait_xcnt 0x0
	s_or_b32 exec_lo, exec_lo, s22
	v_mov_b32_e32 v7, 0
	s_wait_loadcnt 0x0
	ds_store_b64 v187, v[10:11] offset:4224
	s_and_saveexec_b32 s22, s18
	s_cbranch_execz .LBB0_94
; %bb.93:                               ;   in Loop: Header=BB0_4 Depth=1
	v_add_nc_u64_e32 v[6:7], s[58:59], v[4:5]
	global_load_b64 v[6:7], v[6:7], off
.LBB0_94:                               ;   in Loop: Header=BB0_4 Depth=1
	s_wait_xcnt 0x0
	s_or_b32 exec_lo, exec_lo, s22
	v_lshlrev_b32_e32 v58, 3, v56
	s_mov_b32 s22, 0
	s_wait_loadcnt 0x0
	ds_store_b64 v187, v[6:7] offset:6336
	v_add_nc_u64_e32 v[4:5], v[4:5], v[58:59]
	s_delay_alu instid0(VALU_DEP_1) | instskip(NEXT) | instid1(VALU_DEP_1)
	v_lshl_add_u64 v[4:5], s[68:69], 3, v[4:5]
	v_add_nc_u64_e32 v[4:5], 8, v[4:5]
	s_delay_alu instid0(VALU_DEP_1)
	v_dual_cndmask_b32 v15, v5, v3, s1 :: v_dual_cndmask_b32 v14, v4, v2, s1
.LBB0_95:                               ;   in Loop: Header=BB0_4 Depth=1
	s_and_b32 vcc_lo, exec_lo, s22
	s_cbranch_vccz .LBB0_97
; %bb.96:                               ;   in Loop: Header=BB0_4 Depth=1
	v_add_nc_u64_e32 v[4:5], s[48:49], v[0:1]
	v_mov_b64_e32 v[14:15], v[2:3]
	s_delay_alu instid0(VALU_DEP_2) | instskip(NEXT) | instid1(VALU_DEP_1)
	v_add_nc_u64_e32 v[6:7], s[48:49], v[4:5]
	v_add_nc_u64_e32 v[8:9], s[48:49], v[6:7]
	s_clause 0x3
	global_load_b64 v[0:1], v[0:1], off offset:-256
	global_load_b64 v[4:5], v[4:5], off offset:-256
	;; [unrolled: 1-line block ×4, first 2 shown]
	s_wait_loadcnt 0x3
	ds_store_b64 v187, v[0:1]
	s_wait_loadcnt 0x2
	ds_store_b64 v187, v[4:5] offset:2112
	s_wait_loadcnt 0x1
	ds_store_b64 v187, v[6:7] offset:4224
	;; [unrolled: 2-line block ×3, first 2 shown]
.LBB0_97:                               ;   in Loop: Header=BB0_4 Depth=1
	s_wait_xcnt 0x3
	v_dual_add_nc_u32 v0, v180, v186 :: v_dual_add_nc_u32 v1, v181, v186
	s_wait_dscnt 0x0
	s_barrier_signal -1
	s_barrier_wait -1
	s_wait_xcnt 0x2
	ds_load_b64 v[4:5], v0
	s_wait_xcnt 0x1
	ds_load_b64 v[6:7], v1
	ds_load_2addr_b64 v[20:23], v193 offset0:8 offset1:16
	ds_load_2addr_b64 v[24:27], v194 offset0:8 offset1:16
	ds_load_b64 v[28:29], v193 offset:192
	ds_load_b64 v[30:31], v194 offset:192
	ds_load_2addr_b64 v[0:3], v189 offset1:33
	ds_load_b64 v[18:19], v188
	ds_load_b64 v[16:17], v189 offset:528
	s_wait_dscnt 0x7
	s_wait_xcnt 0x0
	v_pk_mul_f32 v[8:9], v[4:5], v[6:7] op_sel:[1,1] op_sel_hi:[1,0]
	s_wait_dscnt 0x5
	v_pk_mul_f32 v[10:11], v[20:21], v[24:25] op_sel:[1,1] op_sel_hi:[1,0]
	v_pk_mul_f32 v[34:35], v[22:23], v[26:27] op_sel:[1,1] op_sel_hi:[1,0]
	s_delay_alu instid0(VALU_DEP_3) | instskip(SKIP_1) | instid1(VALU_DEP_4)
	v_pk_fma_f32 v[32:33], v[4:5], v[6:7], v[8:9] op_sel_hi:[0,1,1] neg_lo:[0,0,1] neg_hi:[0,0,1]
	v_pk_fma_f32 v[4:5], v[4:5], v[6:7], v[8:9]
	v_pk_fma_f32 v[36:37], v[20:21], v[24:25], v[10:11] op_sel_hi:[0,1,1] neg_lo:[0,0,1] neg_hi:[0,0,1]
	v_pk_fma_f32 v[20:21], v[20:21], v[24:25], v[10:11]
	v_pk_fma_f32 v[24:25], v[22:23], v[26:27], v[34:35] op_sel_hi:[0,1,1] neg_lo:[0,0,1] neg_hi:[0,0,1]
	v_mov_b32_e32 v5, v33
	s_wait_dscnt 0x3
	v_pk_mul_f32 v[32:33], v[28:29], v[30:31] op_sel:[1,1] op_sel_hi:[1,0]
	v_mov_b32_e32 v21, v37
	v_pk_fma_f32 v[22:23], v[22:23], v[26:27], v[34:35]
	v_mov_b32_e32 v23, v25
	v_pk_add_f32 v[36:37], v[4:5], 0 op_sel_hi:[1,0]
	ds_load_b128 v[8:11], v181 offset:256
	ds_load_b128 v[4:7], v181 offset:272
	v_pk_fma_f32 v[24:25], v[28:29], v[30:31], v[32:33] op_sel_hi:[0,1,1] neg_lo:[0,0,1] neg_hi:[0,0,1]
	v_pk_fma_f32 v[26:27], v[28:29], v[30:31], v[32:33]
	s_wait_dscnt 0x0
	v_pk_add_f32 v[20:21], v[36:37], v[20:21]
	s_barrier_signal -1
	v_mov_b32_e32 v27, v25
	s_barrier_wait -1
	s_delay_alu instid0(VALU_DEP_2) | instskip(NEXT) | instid1(VALU_DEP_1)
	v_pk_add_f32 v[20:21], v[20:21], v[22:23]
	v_pk_add_f32 v[20:21], v[20:21], v[26:27]
	ds_store_b64 v193, v[20:21]
	s_wait_dscnt 0x0
	s_barrier_signal -1
	s_barrier_wait -1
	s_and_saveexec_b32 s22, s21
	s_cbranch_execz .LBB0_99
; %bb.98:                               ;   in Loop: Header=BB0_4 Depth=1
	ds_load_2addr_b64 v[20:23], v185 offset1:1
	ds_load_2addr_b64 v[24:27], v185 offset0:2 offset1:3
	ds_load_2addr_b64 v[28:31], v185 offset0:4 offset1:5
	s_wait_dscnt 0x2
	v_pk_add_f32 v[20:21], v[104:105], v[20:21]
	s_delay_alu instid0(VALU_DEP_1) | instskip(SKIP_1) | instid1(VALU_DEP_1)
	v_pk_add_f32 v[20:21], v[20:21], v[22:23]
	s_wait_dscnt 0x1
	v_pk_add_f32 v[24:25], v[20:21], v[24:25]
	ds_load_2addr_b64 v[20:23], v185 offset0:6 offset1:7
	v_pk_add_f32 v[24:25], v[24:25], v[26:27]
	s_wait_dscnt 0x1
	s_delay_alu instid0(VALU_DEP_1) | instskip(NEXT) | instid1(VALU_DEP_1)
	v_pk_add_f32 v[24:25], v[24:25], v[28:29]
	v_pk_add_f32 v[24:25], v[24:25], v[30:31]
	s_wait_dscnt 0x0
	s_delay_alu instid0(VALU_DEP_1) | instskip(NEXT) | instid1(VALU_DEP_1)
	v_pk_add_f32 v[20:21], v[24:25], v[20:21]
	v_pk_add_f32 v[104:105], v[20:21], v[22:23]
.LBB0_99:                               ;   in Loop: Header=BB0_4 Depth=1
	s_or_b32 exec_lo, exec_lo, s22
	v_pk_mul_f32 v[20:21], v[8:9], v[18:19] op_sel:[1,1] op_sel_hi:[0,1]
	v_dual_mov_b32 v22, v11 :: v_dual_mov_b32 v23, v10
	v_pk_mul_f32 v[24:25], v[4:5], v[2:3] op_sel:[1,1] op_sel_hi:[0,1]
	v_dual_mov_b32 v28, v7 :: v_dual_mov_b32 v29, v6
	s_delay_alu instid0(VALU_DEP_4) | instskip(NEXT) | instid1(VALU_DEP_4)
	v_pk_fma_f32 v[26:27], v[8:9], v[18:19], v[20:21] op_sel_hi:[1,0,1]
	v_pk_mul_f32 v[22:23], v[22:23], v[0:1] op_sel:[0,1]
	v_pk_fma_f32 v[8:9], v[8:9], v[18:19], v[20:21] neg_lo:[0,0,1] neg_hi:[0,0,1]
	v_pk_fma_f32 v[20:21], v[4:5], v[2:3], v[24:25] op_sel_hi:[1,0,1]
	v_pk_fma_f32 v[2:3], v[4:5], v[2:3], v[24:25] neg_lo:[0,0,1] neg_hi:[0,0,1]
	s_delay_alu instid0(VALU_DEP_4)
	v_pk_fma_f32 v[18:19], v[10:11], v[0:1], v[22:23] op_sel_hi:[1,0,1]
	v_mov_b32_e32 v9, v27
	v_pk_fma_f32 v[0:1], v[10:11], v[0:1], v[22:23] neg_lo:[0,0,1] neg_hi:[0,0,1]
	v_pk_mul_f32 v[26:27], v[28:29], v[16:17] op_sel:[0,1]
	s_barrier_signal -1
	v_mov_b32_e32 v1, v19
	v_pk_add_f32 v[8:9], v[8:9], 0 op_sel_hi:[1,0]
	s_barrier_wait -1
	v_pk_fma_f32 v[4:5], v[6:7], v[16:17], v[26:27] op_sel_hi:[1,0,1]
	v_mov_b32_e32 v3, v21
	v_pk_fma_f32 v[6:7], v[6:7], v[16:17], v[26:27] neg_lo:[0,0,1] neg_hi:[0,0,1]
	v_pk_add_f32 v[0:1], v[8:9], v[0:1]
	s_delay_alu instid0(VALU_DEP_4) | instskip(NEXT) | instid1(VALU_DEP_2)
	v_mov_b32_e32 v7, v5
	v_pk_add_f32 v[0:1], v[0:1], v[2:3]
	s_delay_alu instid0(VALU_DEP_1)
	v_pk_add_f32 v[0:1], v[0:1], v[6:7]
	ds_store_b64 v193, v[0:1]
	s_wait_dscnt 0x0
	s_barrier_signal -1
	s_barrier_wait -1
	s_and_saveexec_b32 s22, s16
	s_cbranch_execz .LBB0_101
; %bb.100:                              ;   in Loop: Header=BB0_4 Depth=1
	ds_load_2addr_b64 v[0:3], v185 offset1:1
	ds_load_2addr_b64 v[4:7], v185 offset0:2 offset1:3
	ds_load_2addr_b64 v[8:11], v185 offset0:4 offset1:5
	s_wait_dscnt 0x2
	v_pk_add_f32 v[0:1], v[104:105], v[0:1]
	s_delay_alu instid0(VALU_DEP_1) | instskip(SKIP_1) | instid1(VALU_DEP_1)
	v_pk_add_f32 v[0:1], v[0:1], v[2:3]
	s_wait_dscnt 0x1
	v_pk_add_f32 v[4:5], v[0:1], v[4:5]
	ds_load_2addr_b64 v[0:3], v185 offset0:6 offset1:7
	v_pk_add_f32 v[4:5], v[4:5], v[6:7]
	s_wait_dscnt 0x1
	s_delay_alu instid0(VALU_DEP_1) | instskip(NEXT) | instid1(VALU_DEP_1)
	v_pk_add_f32 v[4:5], v[4:5], v[8:9]
	v_pk_add_f32 v[4:5], v[4:5], v[10:11]
	s_wait_dscnt 0x0
	s_delay_alu instid0(VALU_DEP_1) | instskip(NEXT) | instid1(VALU_DEP_1)
	v_pk_add_f32 v[0:1], v[4:5], v[0:1]
	v_pk_add_f32 v[104:105], v[0:1], v[2:3]
.LBB0_101:                              ;   in Loop: Header=BB0_4 Depth=1
	s_or_b32 exec_lo, exec_lo, s22
	s_mul_u64 s[22:23], s[56:57], s[34:35]
	s_and_not1_b32 vcc_lo, exec_lo, s73
	s_lshl_b64 s[22:23], s[22:23], 3
	s_delay_alu instid0(SALU_CYCLE_1)
	s_add_nc_u64 s[22:23], s[40:41], s[22:23]
	s_barrier_signal -1
	s_barrier_wait -1
	s_cbranch_vccnz .LBB0_159
; %bb.102:                              ;   in Loop: Header=BB0_4 Depth=1
	v_add_nc_u64_e32 v[106:107], v[14:15], v[68:69]
	v_add_nc_u64_e32 v[108:109], v[14:15], v[70:71]
	;; [unrolled: 1-line block ×16, first 2 shown]
	v_lshl_add_u64 v[138:139], s[62:63], 3, v[12:13]
	s_mov_b32 s70, s76
	s_mov_b32 s77, s54
	s_delay_alu instid0(SALU_CYCLE_1)
	s_cmp_eq_u32 s74, s77
	s_cselect_b32 s78, s53, 0
	s_and_saveexec_b32 s79, s0
	s_cbranch_execz .LBB0_107
.LBB0_103:                              ;   in Loop: Header=BB0_4 Depth=1
	v_cmp_le_i32_e32 vcc_lo, s78, v178
	s_cmp_lg_u32 s78, 0
	s_cselect_b32 s71, -1, 0
	s_delay_alu instid0(SALU_CYCLE_1) | instskip(NEXT) | instid1(SALU_CYCLE_1)
	s_and_b32 s71, s71, vcc_lo
	s_and_saveexec_b32 s80, s71
	s_delay_alu instid0(SALU_CYCLE_1)
	s_xor_b32 s71, exec_lo, s80
; %bb.104:                              ;   in Loop: Header=BB0_4 Depth=1
	ds_store_b64 v200, v[102:103]
; %bb.105:                              ;   in Loop: Header=BB0_4 Depth=1
	s_and_not1_saveexec_b32 s71, s71
	s_cbranch_execz .LBB0_107
; %bb.106:                              ;   in Loop: Header=BB0_4 Depth=1
	s_ashr_i32 s71, s70, 31
	s_delay_alu instid0(SALU_CYCLE_1) | instskip(NEXT) | instid1(SALU_CYCLE_1)
	s_mul_u64 s[80:81], s[24:25], s[70:71]
	v_lshl_add_u64 v[0:1], s[80:81], 3, v[138:139]
	global_load_b64 v[0:1], v[0:1], off
	s_wait_loadcnt 0x0
	ds_store_b64 v200, v[0:1]
.LBB0_107:                              ;   Parent Loop BB0_4 Depth=1
                                        ; =>  This Inner Loop Header: Depth=2
	s_wait_xcnt 0x0
	s_or_b32 exec_lo, exec_lo, s79
	s_cmp_eq_u32 s78, 0
	v_add_nc_u64_e32 v[0:1], v[106:107], v[60:61]
	s_cselect_b32 s71, -1, 0
	s_cmp_lg_u32 s78, 0
	s_wait_dscnt 0x0
	s_cselect_b32 s79, -1, 0
	s_barrier_signal -1
	s_and_b32 vcc_lo, exec_lo, s79
	s_barrier_wait -1
	s_cbranch_vccz .LBB0_115
; %bb.108:                              ;   in Loop: Header=BB0_107 Depth=2
	v_mov_b64_e32 v[140:141], 0
	v_mov_b64_e32 v[142:143], 0
	s_mov_b32 s80, exec_lo
	v_cmpx_gt_i32_e64 s78, v190
	s_cbranch_execz .LBB0_110
; %bb.109:                              ;   in Loop: Header=BB0_107 Depth=2
	global_load_b64 v[142:143], v[0:1], off
.LBB0_110:                              ;   in Loop: Header=BB0_107 Depth=2
	s_wait_xcnt 0x0
	s_or_b32 exec_lo, exec_lo, s80
	s_delay_alu instid0(SALU_CYCLE_1)
	s_mov_b32 s80, exec_lo
	v_cmpx_gt_i32_e64 s78, v202
	s_cbranch_execz .LBB0_112
; %bb.111:                              ;   in Loop: Header=BB0_107 Depth=2
	v_add_nc_u64_e32 v[2:3], v[110:111], v[60:61]
	global_load_b64 v[140:141], v[2:3], off
.LBB0_112:                              ;   in Loop: Header=BB0_107 Depth=2
	s_wait_xcnt 0x0
	s_or_b32 exec_lo, exec_lo, s80
	v_mov_b64_e32 v[144:145], 0
	s_mov_b32 s80, exec_lo
	v_cmpx_gt_i32_e64 s78, v203
	s_cbranch_execz .LBB0_114
; %bb.113:                              ;   in Loop: Header=BB0_107 Depth=2
	v_add_nc_u64_e32 v[2:3], v[108:109], v[60:61]
	global_load_b64 v[144:145], v[2:3], off
.LBB0_114:                              ;   in Loop: Header=BB0_107 Depth=2
	s_wait_xcnt 0x0
	s_or_b32 exec_lo, exec_lo, s80
	v_cmp_gt_i32_e64 s80, s78, v204
	s_branch .LBB0_117
.LBB0_115:                              ;   in Loop: Header=BB0_107 Depth=2
	s_mov_b32 s80, 0
                                        ; implicit-def: $vgpr144_vgpr145
                                        ; implicit-def: $vgpr140_vgpr141
                                        ; implicit-def: $vgpr142_vgpr143
	s_cbranch_execz .LBB0_117
; %bb.116:                              ;   in Loop: Header=BB0_107 Depth=2
	v_add_nc_u64_e32 v[2:3], v[110:111], v[60:61]
	v_add_nc_u64_e32 v[4:5], v[108:109], v[60:61]
	s_or_b32 s80, s80, exec_lo
	s_wait_loadcnt 0x0
	global_load_b64 v[142:143], v[0:1], off
	global_load_b64 v[140:141], v[2:3], off
	global_load_b64 v[144:145], v[4:5], off
.LBB0_117:                              ;   in Loop: Header=BB0_107 Depth=2
	v_dual_mov_b32 v146, 0 :: v_dual_mov_b32 v148, 0
	s_wait_xcnt 0x0
	s_delay_alu instid0(VALU_DEP_2)
	s_and_saveexec_b32 s81, s80
	s_cbranch_execz .LBB0_119
; %bb.118:                              ;   in Loop: Header=BB0_107 Depth=2
	v_add_nc_u64_e32 v[0:1], v[112:113], v[60:61]
	global_load_b64 v[146:147], v[0:1], off
	s_wait_loadcnt 0x0
	v_mov_b32_e32 v148, v147
.LBB0_119:                              ;   in Loop: Header=BB0_107 Depth=2
	s_wait_xcnt 0x0
	s_or_b32 exec_lo, exec_lo, s81
	ds_load_b64 v[4:5], v196
	ds_load_b128 v[0:3], v201
	v_cndmask_b32_e64 v40, 0, 1, s79
	s_and_not1_b32 vcc_lo, exec_lo, s79
	s_wait_loadcnt_dscnt 0x1
	v_pk_mul_f32 v[6:7], v[142:143], v[4:5] op_sel:[1,0]
	v_pk_mul_f32 v[8:9], v[140:141], v[4:5] op_sel:[1,0]
	;; [unrolled: 1-line block ×3, first 2 shown]
	v_pk_mul_f32 v[12:13], v[148:149], v[4:5] op_sel_hi:[0,1]
	s_delay_alu instid0(VALU_DEP_4)
	v_pk_fma_f32 v[14:15], v[142:143], v[4:5], v[6:7] op_sel:[0,0,1] op_sel_hi:[1,1,0]
	v_pk_fma_f32 v[6:7], v[142:143], v[4:5], v[6:7] op_sel:[0,0,1] op_sel_hi:[0,1,0] neg_lo:[0,0,1] neg_hi:[0,0,1]
	v_pk_fma_f32 v[16:17], v[140:141], v[4:5], v[8:9] op_sel:[0,0,1] op_sel_hi:[1,1,0]
	v_pk_fma_f32 v[8:9], v[140:141], v[4:5], v[8:9] op_sel:[0,0,1] op_sel_hi:[0,1,0] neg_lo:[0,0,1] neg_hi:[0,0,1]
	;; [unrolled: 2-line block ×3, first 2 shown]
	v_pk_fma_f32 v[20:21], v[146:147], v[4:5], v[12:13] op_sel:[0,0,1] op_sel_hi:[0,1,0] neg_lo:[0,0,1] neg_hi:[0,0,1]
	v_pk_fma_f32 v[12:13], v[146:147], v[4:5], v[12:13] op_sel:[0,0,1] op_sel_hi:[1,1,0]
	v_dual_mov_b32 v15, v7 :: v_dual_mov_b32 v17, v9
	s_delay_alu instid0(VALU_DEP_3)
	v_dual_mov_b32 v19, v11 :: v_dual_mov_b32 v13, v21
	ds_load_b128 v[4:7], v201 offset:16
	ds_store_2addr_b64 v191, v[14:15], v[16:17] offset1:67
	ds_store_2addr_b64 v191, v[18:19], v[12:13] offset0:134 offset1:201
	s_wait_dscnt 0x0
	s_barrier_signal -1
	s_barrier_wait -1
	ds_load_2addr_b64 v[20:23], v182 offset1:1
	ds_load_2addr_b64 v[16:19], v182 offset0:2 offset1:3
	v_add_nc_u64_e32 v[8:9], v[114:115], v[60:61]
	s_wait_dscnt 0x0
	s_barrier_signal -1
	s_barrier_wait -1
	s_cbranch_vccnz .LBB0_127
; %bb.120:                              ;   in Loop: Header=BB0_107 Depth=2
	v_mov_b64_e32 v[150:151], 0
	v_mov_b64_e32 v[152:153], 0
	s_mov_b32 s79, exec_lo
	v_cmpx_gt_i32_e64 s78, v205
	s_cbranch_execz .LBB0_122
; %bb.121:                              ;   in Loop: Header=BB0_107 Depth=2
	global_load_b64 v[152:153], v[8:9], off
.LBB0_122:                              ;   in Loop: Header=BB0_107 Depth=2
	s_wait_xcnt 0x0
	s_or_b32 exec_lo, exec_lo, s79
	s_delay_alu instid0(SALU_CYCLE_1)
	s_mov_b32 s79, exec_lo
	v_cmpx_gt_i32_e64 s78, v206
	s_cbranch_execz .LBB0_124
; %bb.123:                              ;   in Loop: Header=BB0_107 Depth=2
	v_add_nc_u64_e32 v[10:11], v[116:117], v[60:61]
	global_load_b64 v[150:151], v[10:11], off
.LBB0_124:                              ;   in Loop: Header=BB0_107 Depth=2
	s_wait_xcnt 0x0
	s_or_b32 exec_lo, exec_lo, s79
	v_mov_b64_e32 v[154:155], 0
	s_mov_b32 s79, exec_lo
	v_cmpx_gt_i32_e64 s78, v207
	s_cbranch_execz .LBB0_126
; %bb.125:                              ;   in Loop: Header=BB0_107 Depth=2
	v_add_nc_u64_e32 v[10:11], v[118:119], v[60:61]
	global_load_b64 v[154:155], v[10:11], off
.LBB0_126:                              ;   in Loop: Header=BB0_107 Depth=2
	s_wait_xcnt 0x0
	s_or_b32 exec_lo, exec_lo, s79
	v_cmp_gt_i32_e64 s79, s78, v208
	s_branch .LBB0_129
.LBB0_127:                              ;   in Loop: Header=BB0_107 Depth=2
	s_mov_b32 s79, 0
                                        ; implicit-def: $vgpr154_vgpr155
                                        ; implicit-def: $vgpr150_vgpr151
                                        ; implicit-def: $vgpr152_vgpr153
	s_cbranch_execz .LBB0_129
; %bb.128:                              ;   in Loop: Header=BB0_107 Depth=2
	v_add_nc_u64_e32 v[10:11], v[116:117], v[60:61]
	v_add_nc_u64_e32 v[12:13], v[118:119], v[60:61]
	s_or_b32 s79, s79, exec_lo
	s_wait_loadcnt 0x0
	global_load_b64 v[152:153], v[8:9], off
	global_load_b64 v[150:151], v[10:11], off
	;; [unrolled: 1-line block ×3, first 2 shown]
.LBB0_129:                              ;   in Loop: Header=BB0_107 Depth=2
	v_dual_mov_b32 v156, 0 :: v_dual_mov_b32 v58, 0
	s_wait_xcnt 0x0
	s_delay_alu instid0(VALU_DEP_2)
	s_and_saveexec_b32 s80, s79
	s_cbranch_execz .LBB0_131
; %bb.130:                              ;   in Loop: Header=BB0_107 Depth=2
	v_add_nc_u64_e32 v[8:9], v[120:121], v[60:61]
	global_load_b64 v[156:157], v[8:9], off
	s_wait_loadcnt 0x0
	v_mov_b32_e32 v58, v157
.LBB0_131:                              ;   in Loop: Header=BB0_107 Depth=2
	s_wait_xcnt 0x0
	s_or_b32 exec_lo, exec_lo, s80
	ds_load_b64 v[8:9], v196
	v_cmp_ne_u32_e32 vcc_lo, 1, v40
	s_and_b32 vcc_lo, exec_lo, vcc_lo
	s_wait_loadcnt_dscnt 0x0
	v_pk_mul_f32 v[10:11], v[152:153], v[8:9] op_sel:[1,1] op_sel_hi:[1,0]
	v_pk_mul_f32 v[12:13], v[150:151], v[8:9] op_sel:[1,1] op_sel_hi:[1,0]
	;; [unrolled: 1-line block ×4, first 2 shown]
	s_delay_alu instid0(VALU_DEP_4)
	v_pk_fma_f32 v[26:27], v[152:153], v[8:9], v[10:11]
	v_pk_fma_f32 v[10:11], v[152:153], v[8:9], v[10:11] op_sel_hi:[0,1,1] neg_lo:[0,0,1] neg_hi:[0,0,1]
	v_pk_fma_f32 v[28:29], v[150:151], v[8:9], v[12:13]
	v_pk_fma_f32 v[12:13], v[150:151], v[8:9], v[12:13] op_sel_hi:[0,1,1] neg_lo:[0,0,1] neg_hi:[0,0,1]
	;; [unrolled: 2-line block ×3, first 2 shown]
	v_pk_fma_f32 v[32:33], v[156:157], v[8:9], v[24:25] op_sel_hi:[0,1,1] neg_lo:[0,0,1] neg_hi:[0,0,1]
	v_pk_fma_f32 v[24:25], v[156:157], v[8:9], v[24:25]
	v_dual_mov_b32 v27, v11 :: v_dual_mov_b32 v29, v13
	s_delay_alu instid0(VALU_DEP_3)
	v_dual_mov_b32 v31, v15 :: v_dual_mov_b32 v25, v33
	ds_load_b128 v[12:15], v201 offset:128
	ds_load_b128 v[8:11], v201 offset:144
	ds_store_2addr_b64 v191, v[26:27], v[28:29] offset1:67
	ds_store_2addr_b64 v191, v[30:31], v[24:25] offset0:134 offset1:201
	s_wait_dscnt 0x0
	s_barrier_signal -1
	s_barrier_wait -1
	ds_load_2addr_b64 v[36:39], v182 offset1:1
	ds_load_2addr_b64 v[32:35], v182 offset0:2 offset1:3
	v_add_nc_u64_e32 v[24:25], v[122:123], v[60:61]
	s_wait_dscnt 0x0
	s_barrier_signal -1
	s_barrier_wait -1
	s_cbranch_vccnz .LBB0_139
; %bb.132:                              ;   in Loop: Header=BB0_107 Depth=2
	v_mov_b64_e32 v[158:159], 0
	v_mov_b64_e32 v[160:161], 0
	s_mov_b32 s79, exec_lo
	v_cmpx_gt_i32_e64 s78, v209
	s_cbranch_execz .LBB0_134
; %bb.133:                              ;   in Loop: Header=BB0_107 Depth=2
	global_load_b64 v[160:161], v[24:25], off
.LBB0_134:                              ;   in Loop: Header=BB0_107 Depth=2
	s_wait_xcnt 0x0
	s_or_b32 exec_lo, exec_lo, s79
	s_delay_alu instid0(SALU_CYCLE_1)
	s_mov_b32 s79, exec_lo
	v_cmpx_gt_i32_e64 s78, v210
	s_cbranch_execz .LBB0_136
; %bb.135:                              ;   in Loop: Header=BB0_107 Depth=2
	v_add_nc_u64_e32 v[26:27], v[124:125], v[60:61]
	global_load_b64 v[158:159], v[26:27], off
.LBB0_136:                              ;   in Loop: Header=BB0_107 Depth=2
	s_wait_xcnt 0x0
	s_or_b32 exec_lo, exec_lo, s79
	v_mov_b64_e32 v[162:163], 0
	s_mov_b32 s79, exec_lo
	v_cmpx_gt_i32_e64 s78, v211
	s_cbranch_execz .LBB0_138
; %bb.137:                              ;   in Loop: Header=BB0_107 Depth=2
	v_add_nc_u64_e32 v[26:27], v[126:127], v[60:61]
	global_load_b64 v[162:163], v[26:27], off
.LBB0_138:                              ;   in Loop: Header=BB0_107 Depth=2
	s_wait_xcnt 0x0
	s_or_b32 exec_lo, exec_lo, s79
	v_cmp_gt_i32_e64 s79, s78, v212
	s_branch .LBB0_141
.LBB0_139:                              ;   in Loop: Header=BB0_107 Depth=2
	s_mov_b32 s79, 0
                                        ; implicit-def: $vgpr162_vgpr163
                                        ; implicit-def: $vgpr158_vgpr159
                                        ; implicit-def: $vgpr160_vgpr161
	s_cbranch_execz .LBB0_141
; %bb.140:                              ;   in Loop: Header=BB0_107 Depth=2
	v_add_nc_u64_e32 v[26:27], v[124:125], v[60:61]
	v_add_nc_u64_e32 v[28:29], v[126:127], v[60:61]
	s_or_b32 s79, s79, exec_lo
	s_wait_loadcnt 0x0
	global_load_b64 v[160:161], v[24:25], off
	global_load_b64 v[158:159], v[26:27], off
	global_load_b64 v[162:163], v[28:29], off
.LBB0_141:                              ;   in Loop: Header=BB0_107 Depth=2
	v_dual_mov_b32 v164, 0 :: v_dual_mov_b32 v166, 0
	s_wait_xcnt 0x0
	s_delay_alu instid0(VALU_DEP_2)
	s_and_saveexec_b32 s80, s79
	s_cbranch_execz .LBB0_143
; %bb.142:                              ;   in Loop: Header=BB0_107 Depth=2
	v_add_nc_u64_e32 v[24:25], v[128:129], v[60:61]
	global_load_b64 v[164:165], v[24:25], off
	s_wait_loadcnt 0x0
	v_mov_b32_e32 v166, v165
.LBB0_143:                              ;   in Loop: Header=BB0_107 Depth=2
	s_wait_xcnt 0x0
	s_or_b32 exec_lo, exec_lo, s80
	ds_load_b64 v[24:25], v196
	v_cmp_ne_u32_e32 vcc_lo, 1, v40
	v_add_nc_u64_e32 v[40:41], v[130:131], v[60:61]
	s_and_b32 vcc_lo, exec_lo, vcc_lo
	s_wait_loadcnt_dscnt 0x0
	v_pk_mul_f32 v[26:27], v[160:161], v[24:25] op_sel:[1,0]
	v_pk_mul_f32 v[28:29], v[158:159], v[24:25] op_sel:[1,0]
	;; [unrolled: 1-line block ×3, first 2 shown]
	v_pk_mul_f32 v[42:43], v[166:167], v[24:25] op_sel_hi:[0,1]
	s_delay_alu instid0(VALU_DEP_4)
	v_pk_fma_f32 v[44:45], v[160:161], v[24:25], v[26:27] op_sel:[0,0,1] op_sel_hi:[1,1,0]
	v_pk_fma_f32 v[26:27], v[160:161], v[24:25], v[26:27] op_sel:[0,0,1] op_sel_hi:[0,1,0] neg_lo:[0,0,1] neg_hi:[0,0,1]
	v_pk_fma_f32 v[46:47], v[158:159], v[24:25], v[28:29] op_sel:[0,0,1] op_sel_hi:[1,1,0]
	v_pk_fma_f32 v[28:29], v[158:159], v[24:25], v[28:29] op_sel:[0,0,1] op_sel_hi:[0,1,0] neg_lo:[0,0,1] neg_hi:[0,0,1]
	;; [unrolled: 2-line block ×3, first 2 shown]
	v_pk_fma_f32 v[50:51], v[164:165], v[24:25], v[42:43] op_sel:[0,0,1] op_sel_hi:[0,1,0] neg_lo:[0,0,1] neg_hi:[0,0,1]
	v_pk_fma_f32 v[42:43], v[164:165], v[24:25], v[42:43] op_sel:[0,0,1] op_sel_hi:[1,1,0]
	v_dual_mov_b32 v45, v27 :: v_dual_mov_b32 v47, v29
	s_delay_alu instid0(VALU_DEP_3)
	v_dual_mov_b32 v49, v31 :: v_dual_mov_b32 v43, v51
	ds_load_b128 v[28:31], v201 offset:256
	ds_load_b128 v[24:27], v201 offset:272
	ds_store_2addr_b64 v191, v[44:45], v[46:47] offset1:67
	ds_store_2addr_b64 v191, v[48:49], v[42:43] offset0:134 offset1:201
	s_wait_dscnt 0x0
	s_barrier_signal -1
	s_barrier_wait -1
	ds_load_2addr_b64 v[52:55], v182 offset1:1
	ds_load_2addr_b64 v[48:51], v182 offset0:2 offset1:3
	s_wait_dscnt 0x0
	s_barrier_signal -1
	s_barrier_wait -1
	s_cbranch_vccnz .LBB0_151
; %bb.144:                              ;   in Loop: Header=BB0_107 Depth=2
	v_mov_b64_e32 v[168:169], 0
	v_mov_b64_e32 v[170:171], 0
	s_mov_b32 s79, exec_lo
	v_cmpx_gt_i32_e64 s78, v213
	s_cbranch_execz .LBB0_146
; %bb.145:                              ;   in Loop: Header=BB0_107 Depth=2
	global_load_b64 v[170:171], v[40:41], off
.LBB0_146:                              ;   in Loop: Header=BB0_107 Depth=2
	s_wait_xcnt 0x0
	s_or_b32 exec_lo, exec_lo, s79
	s_delay_alu instid0(SALU_CYCLE_1)
	s_mov_b32 s79, exec_lo
	v_cmpx_gt_i32_e64 s78, v214
	s_cbranch_execz .LBB0_148
; %bb.147:                              ;   in Loop: Header=BB0_107 Depth=2
	v_add_nc_u64_e32 v[42:43], v[132:133], v[60:61]
	global_load_b64 v[168:169], v[42:43], off
.LBB0_148:                              ;   in Loop: Header=BB0_107 Depth=2
	s_wait_xcnt 0x0
	s_or_b32 exec_lo, exec_lo, s79
	v_mov_b64_e32 v[172:173], 0
	s_mov_b32 s79, exec_lo
	v_cmpx_gt_i32_e64 s78, v57
	s_cbranch_execz .LBB0_150
; %bb.149:                              ;   in Loop: Header=BB0_107 Depth=2
	v_add_nc_u64_e32 v[42:43], v[134:135], v[60:61]
	global_load_b64 v[172:173], v[42:43], off
.LBB0_150:                              ;   in Loop: Header=BB0_107 Depth=2
	s_wait_xcnt 0x0
	s_or_b32 exec_lo, exec_lo, s79
	v_cmp_gt_i32_e64 s79, s78, v215
	s_branch .LBB0_153
.LBB0_151:                              ;   in Loop: Header=BB0_107 Depth=2
	s_mov_b32 s79, 0
                                        ; implicit-def: $vgpr172_vgpr173
                                        ; implicit-def: $vgpr168_vgpr169
                                        ; implicit-def: $vgpr170_vgpr171
	s_cbranch_execz .LBB0_153
; %bb.152:                              ;   in Loop: Header=BB0_107 Depth=2
	v_add_nc_u64_e32 v[42:43], v[132:133], v[60:61]
	v_add_nc_u64_e32 v[44:45], v[134:135], v[60:61]
	s_or_b32 s79, s79, exec_lo
	s_wait_loadcnt 0x0
	global_load_b64 v[170:171], v[40:41], off
	global_load_b64 v[168:169], v[42:43], off
	;; [unrolled: 1-line block ×3, first 2 shown]
.LBB0_153:                              ;   in Loop: Header=BB0_107 Depth=2
	v_dual_mov_b32 v174, 0 :: v_dual_mov_b32 v176, 0
	s_wait_xcnt 0x0
	s_delay_alu instid0(VALU_DEP_2)
	s_and_saveexec_b32 s80, s79
	s_cbranch_execz .LBB0_155
; %bb.154:                              ;   in Loop: Header=BB0_107 Depth=2
	v_add_nc_u64_e32 v[40:41], v[136:137], v[60:61]
	global_load_b64 v[174:175], v[40:41], off
	s_wait_loadcnt 0x0
	v_mov_b32_e32 v176, v175
.LBB0_155:                              ;   in Loop: Header=BB0_107 Depth=2
	s_wait_xcnt 0x0
	s_or_b32 exec_lo, exec_lo, s80
	ds_load_b64 v[44:45], v196
	ds_load_b128 v[40:43], v201 offset:384
	v_pk_add_f32 v[36:37], v[36:37], 0 op_sel_hi:[1,0]
	v_pk_add_f32 v[20:21], v[20:21], 0 op_sel_hi:[1,0]
	v_pk_add_f32 v[52:53], v[52:53], 0 op_sel_hi:[1,0]
	v_cmp_gt_i32_e32 vcc_lo, s78, v178
	s_delay_alu instid0(VALU_DEP_4) | instskip(NEXT) | instid1(VALU_DEP_4)
	v_pk_add_f32 v[36:37], v[36:37], v[38:39]
	v_pk_add_f32 v[20:21], v[20:21], v[22:23]
	s_delay_alu instid0(VALU_DEP_4) | instskip(SKIP_1) | instid1(VALU_DEP_3)
	v_pk_add_f32 v[52:53], v[52:53], v[54:55]
	s_or_b32 s71, s71, vcc_lo
	v_pk_add_f32 v[32:33], v[36:37], v[32:33]
	s_delay_alu instid0(VALU_DEP_3) | instskip(NEXT) | instid1(VALU_DEP_3)
	v_pk_add_f32 v[16:17], v[20:21], v[16:17]
	v_pk_add_f32 v[38:39], v[52:53], v[48:49]
	s_and_b32 s78, s19, s71
	s_delay_alu instid0(VALU_DEP_3) | instskip(NEXT) | instid1(VALU_DEP_3)
	v_pk_add_f32 v[32:33], v[32:33], v[34:35]
	v_pk_add_f32 v[16:17], v[16:17], v[18:19]
	s_wait_loadcnt_dscnt 0x1
	v_pk_mul_f32 v[46:47], v[170:171], v[44:45] op_sel:[1,0]
	v_pk_mul_f32 v[216:217], v[168:169], v[44:45] op_sel:[1,0]
	;; [unrolled: 1-line block ×3, first 2 shown]
	v_pk_mul_f32 v[220:221], v[176:177], v[44:45] op_sel_hi:[0,1]
	s_delay_alu instid0(VALU_DEP_4)
	v_pk_fma_f32 v[222:223], v[170:171], v[44:45], v[46:47] op_sel:[0,0,1] op_sel_hi:[1,1,0]
	v_pk_fma_f32 v[46:47], v[170:171], v[44:45], v[46:47] op_sel:[0,0,1] op_sel_hi:[0,1,0] neg_lo:[0,0,1] neg_hi:[0,0,1]
	v_pk_fma_f32 v[224:225], v[168:169], v[44:45], v[216:217] op_sel:[0,0,1] op_sel_hi:[1,1,0]
	v_pk_fma_f32 v[216:217], v[168:169], v[44:45], v[216:217] op_sel:[0,0,1] op_sel_hi:[0,1,0] neg_lo:[0,0,1] neg_hi:[0,0,1]
	;; [unrolled: 2-line block ×3, first 2 shown]
	v_pk_fma_f32 v[228:229], v[174:175], v[44:45], v[220:221] op_sel:[0,0,1] op_sel_hi:[0,1,0] neg_lo:[0,0,1] neg_hi:[0,0,1]
	v_pk_fma_f32 v[220:221], v[174:175], v[44:45], v[220:221] op_sel:[0,0,1] op_sel_hi:[1,1,0]
	v_dual_mov_b32 v223, v47 :: v_dual_mov_b32 v225, v217
	s_delay_alu instid0(VALU_DEP_3)
	v_dual_mov_b32 v227, v219 :: v_dual_mov_b32 v221, v229
	ds_load_b128 v[44:47], v201 offset:400
	ds_store_2addr_b64 v191, v[222:223], v[224:225] offset1:67
	ds_store_2addr_b64 v191, v[226:227], v[220:221] offset0:134 offset1:201
	s_wait_dscnt 0x0
	s_barrier_signal -1
	s_barrier_wait -1
	ds_load_2addr_b64 v[216:219], v182 offset1:1
	ds_load_2addr_b64 v[220:223], v182 offset0:2 offset1:3
	s_wait_dscnt 0x0
	s_barrier_signal -1
	s_barrier_wait -1
	v_pk_add_f32 v[216:217], v[216:217], 0 op_sel_hi:[1,0]
	s_delay_alu instid0(VALU_DEP_1) | instskip(NEXT) | instid1(VALU_DEP_1)
	v_pk_add_f32 v[22:23], v[216:217], v[218:219]
	v_pk_add_f32 v[20:21], v[22:23], v[220:221]
	;; [unrolled: 1-line block ×3, first 2 shown]
	s_delay_alu instid0(VALU_DEP_2)
	v_pk_add_f32 v[18:19], v[20:21], v[222:223]
	ds_store_2addr_b64 v195, v[16:17], v[32:33] offset1:16
	ds_store_2addr_b64 v195, v[22:23], v[18:19] offset0:32 offset1:48
	s_wait_dscnt 0x0
	s_barrier_signal -1
	s_barrier_wait -1
	s_and_saveexec_b32 s71, s78
	s_cbranch_execz .LBB0_157
; %bb.156:                              ;   in Loop: Header=BB0_107 Depth=2
	ds_load_b64 v[36:37], v183
	ds_load_2addr_b64 v[16:19], v183 offset0:1 offset1:2
	ds_load_2addr_b64 v[20:23], v183 offset0:3 offset1:4
	;; [unrolled: 1-line block ×3, first 2 shown]
	s_wait_dscnt 0x2
	v_dual_add_f32 v16, v16, v36 :: v_dual_add_f32 v17, v17, v37
	s_delay_alu instid0(VALU_DEP_1) | instskip(SKIP_3) | instid1(VALU_DEP_1)
	v_dual_add_f32 v36, v18, v16 :: v_dual_add_f32 v37, v19, v17
	ds_load_2addr_b64 v[16:19], v183 offset0:7 offset1:8
	s_wait_dscnt 0x2
	v_dual_add_f32 v20, v36, v20 :: v_dual_add_f32 v21, v37, v21
	v_dual_add_f32 v36, v20, v22 :: v_dual_add_f32 v37, v21, v23
	ds_load_2addr_b64 v[20:23], v183 offset0:9 offset1:10
	s_wait_dscnt 0x2
	v_pk_add_f32 v[32:33], v[36:37], v[32:33]
	s_delay_alu instid0(VALU_DEP_1) | instskip(SKIP_3) | instid1(VALU_DEP_1)
	v_pk_add_f32 v[36:37], v[32:33], v[34:35]
	ds_load_2addr_b64 v[32:35], v183 offset0:11 offset1:12
	s_wait_dscnt 0x2
	v_pk_add_f32 v[16:17], v[36:37], v[16:17]
	v_pk_add_f32 v[16:17], v[16:17], v[18:19]
	s_wait_dscnt 0x1
	s_delay_alu instid0(VALU_DEP_1)
	v_pk_add_f32 v[20:21], v[16:17], v[20:21]
	ds_load_2addr_b64 v[16:19], v183 offset0:13 offset1:14
	v_pk_add_f32 v[20:21], v[20:21], v[22:23]
	ds_load_b64 v[22:23], v184
	s_wait_dscnt 0x2
	v_pk_add_f32 v[20:21], v[20:21], v[32:33]
	s_delay_alu instid0(VALU_DEP_1) | instskip(SKIP_1) | instid1(VALU_DEP_1)
	v_pk_add_f32 v[20:21], v[20:21], v[34:35]
	s_wait_dscnt 0x1
	v_pk_add_f32 v[16:17], v[20:21], v[16:17]
	s_delay_alu instid0(VALU_DEP_1) | instskip(SKIP_2) | instid1(VALU_DEP_2)
	v_pk_add_f32 v[16:17], v[16:17], v[18:19]
	v_add_nc_u32_e32 v18, s70, v178
	s_wait_dscnt 0x0
	v_pk_add_f32 v[16:17], v[16:17], v[22:23]
	global_store_b64 v18, v[16:17], s[22:23] scale_offset
.LBB0_157:                              ;   in Loop: Header=BB0_107 Depth=2
	s_wait_xcnt 0x0
	s_or_b32 exec_lo, exec_lo, s71
	v_dual_mov_b32 v16, v142 :: v_dual_mov_b32 v17, v142
	v_dual_mov_b32 v142, v143 :: v_dual_mov_b32 v18, v140
	;; [unrolled: 1-line block ×4, first 2 shown]
	s_delay_alu instid0(VALU_DEP_3) | instskip(SKIP_1) | instid1(VALU_DEP_4)
	v_pk_mul_f32 v[20:21], v[142:143], v[0:1]
	v_dual_mov_b32 v144, v145 :: v_dual_mov_b32 v147, v146
	v_pk_mul_f32 v[34:35], v[140:141], v[2:3]
	v_dual_mov_b32 v175, v174 :: v_dual_mov_b32 v177, v176
	s_delay_alu instid0(VALU_DEP_4)
	v_pk_fma_f32 v[32:33], v[16:17], v[0:1], v[20:21] op_sel:[0,0,1] op_sel_hi:[1,1,0]
	v_pk_fma_f32 v[0:1], v[16:17], v[0:1], v[20:21] op_sel:[0,0,1] op_sel_hi:[1,1,0] neg_lo:[0,0,1] neg_hi:[0,0,1]
	v_mov_b32_e32 v149, v148
	v_pk_fma_f32 v[16:17], v[18:19], v[2:3], v[34:35] op_sel:[0,0,1] op_sel_hi:[1,1,0]
	v_pk_mul_f32 v[20:21], v[144:145], v[4:5]
	v_mov_b32_e32 v1, v33
	v_pk_fma_f32 v[2:3], v[18:19], v[2:3], v[34:35] op_sel:[0,0,1] op_sel_hi:[1,1,0] neg_lo:[0,0,1] neg_hi:[0,0,1]
	v_pk_mul_f32 v[32:33], v[148:149], v[6:7]
	v_mov_b32_e32 v3, v17
	v_pk_fma_f32 v[16:17], v[22:23], v[4:5], v[20:21] op_sel:[0,0,1] op_sel_hi:[1,1,0]
	v_pk_add_f32 v[0:1], v[104:105], v[0:1]
	v_pk_fma_f32 v[4:5], v[22:23], v[4:5], v[20:21] op_sel:[0,0,1] op_sel_hi:[1,1,0] neg_lo:[0,0,1] neg_hi:[0,0,1]
	v_pk_fma_f32 v[18:19], v[146:147], v[6:7], v[32:33] op_sel:[0,0,1] op_sel_hi:[1,1,0]
	s_delay_alu instid0(VALU_DEP_4) | instskip(NEXT) | instid1(VALU_DEP_4)
	v_dual_mov_b32 v16, v15 :: v_dual_mov_b32 v5, v17
	v_pk_add_f32 v[0:1], v[0:1], v[2:3]
	v_pk_fma_f32 v[2:3], v[146:147], v[6:7], v[32:33] op_sel:[0,0,1] op_sel_hi:[1,1,0] neg_lo:[0,0,1] neg_hi:[0,0,1]
	v_pk_mul_f32 v[6:7], v[152:153], v[12:13] op_sel:[1,1] op_sel_hi:[0,1]
	v_mov_b32_e32 v3, v19
	v_pk_mul_f32 v[16:17], v[150:151], v[16:17] op_sel:[1,0] op_sel_hi:[0,0]
	v_pk_add_f32 v[0:1], v[0:1], v[4:5]
	v_add_nc_u64_e32 v[106:107], s[44:45], v[106:107]
	v_pk_fma_f32 v[4:5], v[152:153], v[12:13], v[6:7] op_sel_hi:[1,0,1]
	v_dual_mov_b32 v157, v58 :: v_dual_mov_b32 v4, v160
	s_delay_alu instid0(VALU_DEP_4) | instskip(SKIP_1) | instid1(VALU_DEP_4)
	v_pk_add_f32 v[0:1], v[0:1], v[2:3]
	v_pk_fma_f32 v[2:3], v[152:153], v[12:13], v[6:7] neg_lo:[0,0,1] neg_hi:[0,0,1]
	v_mov_b32_e32 v3, v5
	v_pk_fma_f32 v[6:7], v[150:151], v[14:15], v[16:17] op_sel_hi:[1,0,1]
	v_pk_fma_f32 v[12:13], v[150:151], v[14:15], v[16:17] neg_lo:[0,0,1] neg_hi:[0,0,1]
	v_dual_mov_b32 v5, v160 :: v_dual_mov_b32 v160, v161
	s_delay_alu instid0(VALU_DEP_4) | instskip(SKIP_3) | instid1(VALU_DEP_3)
	v_pk_add_f32 v[0:1], v[0:1], v[2:3]
	v_pk_mul_f32 v[2:3], v[154:155], v[8:9] op_sel:[1,1] op_sel_hi:[0,1]
	v_dual_mov_b32 v13, v7 :: v_dual_mov_b32 v6, v11
	v_dual_mov_b32 v14, v158 :: v_dual_mov_b32 v165, v164
	v_pk_fma_f32 v[16:17], v[154:155], v[8:9], v[2:3] op_sel_hi:[1,0,1]
	v_pk_fma_f32 v[2:3], v[154:155], v[8:9], v[2:3] neg_lo:[0,0,1] neg_hi:[0,0,1]
	v_mov_b32_e32 v15, v158
	v_pk_add_f32 v[0:1], v[0:1], v[12:13]
	v_pk_mul_f32 v[6:7], v[156:157], v[6:7] op_sel:[1,0] op_sel_hi:[0,0]
	v_dual_mov_b32 v3, v17 :: v_dual_mov_b32 v158, v159
	v_mov_b32_e32 v8, v162
	v_add_nc_u64_e32 v[108:109], s[44:45], v[108:109]
	s_delay_alu instid0(VALU_DEP_4) | instskip(NEXT) | instid1(VALU_DEP_4)
	v_pk_fma_f32 v[12:13], v[156:157], v[10:11], v[6:7] op_sel_hi:[1,0,1]
	v_pk_add_f32 v[0:1], v[0:1], v[2:3]
	v_pk_mul_f32 v[2:3], v[160:161], v[28:29]
	v_pk_fma_f32 v[6:7], v[156:157], v[10:11], v[6:7] neg_lo:[0,0,1] neg_hi:[0,0,1]
	s_delay_alu instid0(VALU_DEP_4) | instskip(SKIP_1) | instid1(VALU_DEP_4)
	v_dual_mov_b32 v9, v162 :: v_dual_mov_b32 v7, v13
	v_mov_b32_e32 v162, v163
	v_pk_fma_f32 v[10:11], v[4:5], v[28:29], v[2:3] op_sel:[0,0,1] op_sel_hi:[1,1,0]
	v_pk_fma_f32 v[2:3], v[4:5], v[28:29], v[2:3] op_sel:[0,0,1] op_sel_hi:[1,1,0] neg_lo:[0,0,1] neg_hi:[0,0,1]
	v_mov_b32_e32 v167, v166
	v_pk_add_f32 v[0:1], v[0:1], v[6:7]
	v_pk_mul_f32 v[6:7], v[158:159], v[30:31]
	v_dual_mov_b32 v3, v11 :: v_dual_mov_b32 v4, v170
	v_mov_b32_e32 v5, v170
	v_add_nc_u64_e32 v[110:111], s[44:45], v[110:111]
	s_delay_alu instid0(VALU_DEP_4) | instskip(NEXT) | instid1(VALU_DEP_4)
	v_pk_fma_f32 v[10:11], v[14:15], v[30:31], v[6:7] op_sel:[0,0,1] op_sel_hi:[1,1,0]
	v_pk_add_f32 v[0:1], v[0:1], v[2:3]
	v_pk_mul_f32 v[2:3], v[162:163], v[24:25]
	v_pk_fma_f32 v[6:7], v[14:15], v[30:31], v[6:7] op_sel:[0,0,1] op_sel_hi:[1,1,0] neg_lo:[0,0,1] neg_hi:[0,0,1]
	s_delay_alu instid0(VALU_DEP_4) | instskip(SKIP_1) | instid1(VALU_DEP_4)
	v_dual_mov_b32 v170, v171 :: v_dual_mov_b32 v7, v11
	v_dual_mov_b32 v10, v168 :: v_dual_mov_b32 v11, v168
	v_pk_fma_f32 v[12:13], v[8:9], v[24:25], v[2:3] op_sel:[0,0,1] op_sel_hi:[1,1,0]
	v_pk_fma_f32 v[2:3], v[8:9], v[24:25], v[2:3] op_sel:[0,0,1] op_sel_hi:[1,1,0] neg_lo:[0,0,1] neg_hi:[0,0,1]
	v_mov_b32_e32 v168, v169
	v_pk_add_f32 v[0:1], v[0:1], v[6:7]
	v_pk_mul_f32 v[6:7], v[166:167], v[26:27]
	v_dual_mov_b32 v3, v13 :: v_dual_mov_b32 v8, v172
	v_mov_b32_e32 v9, v172
	v_add_nc_u64_e32 v[112:113], s[44:45], v[112:113]
	s_delay_alu instid0(VALU_DEP_4) | instskip(NEXT) | instid1(VALU_DEP_4)
	v_pk_fma_f32 v[12:13], v[164:165], v[26:27], v[6:7] op_sel:[0,0,1] op_sel_hi:[1,1,0]
	v_pk_add_f32 v[0:1], v[0:1], v[2:3]
	v_pk_fma_f32 v[2:3], v[164:165], v[26:27], v[6:7] op_sel:[0,0,1] op_sel_hi:[1,1,0] neg_lo:[0,0,1] neg_hi:[0,0,1]
	v_pk_mul_f32 v[6:7], v[170:171], v[40:41]
	s_delay_alu instid0(VALU_DEP_4) | instskip(SKIP_2) | instid1(VALU_DEP_4)
	v_dual_mov_b32 v172, v173 :: v_dual_mov_b32 v3, v13
	v_pk_mul_f32 v[12:13], v[168:169], v[42:43]
	v_add_nc_u64_e32 v[114:115], s[44:45], v[114:115]
	v_pk_fma_f32 v[14:15], v[4:5], v[40:41], v[6:7] op_sel:[0,0,1] op_sel_hi:[1,1,0]
	v_pk_fma_f32 v[4:5], v[4:5], v[40:41], v[6:7] op_sel:[0,0,1] op_sel_hi:[1,1,0] neg_lo:[0,0,1] neg_hi:[0,0,1]
	v_pk_add_f32 v[0:1], v[0:1], v[2:3]
	v_pk_fma_f32 v[2:3], v[10:11], v[42:43], v[12:13] op_sel:[0,0,1] op_sel_hi:[1,1,0]
	v_pk_mul_f32 v[16:17], v[172:173], v[44:45]
	v_mov_b32_e32 v5, v15
	v_pk_fma_f32 v[6:7], v[10:11], v[42:43], v[12:13] op_sel:[0,0,1] op_sel_hi:[1,1,0] neg_lo:[0,0,1] neg_hi:[0,0,1]
	v_pk_mul_f32 v[10:11], v[176:177], v[46:47]
	v_mov_b32_e32 v7, v3
	v_pk_fma_f32 v[2:3], v[8:9], v[44:45], v[16:17] op_sel:[0,0,1] op_sel_hi:[1,1,0]
	v_pk_add_f32 v[0:1], v[0:1], v[4:5]
	v_pk_fma_f32 v[4:5], v[8:9], v[44:45], v[16:17] op_sel:[0,0,1] op_sel_hi:[1,1,0] neg_lo:[0,0,1] neg_hi:[0,0,1]
	v_add_nc_u64_e32 v[116:117], s[44:45], v[116:117]
	v_add_nc_u64_e32 v[118:119], s[44:45], v[118:119]
	v_mov_b32_e32 v5, v3
	v_pk_fma_f32 v[2:3], v[174:175], v[46:47], v[10:11] op_sel:[0,0,1] op_sel_hi:[1,1,0]
	v_pk_add_f32 v[0:1], v[0:1], v[6:7]
	v_pk_fma_f32 v[6:7], v[174:175], v[46:47], v[10:11] op_sel:[0,0,1] op_sel_hi:[1,1,0] neg_lo:[0,0,1] neg_hi:[0,0,1]
	v_add_nc_u64_e32 v[120:121], s[44:45], v[120:121]
	v_add_nc_u64_e32 v[122:123], s[44:45], v[122:123]
	v_mov_b32_e32 v7, v3
	v_pk_add_f32 v[0:1], v[0:1], v[4:5]
	v_add_nc_u64_e32 v[124:125], s[44:45], v[124:125]
	v_add_nc_u64_e32 v[126:127], s[44:45], v[126:127]
	;; [unrolled: 1-line block ×7, first 2 shown]
	v_pk_add_f32 v[104:105], v[0:1], v[6:7]
	s_add_co_i32 s71, s77, 1
	s_add_co_i32 s77, s77, 2
	;; [unrolled: 1-line block ×3, first 2 shown]
	s_cmp_ge_u32 s77, s52
	s_wait_storecnt 0x0
	s_barrier_signal -1
	s_barrier_wait -1
	s_cbranch_scc1 .LBB0_159
; %bb.158:                              ;   in Loop: Header=BB0_107 Depth=2
	s_mov_b32 s77, s71
	s_delay_alu instid0(SALU_CYCLE_1)
	s_cmp_eq_u32 s74, s77
	s_cselect_b32 s78, s53, 0
	s_and_saveexec_b32 s79, s0
	s_cbranch_execnz .LBB0_103
	s_branch .LBB0_107
.LBB0_159:                              ;   in Loop: Header=BB0_4 Depth=1
	ds_store_b64 v192, v[104:105]
	s_wait_dscnt 0x0
	s_barrier_signal -1
	s_barrier_wait -1
	s_and_saveexec_b32 s70, s75
	s_cbranch_execz .LBB0_2
; %bb.160:                              ;   in Loop: Header=BB0_4 Depth=1
	ds_load_2addr_b64 v[0:3], v60 offset1:67
	ds_load_2addr_b64 v[4:7], v60 offset0:134 offset1:201
	s_wait_dscnt 0x1
	v_pk_add_f32 v[0:1], v[2:3], v[0:1]
	v_lshl_add_u64 v[2:3], v[62:63], 3, s[22:23]
	s_wait_dscnt 0x0
	s_delay_alu instid0(VALU_DEP_2) | instskip(NEXT) | instid1(VALU_DEP_1)
	v_pk_add_f32 v[0:1], v[4:5], v[0:1]
	v_pk_add_f32 v[0:1], v[0:1], v[6:7]
	global_store_b64 v[2:3], v[0:1], off
	s_branch .LBB0_2
.LBB0_161:                              ;   in Loop: Header=BB0_4 Depth=1
	ds_load_b64 v[4:5], v189
	s_mov_b32 s22, exec_lo
	s_wait_dscnt 0x0
	v_xor_b32_e32 v2, 0x80000000, v5
	ds_store_b32 v197, v4
	s_or_saveexec_b32 s23, s23
	v_mov_b32_e32 v3, v197
	s_xor_b32 exec_lo, exec_lo, s23
	s_cbranch_execz .LBB0_33
.LBB0_162:                              ;   in Loop: Header=BB0_4 Depth=1
	v_dual_mov_b32 v2, 0 :: v_dual_mov_b32 v3, v179
	s_and_not1_b32 s22, s22, exec_lo
	s_and_b32 s70, s15, exec_lo
	s_delay_alu instid0(SALU_CYCLE_1)
	s_or_b32 s22, s22, s70
	s_or_b32 exec_lo, exec_lo, s23
	s_and_saveexec_b32 s23, s22
	s_cbranch_execnz .LBB0_34
	s_branch .LBB0_35
.LBB0_163:                              ;   in Loop: Header=BB0_4 Depth=1
	ds_load_b64 v[4:5], v189
	s_mov_b32 s22, exec_lo
	s_wait_dscnt 0x0
	v_xor_b32_e32 v2, 0x80000000, v5
	ds_store_b32 v197, v4
	s_or_saveexec_b32 s23, s23
	v_mov_b32_e32 v3, v197
	s_xor_b32 exec_lo, exec_lo, s23
	s_cbranch_execz .LBB0_69
.LBB0_164:                              ;   in Loop: Header=BB0_4 Depth=1
	v_dual_mov_b32 v2, 0 :: v_dual_mov_b32 v3, v179
	s_and_not1_b32 s22, s22, exec_lo
	s_and_b32 s70, s15, exec_lo
	s_delay_alu instid0(SALU_CYCLE_1)
	s_or_b32 s22, s22, s70
	s_or_b32 exec_lo, exec_lo, s23
	s_and_saveexec_b32 s23, s22
	s_cbranch_execnz .LBB0_70
	s_branch .LBB0_71
.LBB0_165:
	s_sendmsg sendmsg(MSG_DEALLOC_VGPRS)
	s_endpgm
	.section	.rodata,"a",@progbits
	.p2align	6, 0x0
	.amdhsa_kernel _ZL26rocblas_hemvn_kernel_upperILb1ELi64ELi4ELi33ELi32ELi16ElPK19rocblas_complex_numIfES3_PS1_EviT6_lT7_lT5_lS6_lS7_lS5_lT8_i
		.amdhsa_group_segment_fixed_size 9600
		.amdhsa_private_segment_fixed_size 0
		.amdhsa_kernarg_size 376
		.amdhsa_user_sgpr_count 2
		.amdhsa_user_sgpr_dispatch_ptr 0
		.amdhsa_user_sgpr_queue_ptr 0
		.amdhsa_user_sgpr_kernarg_segment_ptr 1
		.amdhsa_user_sgpr_dispatch_id 0
		.amdhsa_user_sgpr_kernarg_preload_length 0
		.amdhsa_user_sgpr_kernarg_preload_offset 0
		.amdhsa_user_sgpr_private_segment_size 0
		.amdhsa_wavefront_size32 1
		.amdhsa_uses_dynamic_stack 0
		.amdhsa_enable_private_segment 0
		.amdhsa_system_sgpr_workgroup_id_x 1
		.amdhsa_system_sgpr_workgroup_id_y 0
		.amdhsa_system_sgpr_workgroup_id_z 1
		.amdhsa_system_sgpr_workgroup_info 0
		.amdhsa_system_vgpr_workitem_id 1
		.amdhsa_next_free_vgpr 230
		.amdhsa_next_free_sgpr 82
		.amdhsa_named_barrier_count 0
		.amdhsa_reserve_vcc 1
		.amdhsa_float_round_mode_32 0
		.amdhsa_float_round_mode_16_64 0
		.amdhsa_float_denorm_mode_32 3
		.amdhsa_float_denorm_mode_16_64 3
		.amdhsa_fp16_overflow 0
		.amdhsa_memory_ordered 1
		.amdhsa_forward_progress 1
		.amdhsa_inst_pref_size 73
		.amdhsa_round_robin_scheduling 0
		.amdhsa_exception_fp_ieee_invalid_op 0
		.amdhsa_exception_fp_denorm_src 0
		.amdhsa_exception_fp_ieee_div_zero 0
		.amdhsa_exception_fp_ieee_overflow 0
		.amdhsa_exception_fp_ieee_underflow 0
		.amdhsa_exception_fp_ieee_inexact 0
		.amdhsa_exception_int_div_zero 0
	.end_amdhsa_kernel
	.section	.text._ZL26rocblas_hemvn_kernel_upperILb1ELi64ELi4ELi33ELi32ELi16ElPK19rocblas_complex_numIfES3_PS1_EviT6_lT7_lT5_lS6_lS7_lS5_lT8_i,"axG",@progbits,_ZL26rocblas_hemvn_kernel_upperILb1ELi64ELi4ELi33ELi32ELi16ElPK19rocblas_complex_numIfES3_PS1_EviT6_lT7_lT5_lS6_lS7_lS5_lT8_i,comdat
.Lfunc_end0:
	.size	_ZL26rocblas_hemvn_kernel_upperILb1ELi64ELi4ELi33ELi32ELi16ElPK19rocblas_complex_numIfES3_PS1_EviT6_lT7_lT5_lS6_lS7_lS5_lT8_i, .Lfunc_end0-_ZL26rocblas_hemvn_kernel_upperILb1ELi64ELi4ELi33ELi32ELi16ElPK19rocblas_complex_numIfES3_PS1_EviT6_lT7_lT5_lS6_lS7_lS5_lT8_i
                                        ; -- End function
	.set _ZL26rocblas_hemvn_kernel_upperILb1ELi64ELi4ELi33ELi32ELi16ElPK19rocblas_complex_numIfES3_PS1_EviT6_lT7_lT5_lS6_lS7_lS5_lT8_i.num_vgpr, 230
	.set _ZL26rocblas_hemvn_kernel_upperILb1ELi64ELi4ELi33ELi32ELi16ElPK19rocblas_complex_numIfES3_PS1_EviT6_lT7_lT5_lS6_lS7_lS5_lT8_i.num_agpr, 0
	.set _ZL26rocblas_hemvn_kernel_upperILb1ELi64ELi4ELi33ELi32ELi16ElPK19rocblas_complex_numIfES3_PS1_EviT6_lT7_lT5_lS6_lS7_lS5_lT8_i.numbered_sgpr, 82
	.set _ZL26rocblas_hemvn_kernel_upperILb1ELi64ELi4ELi33ELi32ELi16ElPK19rocblas_complex_numIfES3_PS1_EviT6_lT7_lT5_lS6_lS7_lS5_lT8_i.num_named_barrier, 0
	.set _ZL26rocblas_hemvn_kernel_upperILb1ELi64ELi4ELi33ELi32ELi16ElPK19rocblas_complex_numIfES3_PS1_EviT6_lT7_lT5_lS6_lS7_lS5_lT8_i.private_seg_size, 0
	.set _ZL26rocblas_hemvn_kernel_upperILb1ELi64ELi4ELi33ELi32ELi16ElPK19rocblas_complex_numIfES3_PS1_EviT6_lT7_lT5_lS6_lS7_lS5_lT8_i.uses_vcc, 1
	.set _ZL26rocblas_hemvn_kernel_upperILb1ELi64ELi4ELi33ELi32ELi16ElPK19rocblas_complex_numIfES3_PS1_EviT6_lT7_lT5_lS6_lS7_lS5_lT8_i.uses_flat_scratch, 0
	.set _ZL26rocblas_hemvn_kernel_upperILb1ELi64ELi4ELi33ELi32ELi16ElPK19rocblas_complex_numIfES3_PS1_EviT6_lT7_lT5_lS6_lS7_lS5_lT8_i.has_dyn_sized_stack, 0
	.set _ZL26rocblas_hemvn_kernel_upperILb1ELi64ELi4ELi33ELi32ELi16ElPK19rocblas_complex_numIfES3_PS1_EviT6_lT7_lT5_lS6_lS7_lS5_lT8_i.has_recursion, 0
	.set _ZL26rocblas_hemvn_kernel_upperILb1ELi64ELi4ELi33ELi32ELi16ElPK19rocblas_complex_numIfES3_PS1_EviT6_lT7_lT5_lS6_lS7_lS5_lT8_i.has_indirect_call, 0
	.section	.AMDGPU.csdata,"",@progbits
; Kernel info:
; codeLenInByte = 9228
; TotalNumSgprs: 84
; NumVgprs: 230
; ScratchSize: 0
; MemoryBound: 1
; FloatMode: 240
; IeeeMode: 1
; LDSByteSize: 9600 bytes/workgroup (compile time only)
; SGPRBlocks: 0
; VGPRBlocks: 14
; NumSGPRsForWavesPerEU: 84
; NumVGPRsForWavesPerEU: 230
; NamedBarCnt: 0
; Occupancy: 4
; WaveLimiterHint : 0
; COMPUTE_PGM_RSRC2:SCRATCH_EN: 0
; COMPUTE_PGM_RSRC2:USER_SGPR: 2
; COMPUTE_PGM_RSRC2:TRAP_HANDLER: 0
; COMPUTE_PGM_RSRC2:TGID_X_EN: 1
; COMPUTE_PGM_RSRC2:TGID_Y_EN: 0
; COMPUTE_PGM_RSRC2:TGID_Z_EN: 1
; COMPUTE_PGM_RSRC2:TIDIG_COMP_CNT: 1
	.section	.text._ZL36rocblas_hemvn_kernel_upper_block_sumILi64ElPK19rocblas_complex_numIfEPS1_S1_EviT1_lS5_lT2_lT0_lPT3_i,"axG",@progbits,_ZL36rocblas_hemvn_kernel_upper_block_sumILi64ElPK19rocblas_complex_numIfEPS1_S1_EviT1_lS5_lT2_lT0_lPT3_i,comdat
	.globl	_ZL36rocblas_hemvn_kernel_upper_block_sumILi64ElPK19rocblas_complex_numIfEPS1_S1_EviT1_lS5_lT2_lT0_lPT3_i ; -- Begin function _ZL36rocblas_hemvn_kernel_upper_block_sumILi64ElPK19rocblas_complex_numIfEPS1_S1_EviT1_lS5_lT2_lT0_lPT3_i
	.p2align	8
	.type	_ZL36rocblas_hemvn_kernel_upper_block_sumILi64ElPK19rocblas_complex_numIfEPS1_S1_EviT1_lS5_lT2_lT0_lPT3_i,@function
_ZL36rocblas_hemvn_kernel_upper_block_sumILi64ElPK19rocblas_complex_numIfEPS1_S1_EviT1_lS5_lT2_lT0_lPT3_i: ; @_ZL36rocblas_hemvn_kernel_upper_block_sumILi64ElPK19rocblas_complex_numIfEPS1_S1_EviT1_lS5_lT2_lT0_lPT3_i
; %bb.0:
	s_load_b32 s3, s[0:1], 0x50
	s_bfe_u32 s2, ttmp6, 0x40014
	s_lshr_b32 s4, ttmp7, 16
	s_add_co_i32 s2, s2, 1
	s_bfe_u32 s6, ttmp6, 0x40008
	s_mul_i32 s5, s4, s2
	s_getreg_b32 s2, hwreg(HW_REG_IB_STS2, 6, 4)
	s_add_co_i32 s6, s6, s5
	s_cmp_eq_u32 s2, 0
	s_mov_b32 s21, 0
	s_cselect_b32 s20, s4, s6
	s_wait_kmcnt 0x0
	s_cmp_ge_u32 s20, s3
	s_cbranch_scc1 .LBB1_21
; %bb.1:
	s_load_b256 s[4:11], s[0:1], 0x30
	s_bfe_u32 s12, ttmp6, 0x4000c
	s_and_b32 s13, ttmp6, 15
	s_add_co_i32 s12, s12, 1
	s_delay_alu instid0(SALU_CYCLE_1) | instskip(NEXT) | instid1(SALU_CYCLE_1)
	s_mul_i32 s12, ttmp9, s12
	s_add_co_i32 s13, s13, s12
	s_wait_kmcnt 0x0
	s_lshl_b64 s[4:5], s[4:5], 3
	s_cmp_eq_u32 s2, 0
	s_cselect_b32 s27, ttmp9, s13
	s_delay_alu instid0(SALU_CYCLE_1) | instskip(NEXT) | instid1(VALU_DEP_1)
	v_lshl_or_b32 v2, s27, 6, v0
	v_ashrrev_i32_e32 v3, 31, v2
	s_delay_alu instid0(VALU_DEP_1)
	v_mul_u64_e32 v[0:1], s[6:7], v[2:3]
	s_clause 0x2
	s_load_b64 s[6:7], s[0:1], 0x28
	s_load_b32 s22, s[0:1], 0x0
	s_load_b256 s[12:19], s[0:1], 0x8
	s_wait_xcnt 0x0
	s_add_nc_u64 s[0:1], s[0:1], 0x58
	s_wait_kmcnt 0x0
	s_add_nc_u64 s[4:5], s[6:7], s[4:5]
	v_cmp_gt_i32_e64 s2, s22, v2
	s_ashr_i32 s23, s22, 31
	v_lshl_add_u64 v[2:3], v[2:3], 3, s[10:11]
	s_cmp_gt_i32 s27, -1
	s_cselect_b32 s26, -1, 0
	s_add_co_i32 s27, s27, 1
	s_lshl_b64 s[6:7], s[22:23], 3
	s_branch .LBB1_5
.LBB1_2:                                ;   in Loop: Header=BB1_5 Depth=1
	global_store_b64 v[6:7], v[8:9], off
.LBB1_3:                                ;   in Loop: Header=BB1_5 Depth=1
	s_wait_xcnt 0x0
	s_or_b32 exec_lo, exec_lo, s28
.LBB1_4:                                ;   in Loop: Header=BB1_5 Depth=1
	s_add_co_i32 s20, s20, 0x10000
	s_delay_alu instid0(SALU_CYCLE_1)
	s_cmp_lt_u32 s20, s3
	s_cbranch_scc0 .LBB1_21
.LBB1_5:                                ; =>This Loop Header: Depth=1
                                        ;     Child Loop BB1_16 Depth 2
	s_mul_u64 s[10:11], s[14:15], s[20:21]
	s_delay_alu instid0(SALU_CYCLE_1) | instskip(NEXT) | instid1(SALU_CYCLE_1)
	s_lshl_b64 s[10:11], s[10:11], 3
	s_add_nc_u64 s[22:23], s[12:13], s[10:11]
	s_load_b64 s[10:11], s[22:23], 0x0
	s_wait_xcnt 0x0
	s_mul_u64 s[22:23], s[18:19], s[20:21]
	s_delay_alu instid0(SALU_CYCLE_1) | instskip(NEXT) | instid1(SALU_CYCLE_1)
	s_lshl_b64 s[22:23], s[22:23], 3
	s_add_nc_u64 s[24:25], s[16:17], s[22:23]
	s_load_b64 s[22:23], s[24:25], 0x0
	s_wait_kmcnt 0x0
	s_wait_xcnt 0x0
	s_or_b32 s24, s10, s11
	s_delay_alu instid0(SALU_CYCLE_1) | instskip(NEXT) | instid1(SALU_CYCLE_1)
	s_bitset0_b32 s24, 31
	s_cmp_eq_u32 s24, 0
	s_cselect_b32 s28, -1, 0
	s_cmp_eq_f32 s22, 1.0
	s_cselect_b32 s24, -1, 0
	s_cmp_eq_f32 s23, 0
	s_cselect_b32 s25, -1, 0
	s_delay_alu instid0(SALU_CYCLE_1) | instskip(NEXT) | instid1(SALU_CYCLE_1)
	s_and_b32 s24, s24, s25
	s_and_b32 s24, s28, s24
	s_delay_alu instid0(SALU_CYCLE_1)
	s_and_b32 vcc_lo, exec_lo, s24
	s_cbranch_vccnz .LBB1_4
; %bb.6:                                ;   in Loop: Header=BB1_5 Depth=1
	s_mul_u64 s[24:25], s[8:9], s[20:21]
	s_and_not1_b32 vcc_lo, exec_lo, s28
	s_lshl_b64 s[24:25], s[24:25], 3
	s_mov_b32 s28, -1
	s_add_nc_u64 s[24:25], s[4:5], s[24:25]
	s_cbranch_vccnz .LBB1_12
; %bb.7:                                ;   in Loop: Header=BB1_5 Depth=1
	s_and_saveexec_b32 s28, s2
	s_cbranch_execz .LBB1_11
; %bb.8:                                ;   in Loop: Header=BB1_5 Depth=1
	s_cmp_neq_f32 s22, 0
	v_dual_mov_b32 v4, 0 :: v_dual_mov_b32 v5, 0
	s_cselect_b32 s29, -1, 0
	s_cmp_neq_f32 s23, 0
	s_cselect_b32 s30, -1, 0
	s_delay_alu instid0(SALU_CYCLE_1) | instskip(NEXT) | instid1(SALU_CYCLE_1)
	s_or_b32 s29, s29, s30
	s_and_not1_b32 vcc_lo, exec_lo, s29
	s_cbranch_vccnz .LBB1_10
; %bb.9:                                ;   in Loop: Header=BB1_5 Depth=1
	v_lshl_add_u64 v[4:5], v[0:1], 3, s[24:25]
	v_mov_b64_e32 v[6:7], s[22:23]
	global_load_b64 v[4:5], v[4:5], off
	s_wait_loadcnt 0x0
	v_pk_mul_f32 v[8:9], v[4:5], v[6:7] op_sel:[1,1] op_sel_hi:[1,0]
	s_delay_alu instid0(VALU_DEP_1) | instskip(SKIP_2) | instid1(VALU_DEP_2)
	v_pk_fma_f32 v[10:11], v[4:5], v[6:7], v[8:9] op_sel_hi:[0,1,1]
	s_wait_xcnt 0x0
	v_pk_fma_f32 v[4:5], v[4:5], v[6:7], v[8:9] neg_lo:[0,0,1] neg_hi:[0,0,1]
	v_mov_b32_e32 v5, v11
.LBB1_10:                               ;   in Loop: Header=BB1_5 Depth=1
	v_lshl_add_u64 v[6:7], v[0:1], 3, s[24:25]
	global_store_b64 v[6:7], v[4:5], off
.LBB1_11:                               ;   in Loop: Header=BB1_5 Depth=1
	s_wait_xcnt 0x0
	s_or_b32 exec_lo, exec_lo, s28
	s_mov_b32 s28, 0
.LBB1_12:                               ;   in Loop: Header=BB1_5 Depth=1
	s_delay_alu instid0(SALU_CYCLE_1)
	s_and_not1_b32 vcc_lo, exec_lo, s28
	s_cbranch_vccnz .LBB1_4
; %bb.13:                               ;   in Loop: Header=BB1_5 Depth=1
	s_and_saveexec_b32 s28, s2
	s_cbranch_execz .LBB1_3
; %bb.14:                               ;   in Loop: Header=BB1_5 Depth=1
	v_mov_b32_e32 v5, 0
	s_and_not1_b32 vcc_lo, exec_lo, s26
	s_delay_alu instid0(VALU_DEP_1)
	v_mov_b32_e32 v4, v5
	s_cbranch_vccnz .LBB1_17
; %bb.15:                               ;   in Loop: Header=BB1_5 Depth=1
	s_load_b32 s30, s[0:1], 0x0
	s_mov_b32 s31, s21
	v_mov_b32_e32 v4, 0
	s_mov_b32 s29, s27
	s_delay_alu instid0(VALU_DEP_1) | instskip(SKIP_2) | instid1(SALU_CYCLE_1)
	v_mov_b32_e32 v5, v4
	s_wait_kmcnt 0x0
	s_mul_u64 s[30:31], s[6:7], s[30:31]
	v_mad_nc_u64_u32 v[6:7], s30, s20, v[2:3]
	s_delay_alu instid0(VALU_DEP_1)
	v_mad_u32 v7, s31, s20, v7
.LBB1_16:                               ;   Parent Loop BB1_5 Depth=1
                                        ; =>  This Inner Loop Header: Depth=2
	global_load_b64 v[8:9], v[6:7], off
	s_wait_xcnt 0x0
	v_add_nc_u64_e32 v[6:7], s[6:7], v[6:7]
	s_add_co_i32 s29, s29, -1
	s_delay_alu instid0(SALU_CYCLE_1)
	s_cmp_eq_u32 s29, 0
	s_wait_loadcnt 0x0
	v_pk_add_f32 v[4:5], v[4:5], v[8:9]
	s_cbranch_scc0 .LBB1_16
.LBB1_17:                               ;   in Loop: Header=BB1_5 Depth=1
	s_cmp_neq_f32 s22, 0
                                        ; implicit-def: $vgpr9
	s_cselect_b32 s29, -1, 0
	s_cmp_neq_f32 s23, 0
	s_cselect_b32 s30, -1, 0
	s_delay_alu instid0(SALU_CYCLE_1) | instskip(NEXT) | instid1(SALU_CYCLE_1)
	s_or_b32 s29, s29, s30
	s_and_not1_b32 vcc_lo, exec_lo, s29
	s_mov_b32 s29, -1
	s_cbranch_vccz .LBB1_19
; %bb.18:                               ;   in Loop: Header=BB1_5 Depth=1
	v_mov_b64_e32 v[6:7], s[10:11]
	s_mov_b32 s29, 0
	s_delay_alu instid0(VALU_DEP_1) | instskip(SKIP_1) | instid1(VALU_DEP_2)
	v_pk_mul_f32 v[10:11], v[4:5], v[6:7] op_sel:[1,1] op_sel_hi:[1,0]
	v_pk_mul_f32 v[12:13], v[4:5], v[6:7] op_sel_hi:[0,1]
	v_pk_fma_f32 v[8:9], v[4:5], v[6:7], v[10:11] op_sel_hi:[0,1,1]
	s_delay_alu instid0(VALU_DEP_2)
	v_sub_f32_e32 v8, v12, v10
.LBB1_19:                               ;   in Loop: Header=BB1_5 Depth=1
	v_lshl_add_u64 v[6:7], v[0:1], 3, s[24:25]
	s_and_not1_b32 vcc_lo, exec_lo, s29
	s_cbranch_vccnz .LBB1_2
; %bb.20:                               ;   in Loop: Header=BB1_5 Depth=1
	global_load_b64 v[8:9], v[6:7], off
	v_mov_b64_e32 v[10:11], s[22:23]
	v_mov_b64_e32 v[12:13], s[10:11]
	s_delay_alu instid0(VALU_DEP_1) | instskip(NEXT) | instid1(VALU_DEP_1)
	v_pk_mul_f32 v[16:17], v[4:5], v[12:13] op_sel:[1,1] op_sel_hi:[1,0]
	v_pk_fma_f32 v[20:21], v[4:5], v[12:13], v[16:17] op_sel_hi:[0,1,1]
	v_pk_fma_f32 v[4:5], v[4:5], v[12:13], v[16:17] neg_lo:[0,0,1] neg_hi:[0,0,1]
	s_delay_alu instid0(VALU_DEP_2) | instskip(SKIP_2) | instid1(VALU_DEP_1)
	v_mov_b32_e32 v5, v21
	s_wait_loadcnt 0x0
	v_pk_mul_f32 v[14:15], v[8:9], v[10:11] op_sel:[1,1] op_sel_hi:[1,0]
	v_pk_fma_f32 v[18:19], v[8:9], v[10:11], v[14:15] op_sel_hi:[0,1,1]
	v_pk_fma_f32 v[8:9], v[8:9], v[10:11], v[14:15] neg_lo:[0,0,1] neg_hi:[0,0,1]
	s_delay_alu instid0(VALU_DEP_2) | instskip(NEXT) | instid1(VALU_DEP_1)
	v_mov_b32_e32 v9, v19
	v_pk_add_f32 v[8:9], v[4:5], v[8:9]
	s_branch .LBB1_2
.LBB1_21:
	s_endpgm
	.section	.rodata,"a",@progbits
	.p2align	6, 0x0
	.amdhsa_kernel _ZL36rocblas_hemvn_kernel_upper_block_sumILi64ElPK19rocblas_complex_numIfEPS1_S1_EviT1_lS5_lT2_lT0_lPT3_i
		.amdhsa_group_segment_fixed_size 0
		.amdhsa_private_segment_fixed_size 0
		.amdhsa_kernarg_size 344
		.amdhsa_user_sgpr_count 2
		.amdhsa_user_sgpr_dispatch_ptr 0
		.amdhsa_user_sgpr_queue_ptr 0
		.amdhsa_user_sgpr_kernarg_segment_ptr 1
		.amdhsa_user_sgpr_dispatch_id 0
		.amdhsa_user_sgpr_kernarg_preload_length 0
		.amdhsa_user_sgpr_kernarg_preload_offset 0
		.amdhsa_user_sgpr_private_segment_size 0
		.amdhsa_wavefront_size32 1
		.amdhsa_uses_dynamic_stack 0
		.amdhsa_enable_private_segment 0
		.amdhsa_system_sgpr_workgroup_id_x 1
		.amdhsa_system_sgpr_workgroup_id_y 0
		.amdhsa_system_sgpr_workgroup_id_z 1
		.amdhsa_system_sgpr_workgroup_info 0
		.amdhsa_system_vgpr_workitem_id 0
		.amdhsa_next_free_vgpr 22
		.amdhsa_next_free_sgpr 32
		.amdhsa_named_barrier_count 0
		.amdhsa_reserve_vcc 1
		.amdhsa_float_round_mode_32 0
		.amdhsa_float_round_mode_16_64 0
		.amdhsa_float_denorm_mode_32 3
		.amdhsa_float_denorm_mode_16_64 3
		.amdhsa_fp16_overflow 0
		.amdhsa_memory_ordered 1
		.amdhsa_forward_progress 1
		.amdhsa_inst_pref_size 8
		.amdhsa_round_robin_scheduling 0
		.amdhsa_exception_fp_ieee_invalid_op 0
		.amdhsa_exception_fp_denorm_src 0
		.amdhsa_exception_fp_ieee_div_zero 0
		.amdhsa_exception_fp_ieee_overflow 0
		.amdhsa_exception_fp_ieee_underflow 0
		.amdhsa_exception_fp_ieee_inexact 0
		.amdhsa_exception_int_div_zero 0
	.end_amdhsa_kernel
	.section	.text._ZL36rocblas_hemvn_kernel_upper_block_sumILi64ElPK19rocblas_complex_numIfEPS1_S1_EviT1_lS5_lT2_lT0_lPT3_i,"axG",@progbits,_ZL36rocblas_hemvn_kernel_upper_block_sumILi64ElPK19rocblas_complex_numIfEPS1_S1_EviT1_lS5_lT2_lT0_lPT3_i,comdat
.Lfunc_end1:
	.size	_ZL36rocblas_hemvn_kernel_upper_block_sumILi64ElPK19rocblas_complex_numIfEPS1_S1_EviT1_lS5_lT2_lT0_lPT3_i, .Lfunc_end1-_ZL36rocblas_hemvn_kernel_upper_block_sumILi64ElPK19rocblas_complex_numIfEPS1_S1_EviT1_lS5_lT2_lT0_lPT3_i
                                        ; -- End function
	.set _ZL36rocblas_hemvn_kernel_upper_block_sumILi64ElPK19rocblas_complex_numIfEPS1_S1_EviT1_lS5_lT2_lT0_lPT3_i.num_vgpr, 22
	.set _ZL36rocblas_hemvn_kernel_upper_block_sumILi64ElPK19rocblas_complex_numIfEPS1_S1_EviT1_lS5_lT2_lT0_lPT3_i.num_agpr, 0
	.set _ZL36rocblas_hemvn_kernel_upper_block_sumILi64ElPK19rocblas_complex_numIfEPS1_S1_EviT1_lS5_lT2_lT0_lPT3_i.numbered_sgpr, 32
	.set _ZL36rocblas_hemvn_kernel_upper_block_sumILi64ElPK19rocblas_complex_numIfEPS1_S1_EviT1_lS5_lT2_lT0_lPT3_i.num_named_barrier, 0
	.set _ZL36rocblas_hemvn_kernel_upper_block_sumILi64ElPK19rocblas_complex_numIfEPS1_S1_EviT1_lS5_lT2_lT0_lPT3_i.private_seg_size, 0
	.set _ZL36rocblas_hemvn_kernel_upper_block_sumILi64ElPK19rocblas_complex_numIfEPS1_S1_EviT1_lS5_lT2_lT0_lPT3_i.uses_vcc, 1
	.set _ZL36rocblas_hemvn_kernel_upper_block_sumILi64ElPK19rocblas_complex_numIfEPS1_S1_EviT1_lS5_lT2_lT0_lPT3_i.uses_flat_scratch, 0
	.set _ZL36rocblas_hemvn_kernel_upper_block_sumILi64ElPK19rocblas_complex_numIfEPS1_S1_EviT1_lS5_lT2_lT0_lPT3_i.has_dyn_sized_stack, 0
	.set _ZL36rocblas_hemvn_kernel_upper_block_sumILi64ElPK19rocblas_complex_numIfEPS1_S1_EviT1_lS5_lT2_lT0_lPT3_i.has_recursion, 0
	.set _ZL36rocblas_hemvn_kernel_upper_block_sumILi64ElPK19rocblas_complex_numIfEPS1_S1_EviT1_lS5_lT2_lT0_lPT3_i.has_indirect_call, 0
	.section	.AMDGPU.csdata,"",@progbits
; Kernel info:
; codeLenInByte = 908
; TotalNumSgprs: 34
; NumVgprs: 22
; ScratchSize: 0
; MemoryBound: 0
; FloatMode: 240
; IeeeMode: 1
; LDSByteSize: 0 bytes/workgroup (compile time only)
; SGPRBlocks: 0
; VGPRBlocks: 1
; NumSGPRsForWavesPerEU: 34
; NumVGPRsForWavesPerEU: 22
; NamedBarCnt: 0
; Occupancy: 16
; WaveLimiterHint : 0
; COMPUTE_PGM_RSRC2:SCRATCH_EN: 0
; COMPUTE_PGM_RSRC2:USER_SGPR: 2
; COMPUTE_PGM_RSRC2:TRAP_HANDLER: 0
; COMPUTE_PGM_RSRC2:TGID_X_EN: 1
; COMPUTE_PGM_RSRC2:TGID_Y_EN: 0
; COMPUTE_PGM_RSRC2:TGID_Z_EN: 1
; COMPUTE_PGM_RSRC2:TIDIG_COMP_CNT: 0
	.section	.text._ZL26rocblas_hemvn_kernel_upperILb1ELi64ELi4ELi33ELi32ELi16EiPK19rocblas_complex_numIfES3_PS1_EviT6_lT7_lT5_lS6_lS7_lS5_lT8_i,"axG",@progbits,_ZL26rocblas_hemvn_kernel_upperILb1ELi64ELi4ELi33ELi32ELi16EiPK19rocblas_complex_numIfES3_PS1_EviT6_lT7_lT5_lS6_lS7_lS5_lT8_i,comdat
	.globl	_ZL26rocblas_hemvn_kernel_upperILb1ELi64ELi4ELi33ELi32ELi16EiPK19rocblas_complex_numIfES3_PS1_EviT6_lT7_lT5_lS6_lS7_lS5_lT8_i ; -- Begin function _ZL26rocblas_hemvn_kernel_upperILb1ELi64ELi4ELi33ELi32ELi16EiPK19rocblas_complex_numIfES3_PS1_EviT6_lT7_lT5_lS6_lS7_lS5_lT8_i
	.p2align	8
	.type	_ZL26rocblas_hemvn_kernel_upperILb1ELi64ELi4ELi33ELi32ELi16EiPK19rocblas_complex_numIfES3_PS1_EviT6_lT7_lT5_lS6_lS7_lS5_lT8_i,@function
_ZL26rocblas_hemvn_kernel_upperILb1ELi64ELi4ELi33ELi32ELi16EiPK19rocblas_complex_numIfES3_PS1_EviT6_lT7_lT5_lS6_lS7_lS5_lT8_i: ; @_ZL26rocblas_hemvn_kernel_upperILb1ELi64ELi4ELi33ELi32ELi16EiPK19rocblas_complex_numIfES3_PS1_EviT6_lT7_lT5_lS6_lS7_lS5_lT8_i
; %bb.0:
	s_clause 0x1
	s_load_b64 s[2:3], s[0:1], 0x84
	s_load_b32 s33, s[0:1], 0x70
	s_bfe_u32 s4, ttmp6, 0x40014
	s_lshr_b32 s5, ttmp7, 16
	s_add_co_i32 s4, s4, 1
	s_bfe_u32 s6, ttmp6, 0x40008
	s_mul_i32 s7, s5, s4
	s_getreg_b32 s4, hwreg(HW_REG_IB_STS2, 6, 4)
	s_add_co_i32 s6, s6, s7
	s_mov_b32 s35, 0
	s_wait_kmcnt 0x0
	s_lshr_b32 s7, s2, 16
	s_and_b32 s2, s2, 0xffff
	s_and_b32 s3, s3, 0xffff
	s_mul_i32 s2, s7, s2
	s_cmp_eq_u32 s4, 0
	s_mul_i32 s2, s2, s3
	s_cselect_b32 s34, s5, s6
	s_cmp_lg_u32 s2, 0x100
	s_cselect_b32 s2, -1, 0
	s_cmp_ge_u32 s34, s33
	s_cselect_b32 s3, -1, 0
	s_delay_alu instid0(SALU_CYCLE_1) | instskip(NEXT) | instid1(SALU_CYCLE_1)
	s_or_b32 s2, s2, s3
	s_and_b32 vcc_lo, exec_lo, s2
	s_cbranch_vccnz .LBB2_165
; %bb.1:
	s_clause 0x3
	s_load_b32 s2, s[0:1], 0x0
	s_load_b32 s66, s[0:1], 0x28
	s_load_b96 s[20:22], s[0:1], 0x40
	s_load_b256 s[24:31], s[0:1], 0x8
	s_add_nc_u64 s[6:7], s[0:1], 0x78
	s_clause 0x1
	s_load_b128 s[44:47], s[0:1], 0x30
	s_load_b256 s[36:43], s[0:1], 0x50
	s_wait_xcnt 0x0
	s_bfe_u32 s0, ttmp6, 0x4000c
	v_and_b32_e32 v194, 0x3ff, v0
	s_add_co_i32 s0, s0, 1
	v_bfe_u32 v1, v0, 10, 10
	s_and_b32 s1, ttmp6, 15
	s_mul_i32 s0, ttmp9, s0
	s_load_b32 s48, s[6:7], 0x0
	s_add_co_i32 s1, s1, s0
	v_lshl_add_u32 v6, v1, 6, v194
	v_and_b32_e32 v56, 31, v0
	s_mov_b32 s49, s35
	v_lshl_add_u32 v204, v1, 5, 0x2180
	v_mov_b64_e32 v[110:111], 0
	v_dual_lshrrev_b32 v7, 5, v6 :: v_dual_mov_b32 v63, 0
	v_lshlrev_b32_e32 v196, 3, v56
	s_wait_kmcnt 0x0
	s_ashr_i32 s3, s2, 31
	s_ashr_i32 s67, s66, 31
	s_cmp_eq_u32 s4, 0
	v_mad_u32 v2, s66, v7, v56
	s_cselect_b32 s50, ttmp9, s1
	s_lshr_b32 s0, s3, 26
	s_lshl_b32 s58, s50, 6
	s_delay_alu instid0(SALU_CYCLE_1)
	v_dual_lshlrev_b32 v195, 3, v194 :: v_dual_add_nc_u32 v58, s58, v194
	s_add_co_i32 s0, s2, s0
	s_add_co_i32 s1, s48, -1
	s_and_not1_b32 s0, s0, 63
	s_lshl_b64 s[4:5], s[20:21], 3
	v_mul_lo_u32 v4, s22, v58
	s_lshl_b64 s[6:7], s[30:31], 3
	s_sub_co_i32 s72, s2, s0
	s_cmp_eq_u32 s50, s1
	v_lshlrev_b32_e32 v9, 2, v7
	v_lshl_or_b32 v10, v56, 8, v196
	v_and_b32_e32 v11, 0x7fe0, v6
	s_cselect_b32 s30, s72, 0
	s_add_nc_u64 s[4:5], s[46:47], s[4:5]
	s_cmp_lg_u32 s30, 0
	s_delay_alu instid0(VALU_DEP_4) | instskip(SKIP_3) | instid1(VALU_DEP_2)
	v_dual_ashrrev_i32 v3, 31, v2 :: v_dual_ashrrev_i32 v5, 31, v4
	s_cselect_b32 s73, -1, 0
	s_cmp_eq_u32 s30, 0
	v_dual_add_nc_u32 v198, v10, v11 :: v_dual_bitop2_b32 v10, 2, v9 bitop3:0x54
	v_lshlrev_b64_e32 v[2:3], 3, v[2:3]
	s_cselect_b32 s1, -1, 0
	s_ashr_i32 s59, s58, 31
	s_add_nc_u64 s[6:7], s[28:29], s[6:7]
	v_lshl_add_u64 v[60:61], v[4:5], 3, s[4:5]
	s_lshl_b64 s[4:5], s[58:59], 3
	v_cmp_le_u32_e64 s10, v10, v56
	v_cmp_eq_u32_e64 s11, v10, v56
	v_dual_lshlrev_b32 v10, 3, v7 :: v_dual_bitop2_b32 v12, 1, v9 bitop3:0x54
	s_ashr_i32 s51, s50, 31
	s_add_nc_u64 s[4:5], s[6:7], s[4:5]
	s_mul_u64 s[6:7], s[2:3], s[50:51]
	v_add_nc_u64_e32 v[4:5], s[4:5], v[2:3]
	s_mul_u64 s[28:29], s[48:49], s[2:3]
	s_lshl_b64 s[2:3], s[6:7], 3
	v_cmp_le_u32_e64 s6, v9, v56
	v_cmp_eq_u32_e64 s7, v9, v56
	v_cmp_ge_u32_e64 s8, v9, v56
	v_mul_u32_u24_e32 v14, 0x108, v12
	v_cmp_eq_u32_e64 s9, v12, v56
	v_mul_u32_u24_e32 v12, 33, v56
	v_or_b32_e32 v9, 3, v9
	s_mul_i32 s4, s66, s58
	v_mov_b32_e32 v57, v63
	s_ashr_i32 s5, s4, 31
	v_lshlrev_b32_e32 v199, 3, v12
	v_lshl_add_u64 v[64:65], s[4:5], 3, v[4:5]
	v_add_nc_u32_e32 v4, 8, v7
	v_cmp_le_u32_e64 s12, v9, v56
	v_cmp_eq_u32_e64 s13, v9, v56
	v_dual_lshlrev_b32 v202, 2, v1 :: v_dual_bitop2_b32 v9, 32, v56 bitop3:0x54
	s_sub_co_i32 s19, s30, 32
	s_add_nc_u64 s[42:43], s[42:43], s[2:3]
	v_cmp_gt_i32_e64 s3, s30, v4
	v_cmp_gt_i32_e64 s17, s19, v4
	v_mad_u32 v4, s66, v202, v194
	v_cmp_gt_i32_e64 s2, s30, v7
	v_mul_u32_u24_e32 v197, 0x108, v7
	v_dual_add_nc_u32 v5, 16, v7 :: v_dual_add_nc_u32 v8, 24, v7
	v_mul_u32_u24_e32 v13, 0x420, v7
	v_cmp_gt_i32_e64 s16, s19, v7
	v_cmp_eq_u32_e64 s20, 1, v7
	v_mul_i32_i24_e32 v203, 0xffffffe8, v7
	v_lshrrev_b32_e32 v7, 4, v6
	v_cmp_gt_i32_e32 vcc_lo, s30, v194
	v_cmp_gt_i32_e64 s4, s30, v5
	v_cmp_gt_i32_e64 s5, s30, v8
	;; [unrolled: 1-line block ×5, first 2 shown]
	v_and_b32_e32 v8, 15, v0
	v_dual_ashrrev_i32 v5, 31, v4 :: v_dual_lshlrev_b32 v9, 5, v7
	v_dual_ashrrev_i32 v59, 31, v58 :: v_dual_bitop2_b32 v0, 48, v0 bitop3:0x40
	s_lshl_b32 s56, s66, 5
	s_or_b32 s23, s1, vcc_lo
	s_lshl_b32 s46, s66, 3
	s_lshl_b32 s52, s66, 4
	s_mul_i32 s54, s66, 24
	s_ashr_i32 s57, s56, 31
	s_mul_i32 s58, s22, s58
	s_add_co_i32 s68, s50, 1
	v_mad_u32_u24 v206, 0x218, v8, v9
	v_mul_i32_i24_e32 v7, 0xffffffe8, v7
	v_lshlrev_b32_e32 v0, 3, v0
	s_xor_b32 s74, s23, -1
	s_ashr_i32 s31, s30, 31
	s_ashr_i32 s47, s46, 31
	;; [unrolled: 1-line block ×5, first 2 shown]
	v_sub_nc_u64_e32 v[66:67], 0, v[2:3]
	v_add_nc_u64_e32 v[2:3], s[56:57], v[4:5]
	s_cmp_lt_u32 s68, s48
	v_cmp_eq_u32_e64 s0, 0, v1
	s_cselect_b32 s49, -1, 0
	s_lshl_b32 s62, s66, 1
	v_mad_u32_u24 v205, 0x860, v1, v195
	v_mad_u32_u24 v209, 0x218, v1, v195
	v_add_nc_u32_e32 v211, v206, v7
	v_mad_u32_u24 v207, 0x218, v8, v0
	v_lshlrev_b64_e32 v[0:1], 3, v[4:5]
	s_mul_i32 s64, s66, 3
	s_ashr_i32 s63, s62, 31
	s_ashr_i32 s65, s64, 31
	s_mul_i32 s77, s22, s68
	s_lshl_b64 s[68:69], s[56:57], 3
	s_lshl_b64 s[82:83], s[62:63], 3
	v_lshlrev_b64_e32 v[2:3], 3, v[2:3]
	s_lshl_b32 s75, s22, 6
	s_and_b32 s76, s0, s23
	s_lshl_b64 s[22:23], s[66:67], 3
	s_lshl_b64 s[70:71], s[66:67], 4
	s_add_nc_u64 s[62:63], s[68:69], s[82:83]
	s_lshl_b64 s[84:85], s[64:65], 3
	s_add_nc_u64 s[78:79], s[70:71], s[68:69]
	s_add_nc_u64 s[80:81], s[22:23], s[68:69]
	v_add_nc_u64_e32 v[74:75], s[62:63], v[0:1]
	s_add_nc_u64 s[62:63], s[68:69], s[84:85]
	s_lshl_b64 s[64:65], s[52:53], 3
	v_add_nc_u64_e32 v[72:73], s[80:81], v[0:1]
	v_add_nc_u64_e32 v[76:77], s[62:63], v[0:1]
	s_add_nc_u64 s[62:63], s[68:69], s[64:65]
	s_add_nc_u64 s[80:81], s[80:81], s[64:65]
	;; [unrolled: 1-line block ×3, first 2 shown]
	v_mad_nc_i64_i32 v[98:99], s52, 24, v[2:3]
	v_add_nc_u64_e32 v[84:85], s[64:65], v[0:1]
	s_lshl_b64 s[64:65], s[52:53], 4
	v_add_nc_u64_e32 v[68:69], s[68:69], v[0:1]
	v_add_nc_u64_e32 v[78:79], s[62:63], v[0:1]
	;; [unrolled: 1-line block ×3, first 2 shown]
	s_add_nc_u64 s[80:81], s[62:63], s[82:83]
	s_add_nc_u64 s[62:63], s[62:63], s[84:85]
	;; [unrolled: 1-line block ×3, first 2 shown]
	v_add_nc_u64_e32 v[86:87], s[62:63], v[0:1]
	s_add_nc_u64 s[62:63], s[68:69], s[22:23]
	v_add_nc_u64_e32 v[70:71], s[78:79], v[0:1]
	v_add_nc_u64_e32 v[90:91], s[62:63], v[0:1]
	s_add_nc_u64 s[62:63], s[68:69], s[82:83]
	s_add_nc_u64 s[64:65], s[78:79], s[64:65]
	s_mul_u64 s[78:79], s[52:53], 24
	v_add_nc_u32_e32 v200, 0x2380, v11
	v_or_b32_e32 v11, 0x78, v195
	v_add_nc_u64_e32 v[88:89], s[68:69], v[0:1]
	s_add_nc_u64 s[68:69], s[68:69], s[84:85]
	v_add_nc_u64_e32 v[92:93], s[62:63], v[0:1]
	s_add_nc_u64 s[62:63], s[78:79], s[70:71]
	v_add_nc_u64_e32 v[82:83], s[80:81], v[0:1]
	v_add_nc_u64_e32 v[94:95], s[64:65], v[0:1]
	;; [unrolled: 1-line block ×4, first 2 shown]
	v_sub_nc_u64_e32 v[102:103], 0, v[56:57]
	v_add_nc_u64_e32 v[104:105], s[22:23], v[98:99]
	v_add_nc_u64_e32 v[106:107], s[82:83], v[98:99]
	;; [unrolled: 1-line block ×3, first 2 shown]
	v_cmp_gt_i32_e64 s1, s30, v56
	v_add_nc_u32_e32 v201, v199, v10
	v_cmp_gt_u32_e64 s14, 32, v6
	v_cmp_gt_u32_e64 s21, 64, v6
	v_mad_u32_u24 v208, 0x218, v8, v11
	v_add_nc_u32_e32 v210, 0x2380, v10
	v_dual_add_nc_u32 v212, v196, v13 :: v_dual_add_nc_u32 v213, v196, v14
	v_add_nc_u32_e32 v214, 0x2380, v195
	v_mad_u32_u24 v215, 0x108, v56, v196
	v_dual_add_nc_u32 v216, 8, v198 :: v_dual_add_nc_u32 v217, 16, v198
	v_add_nc_u32_e32 v218, 24, v198
	v_add_nc_u32_e32 v219, 0x2180, v195
	v_dual_add_nc_u32 v223, 16, v202 :: v_dual_bitop2_b32 v220, 1, v202 bitop3:0x54
	v_dual_add_nc_u32 v224, 17, v202 :: v_dual_bitop2_b32 v221, 2, v202 bitop3:0x54
	;; [unrolled: 1-line block ×3, first 2 shown]
	v_dual_add_nc_u32 v226, 19, v202 :: v_dual_add_nc_u32 v227, 32, v202
	v_dual_add_nc_u32 v228, 33, v202 :: v_dual_add_nc_u32 v229, 34, v202
	;; [unrolled: 1-line block ×4, first 2 shown]
	v_add_nc_u32_e32 v57, 51, v202
	v_add_nc_u32_e32 v234, 64, v58
	s_sub_nc_u64 s[58:59], 0, s[58:59]
	s_add_co_i32 s51, s48, -2
	s_sub_nc_u64 s[60:61], 0, s[30:31]
	s_mov_b64 s[62:63], 0xffffffffffffff00
	s_mov_b64 s[64:65], 0xfffffffffffffef8
	s_lshl_b64 s[66:67], s[66:67], 6
	s_lshl_b32 s77, s77, 6
	s_lshl_b64 s[68:69], s[52:53], 5
	s_branch .LBB2_4
.LBB2_2:                                ;   in Loop: Header=BB2_4 Depth=1
	s_wait_xcnt 0x0
	s_or_b32 exec_lo, exec_lo, s70
.LBB2_3:                                ;   in Loop: Header=BB2_4 Depth=1
	s_add_co_i32 s34, s34, 0x10000
	s_delay_alu instid0(SALU_CYCLE_1)
	s_cmp_lt_u32 s34, s33
	s_cbranch_scc0 .LBB2_165
.LBB2_4:                                ; =>This Loop Header: Depth=1
                                        ;     Child Loop BB2_107 Depth 2
	s_mul_u64 s[22:23], s[26:27], s[34:35]
	s_delay_alu instid0(SALU_CYCLE_1) | instskip(NEXT) | instid1(SALU_CYCLE_1)
	s_lshl_b64 s[22:23], s[22:23], 3
	s_add_nc_u64 s[22:23], s[24:25], s[22:23]
	global_load_b64 v[0:1], v63, s[22:23]
	s_wait_xcnt 0x0
	s_mov_b32 s23, -1
	s_wait_loadcnt 0x0
	v_or_b32_e32 v0, v0, v1
	s_delay_alu instid0(VALU_DEP_1) | instskip(NEXT) | instid1(VALU_DEP_1)
	v_and_b32_e32 v0, 0x7fffffff, v0
	v_cmp_ne_u32_e64 s22, 0, v0
	s_and_b32 vcc_lo, exec_lo, s22
	s_cbranch_vccnz .LBB2_6
; %bb.5:                                ;   in Loop: Header=BB2_4 Depth=1
	s_mul_u64 s[70:71], s[40:41], s[34:35]
	s_delay_alu instid0(SALU_CYCLE_1) | instskip(NEXT) | instid1(SALU_CYCLE_1)
	s_lshl_b64 s[70:71], s[70:71], 3
	s_add_nc_u64 s[70:71], s[38:39], s[70:71]
	global_load_b64 v[0:1], v63, s[70:71]
	s_wait_loadcnt 0x0
	v_cmp_neq_f32_e32 vcc_lo, 1.0, v0
	v_cmp_neq_f32_e64 s23, 0, v1
	s_or_b32 s23, vcc_lo, s23
.LBB2_6:                                ;   in Loop: Header=BB2_4 Depth=1
	s_delay_alu instid0(SALU_CYCLE_1)
	s_and_not1_b32 vcc_lo, exec_lo, s23
	s_cbranch_vccnz .LBB2_3
; %bb.7:                                ;   in Loop: Header=BB2_4 Depth=1
	s_and_not1_b32 vcc_lo, exec_lo, s22
	s_cbranch_vccnz .LBB2_3
; %bb.8:                                ;   in Loop: Header=BB2_4 Depth=1
	s_mul_u64 s[22:23], s[36:37], s[34:35]
	s_delay_alu instid0(SALU_CYCLE_1)
	v_lshl_add_u64 v[12:13], s[22:23], 3, v[60:61]
	s_wait_xcnt 0x0
	s_and_saveexec_b32 s22, s0
	s_cbranch_execz .LBB2_13
; %bb.9:                                ;   in Loop: Header=BB2_4 Depth=1
	s_and_saveexec_b32 s23, s74
	s_delay_alu instid0(SALU_CYCLE_1)
	s_xor_b32 s23, exec_lo, s23
; %bb.10:                               ;   in Loop: Header=BB2_4 Depth=1
	ds_store_b64 v214, v[110:111]
; %bb.11:                               ;   in Loop: Header=BB2_4 Depth=1
	s_and_not1_saveexec_b32 s23, s23
	s_cbranch_execz .LBB2_13
; %bb.12:                               ;   in Loop: Header=BB2_4 Depth=1
	global_load_b64 v[0:1], v[12:13], off
	s_wait_loadcnt 0x0
	ds_store_b64 v214, v[0:1]
.LBB2_13:                               ;   in Loop: Header=BB2_4 Depth=1
	s_wait_xcnt 0x0
	s_or_b32 exec_lo, exec_lo, s22
	s_mul_u64 s[22:23], s[44:45], s[34:35]
	s_and_b32 vcc_lo, exec_lo, s73
	v_lshl_add_u64 v[2:3], s[22:23], 3, v[64:65]
	s_mov_b32 s22, -1
                                        ; implicit-def: $vgpr0_vgpr1
	s_cbranch_vccz .LBB2_23
; %bb.14:                               ;   in Loop: Header=BB2_4 Depth=1
	s_delay_alu instid0(VALU_DEP_1) | instskip(SKIP_2) | instid1(VALU_DEP_3)
	v_lshl_add_u64 v[0:1], v[102:103], 3, v[2:3]
	v_dual_mov_b32 v6, 0 :: v_dual_mov_b32 v4, 0
	v_mov_b32_e32 v5, 0
	v_lshl_add_u64 v[0:1], s[30:31], 3, v[0:1]
	s_delay_alu instid0(VALU_DEP_1) | instskip(NEXT) | instid1(VALU_DEP_1)
	v_add_nc_u64_e32 v[0:1], -8, v[0:1]
	v_dual_cndmask_b32 v1, v1, v3, s1 :: v_dual_cndmask_b32 v0, v0, v2, s1
	s_and_saveexec_b32 s22, s2
	s_cbranch_execz .LBB2_16
; %bb.15:                               ;   in Loop: Header=BB2_4 Depth=1
	global_load_b64 v[4:5], v[0:1], off
.LBB2_16:                               ;   in Loop: Header=BB2_4 Depth=1
	s_wait_xcnt 0x0
	s_or_b32 exec_lo, exec_lo, s22
	v_dual_mov_b32 v7, 0 :: v_dual_add_nc_u32 v10, v196, v197
	s_wait_loadcnt 0x0
	ds_store_b64 v10, v[4:5]
	s_and_saveexec_b32 s22, s3
	s_cbranch_execz .LBB2_18
; %bb.17:                               ;   in Loop: Header=BB2_4 Depth=1
	v_lshl_add_u64 v[4:5], s[46:47], 3, v[0:1]
	global_load_b64 v[6:7], v[4:5], off
.LBB2_18:                               ;   in Loop: Header=BB2_4 Depth=1
	s_wait_xcnt 0x0
	s_or_b32 exec_lo, exec_lo, s22
	v_dual_mov_b32 v4, 0 :: v_dual_mov_b32 v8, 0
	v_mov_b32_e32 v9, 0
	s_wait_loadcnt 0x0
	ds_store_b64 v10, v[6:7] offset:2112
	s_and_saveexec_b32 s22, s4
	s_cbranch_execz .LBB2_20
; %bb.19:                               ;   in Loop: Header=BB2_4 Depth=1
	v_lshl_add_u64 v[6:7], s[52:53], 3, v[0:1]
	global_load_b64 v[8:9], v[6:7], off
.LBB2_20:                               ;   in Loop: Header=BB2_4 Depth=1
	s_wait_xcnt 0x0
	s_or_b32 exec_lo, exec_lo, s22
	v_mov_b32_e32 v5, 0
	s_wait_loadcnt 0x0
	ds_store_b64 v10, v[8:9] offset:4224
	s_and_saveexec_b32 s22, s5
	s_cbranch_execz .LBB2_22
; %bb.21:                               ;   in Loop: Header=BB2_4 Depth=1
	v_lshl_add_u64 v[4:5], s[54:55], 3, v[0:1]
	global_load_b64 v[4:5], v[4:5], off
.LBB2_22:                               ;   in Loop: Header=BB2_4 Depth=1
	s_wait_xcnt 0x0
	s_or_b32 exec_lo, exec_lo, s22
	v_lshlrev_b32_e32 v62, 3, v56
	s_mov_b32 s22, 0
	s_wait_loadcnt 0x0
	ds_store_b64 v10, v[4:5] offset:6336
	v_add_nc_u64_e32 v[0:1], v[0:1], v[62:63]
	s_delay_alu instid0(VALU_DEP_1) | instskip(NEXT) | instid1(VALU_DEP_1)
	v_lshl_add_u64 v[0:1], s[60:61], 3, v[0:1]
	v_add_nc_u64_e32 v[0:1], 8, v[0:1]
	s_delay_alu instid0(VALU_DEP_1)
	v_dual_cndmask_b32 v1, v1, v3, s1 :: v_dual_cndmask_b32 v0, v0, v2, s1
.LBB2_23:                               ;   in Loop: Header=BB2_4 Depth=1
	v_add_nc_u32_e32 v16, v196, v197
	s_and_b32 vcc_lo, exec_lo, s22
	s_cbranch_vccz .LBB2_25
; %bb.24:                               ;   in Loop: Header=BB2_4 Depth=1
	v_lshl_add_u64 v[0:1], s[46:47], 3, v[2:3]
	s_delay_alu instid0(VALU_DEP_1) | instskip(NEXT) | instid1(VALU_DEP_1)
	v_add_nc_u64_e32 v[4:5], s[66:67], v[0:1]
	v_add_nc_u64_e32 v[6:7], s[66:67], v[4:5]
	s_clause 0x3
	global_load_b64 v[8:9], v[2:3], off
	global_load_b64 v[10:11], v[0:1], off
	;; [unrolled: 1-line block ×4, first 2 shown]
	s_wait_xcnt 0x2
	v_mov_b64_e32 v[0:1], v[2:3]
	s_wait_loadcnt 0x3
	ds_store_b64 v16, v[8:9]
	s_wait_loadcnt 0x2
	ds_store_b64 v16, v[10:11] offset:2112
	s_wait_loadcnt 0x1
	ds_store_b64 v16, v[4:5] offset:4224
	s_wait_loadcnt 0x0
	ds_store_b64 v16, v[6:7] offset:6336
.LBB2_25:                               ;   in Loop: Header=BB2_4 Depth=1
	s_mov_b32 s22, 0
	s_wait_dscnt 0x0
	s_barrier_signal -1
	s_barrier_wait -1
	s_wait_xcnt 0x0
	s_and_saveexec_b32 s23, s6
	s_delay_alu instid0(SALU_CYCLE_1)
	s_xor_b32 s23, exec_lo, s23
; %bb.26:                               ;   in Loop: Header=BB2_4 Depth=1
	s_and_b32 s22, s7, exec_lo
; %bb.27:                               ;   in Loop: Header=BB2_4 Depth=1
	s_or_saveexec_b32 s23, s23
	v_dual_mov_b32 v2, 0 :: v_dual_mov_b32 v3, v215
	s_xor_b32 exec_lo, exec_lo, s23
	s_cbranch_execz .LBB2_29
; %bb.28:                               ;   in Loop: Header=BB2_4 Depth=1
	ds_load_b64 v[4:5], v212
	v_mov_b32_e32 v3, v198
	s_or_b32 s22, s22, exec_lo
	s_wait_dscnt 0x0
	v_xor_b32_e32 v2, 0x80000000, v5
	ds_store_b32 v198, v4
.LBB2_29:                               ;   in Loop: Header=BB2_4 Depth=1
	s_or_b32 exec_lo, exec_lo, s23
	s_and_saveexec_b32 s23, s22
; %bb.30:                               ;   in Loop: Header=BB2_4 Depth=1
	ds_store_b32 v3, v2 offset:4
; %bb.31:                               ;   in Loop: Header=BB2_4 Depth=1
	s_or_b32 exec_lo, exec_lo, s23
	s_mov_b32 s22, 0
                                        ; implicit-def: $vgpr2
	s_and_saveexec_b32 s23, s8
	s_delay_alu instid0(SALU_CYCLE_1)
	s_xor_b32 s23, exec_lo, s23
	s_cbranch_execnz .LBB2_161
; %bb.32:                               ;   in Loop: Header=BB2_4 Depth=1
	s_or_saveexec_b32 s23, s23
	v_mov_b32_e32 v3, v216
	s_xor_b32 exec_lo, exec_lo, s23
	s_cbranch_execnz .LBB2_162
.LBB2_33:                               ;   in Loop: Header=BB2_4 Depth=1
	s_or_b32 exec_lo, exec_lo, s23
	s_and_saveexec_b32 s23, s22
.LBB2_34:                               ;   in Loop: Header=BB2_4 Depth=1
	ds_store_b32 v3, v2 offset:4
.LBB2_35:                               ;   in Loop: Header=BB2_4 Depth=1
	s_or_b32 exec_lo, exec_lo, s23
	s_mov_b32 s22, 0
	s_and_saveexec_b32 s23, s10
	s_delay_alu instid0(SALU_CYCLE_1)
	s_xor_b32 s23, exec_lo, s23
; %bb.36:                               ;   in Loop: Header=BB2_4 Depth=1
	s_and_b32 s22, s11, exec_lo
; %bb.37:                               ;   in Loop: Header=BB2_4 Depth=1
	s_or_saveexec_b32 s23, s23
	v_dual_mov_b32 v2, 0 :: v_dual_mov_b32 v3, v215
	s_xor_b32 exec_lo, exec_lo, s23
	s_cbranch_execz .LBB2_39
; %bb.38:                               ;   in Loop: Header=BB2_4 Depth=1
	ds_load_b64 v[4:5], v213 offset:264
	v_mov_b32_e32 v3, v217
	s_or_b32 s22, s22, exec_lo
	s_wait_dscnt 0x0
	v_xor_b32_e32 v2, 0x80000000, v5
	ds_store_b32 v217, v4
.LBB2_39:                               ;   in Loop: Header=BB2_4 Depth=1
	s_or_b32 exec_lo, exec_lo, s23
	s_and_saveexec_b32 s23, s22
; %bb.40:                               ;   in Loop: Header=BB2_4 Depth=1
	ds_store_b32 v3, v2 offset:4
; %bb.41:                               ;   in Loop: Header=BB2_4 Depth=1
	s_or_b32 exec_lo, exec_lo, s23
	s_mov_b32 s22, 0
	s_and_saveexec_b32 s23, s12
	s_delay_alu instid0(SALU_CYCLE_1)
	s_xor_b32 s23, exec_lo, s23
; %bb.42:                               ;   in Loop: Header=BB2_4 Depth=1
	s_and_b32 s22, s13, exec_lo
; %bb.43:                               ;   in Loop: Header=BB2_4 Depth=1
	s_or_saveexec_b32 s23, s23
	v_dual_mov_b32 v2, 0 :: v_dual_mov_b32 v3, v215
	s_xor_b32 exec_lo, exec_lo, s23
	s_cbranch_execz .LBB2_45
; %bb.44:                               ;   in Loop: Header=BB2_4 Depth=1
	ds_load_b64 v[4:5], v213 offset:528
	v_mov_b32_e32 v3, v218
	s_or_b32 s22, s22, exec_lo
	s_wait_dscnt 0x0
	v_xor_b32_e32 v2, 0x80000000, v5
	ds_store_b32 v218, v4
.LBB2_45:                               ;   in Loop: Header=BB2_4 Depth=1
	s_or_b32 exec_lo, exec_lo, s23
	s_and_saveexec_b32 s23, s22
; %bb.46:                               ;   in Loop: Header=BB2_4 Depth=1
	ds_store_b32 v3, v2 offset:4
; %bb.47:                               ;   in Loop: Header=BB2_4 Depth=1
	s_or_b32 exec_lo, exec_lo, s23
	s_wait_dscnt 0x0
	s_barrier_signal -1
	s_barrier_wait -1
	ds_load_b64 v[10:11], v212
	ds_load_b128 v[2:5], v200
	ds_load_2addr_b64 v[6:9], v213 offset1:33
	ds_load_b128 v[18:21], v200 offset:16
	ds_load_b64 v[14:15], v213 offset:528
	v_mov_b64_e32 v[112:113], 0
	s_wait_dscnt 0x0
	s_barrier_signal -1
	s_barrier_wait -1
	v_pk_mul_f32 v[22:23], v[2:3], v[10:11] op_sel:[1,1] op_sel_hi:[0,1]
	v_dual_mov_b32 v24, v5 :: v_dual_mov_b32 v25, v4
	v_pk_mul_f32 v[26:27], v[18:19], v[8:9] op_sel:[1,1] op_sel_hi:[0,1]
	v_dual_mov_b32 v30, v21 :: v_dual_mov_b32 v31, v20
	s_delay_alu instid0(VALU_DEP_4) | instskip(NEXT) | instid1(VALU_DEP_4)
	v_pk_fma_f32 v[28:29], v[2:3], v[10:11], v[22:23] op_sel_hi:[1,0,1]
	v_pk_mul_f32 v[24:25], v[24:25], v[6:7] op_sel:[0,1]
	v_pk_fma_f32 v[2:3], v[2:3], v[10:11], v[22:23] neg_lo:[0,0,1] neg_hi:[0,0,1]
	v_pk_fma_f32 v[22:23], v[18:19], v[8:9], v[26:27] op_sel_hi:[1,0,1]
	s_delay_alu instid0(VALU_DEP_3)
	v_pk_fma_f32 v[10:11], v[4:5], v[6:7], v[24:25] op_sel_hi:[1,0,1]
	v_mov_b32_e32 v3, v29
	v_pk_fma_f32 v[4:5], v[4:5], v[6:7], v[24:25] neg_lo:[0,0,1] neg_hi:[0,0,1]
	v_pk_mul_f32 v[28:29], v[30:31], v[14:15] op_sel:[0,1]
	v_pk_fma_f32 v[6:7], v[18:19], v[8:9], v[26:27] neg_lo:[0,0,1] neg_hi:[0,0,1]
	v_mov_b32_e32 v5, v11
	v_pk_add_f32 v[2:3], v[2:3], 0 op_sel_hi:[1,0]
	s_delay_alu instid0(VALU_DEP_4) | instskip(SKIP_1) | instid1(VALU_DEP_3)
	v_pk_fma_f32 v[8:9], v[20:21], v[14:15], v[28:29] op_sel_hi:[1,0,1]
	v_mov_b32_e32 v7, v23
	v_pk_add_f32 v[2:3], v[2:3], v[4:5]
	v_pk_fma_f32 v[4:5], v[20:21], v[14:15], v[28:29] neg_lo:[0,0,1] neg_hi:[0,0,1]
	s_delay_alu instid0(VALU_DEP_4) | instskip(NEXT) | instid1(VALU_DEP_3)
	v_mov_b32_e32 v5, v9
	v_pk_add_f32 v[2:3], v[2:3], v[6:7]
	s_delay_alu instid0(VALU_DEP_1)
	v_pk_add_f32 v[2:3], v[2:3], v[4:5]
	ds_store_b64 v201, v[2:3]
	s_wait_dscnt 0x0
	s_barrier_signal -1
	s_barrier_wait -1
	s_and_saveexec_b32 s22, s14
	s_cbranch_execz .LBB2_49
; %bb.48:                               ;   in Loop: Header=BB2_4 Depth=1
	ds_load_2addr_b64 v[2:5], v199 offset1:7
	ds_load_2addr_b64 v[6:9], v199 offset0:1 offset1:2
	ds_load_2addr_b64 v[18:21], v199 offset0:3 offset1:4
	ds_load_2addr_b64 v[22:25], v199 offset0:5 offset1:6
	s_wait_dscnt 0x2
	v_dual_add_f32 v2, v6, v2 :: v_dual_add_f32 v3, v7, v3
	s_delay_alu instid0(VALU_DEP_1) | instskip(SKIP_1) | instid1(VALU_DEP_1)
	v_dual_add_f32 v2, v8, v2 :: v_dual_add_f32 v3, v9, v3
	s_wait_dscnt 0x1
	v_dual_add_f32 v2, v2, v18 :: v_dual_add_f32 v3, v3, v19
	s_delay_alu instid0(VALU_DEP_1) | instskip(SKIP_1) | instid1(VALU_DEP_1)
	v_dual_add_f32 v2, v2, v20 :: v_dual_add_f32 v3, v3, v21
	s_wait_dscnt 0x0
	v_dual_add_f32 v2, v2, v22 :: v_dual_add_f32 v3, v3, v23
	s_delay_alu instid0(VALU_DEP_1) | instskip(NEXT) | instid1(VALU_DEP_1)
	v_dual_add_f32 v2, v2, v24 :: v_dual_add_f32 v3, v3, v25
	v_pk_add_f32 v[112:113], v[2:3], v[4:5]
.LBB2_49:                               ;   in Loop: Header=BB2_4 Depth=1
	s_or_b32 exec_lo, exec_lo, s22
	v_lshl_add_u64 v[4:5], s[56:57], 3, v[0:1]
	s_and_b32 vcc_lo, exec_lo, s73
	s_mov_b32 s22, -1
	s_barrier_signal -1
	s_delay_alu instid0(VALU_DEP_1)
	v_add_nc_u64_e32 v[2:3], 0x100, v[4:5]
	s_barrier_wait -1
                                        ; implicit-def: $vgpr0_vgpr1
	s_cbranch_vccz .LBB2_59
; %bb.50:                               ;   in Loop: Header=BB2_4 Depth=1
	v_lshl_add_u64 v[0:1], v[102:103], 3, v[4:5]
	v_dual_mov_b32 v8, 0 :: v_dual_mov_b32 v6, 0
	v_mov_b32_e32 v7, 0
	s_delay_alu instid0(VALU_DEP_3) | instskip(NEXT) | instid1(VALU_DEP_1)
	v_lshl_add_u64 v[0:1], s[30:31], 3, v[0:1]
	v_add_nc_u64_e32 v[0:1], -8, v[0:1]
	s_delay_alu instid0(VALU_DEP_1)
	v_dual_cndmask_b32 v1, v1, v3, s15 :: v_dual_cndmask_b32 v0, v0, v2, s15
	s_and_saveexec_b32 s22, s16
	s_cbranch_execz .LBB2_52
; %bb.51:                               ;   in Loop: Header=BB2_4 Depth=1
	global_load_b64 v[6:7], v[0:1], off
.LBB2_52:                               ;   in Loop: Header=BB2_4 Depth=1
	s_wait_xcnt 0x0
	s_or_b32 exec_lo, exec_lo, s22
	v_mov_b32_e32 v9, 0
	s_wait_loadcnt 0x0
	ds_store_b64 v16, v[6:7]
	s_and_saveexec_b32 s22, s17
	s_cbranch_execz .LBB2_54
; %bb.53:                               ;   in Loop: Header=BB2_4 Depth=1
	v_lshl_add_u64 v[6:7], s[46:47], 3, v[0:1]
	global_load_b64 v[8:9], v[6:7], off
.LBB2_54:                               ;   in Loop: Header=BB2_4 Depth=1
	s_wait_xcnt 0x0
	s_or_b32 exec_lo, exec_lo, s22
	v_dual_mov_b32 v6, 0 :: v_dual_mov_b32 v10, 0
	v_mov_b32_e32 v11, 0
	s_wait_loadcnt 0x0
	ds_store_b64 v16, v[8:9] offset:2112
	s_and_saveexec_b32 s22, s18
	s_cbranch_execz .LBB2_56
; %bb.55:                               ;   in Loop: Header=BB2_4 Depth=1
	v_lshl_add_u64 v[8:9], s[52:53], 3, v[0:1]
	global_load_b64 v[10:11], v[8:9], off
.LBB2_56:                               ;   in Loop: Header=BB2_4 Depth=1
	s_wait_xcnt 0x0
	s_or_b32 exec_lo, exec_lo, s22
	v_mov_b32_e32 v7, 0
	s_wait_loadcnt 0x0
	ds_store_b64 v16, v[10:11] offset:4224
	s_and_saveexec_b32 s22, s19
	s_cbranch_execz .LBB2_58
; %bb.57:                               ;   in Loop: Header=BB2_4 Depth=1
	v_lshl_add_u64 v[6:7], s[54:55], 3, v[0:1]
	global_load_b64 v[6:7], v[6:7], off
.LBB2_58:                               ;   in Loop: Header=BB2_4 Depth=1
	s_wait_xcnt 0x0
	s_or_b32 exec_lo, exec_lo, s22
	v_lshlrev_b32_e32 v62, 3, v56
	s_mov_b32 s22, 0
	s_wait_loadcnt 0x0
	ds_store_b64 v16, v[6:7] offset:6336
	v_add_nc_u64_e32 v[0:1], v[0:1], v[62:63]
	s_delay_alu instid0(VALU_DEP_1) | instskip(NEXT) | instid1(VALU_DEP_1)
	v_lshl_add_u64 v[0:1], s[60:61], 3, v[0:1]
	v_add_nc_u64_e32 v[0:1], 0x108, v[0:1]
	s_delay_alu instid0(VALU_DEP_1)
	v_dual_cndmask_b32 v1, v1, v3, s15 :: v_dual_cndmask_b32 v0, v0, v2, s15
.LBB2_59:                               ;   in Loop: Header=BB2_4 Depth=1
	s_and_b32 vcc_lo, exec_lo, s22
	s_cbranch_vccz .LBB2_61
; %bb.60:                               ;   in Loop: Header=BB2_4 Depth=1
	v_lshl_add_u64 v[0:1], s[46:47], 3, v[4:5]
	s_delay_alu instid0(VALU_DEP_1) | instskip(NEXT) | instid1(VALU_DEP_1)
	v_add_nc_u64_e32 v[6:7], s[66:67], v[0:1]
	v_add_nc_u64_e32 v[8:9], s[66:67], v[6:7]
	s_clause 0x3
	global_load_b64 v[4:5], v[4:5], off offset:256
	global_load_b64 v[10:11], v[0:1], off offset:256
	;; [unrolled: 1-line block ×4, first 2 shown]
	s_wait_xcnt 0x2
	v_mov_b64_e32 v[0:1], v[2:3]
	s_wait_loadcnt 0x3
	ds_store_b64 v16, v[4:5]
	s_wait_loadcnt 0x2
	ds_store_b64 v16, v[10:11] offset:2112
	s_wait_loadcnt 0x1
	ds_store_b64 v16, v[6:7] offset:4224
	s_wait_loadcnt 0x0
	ds_store_b64 v16, v[8:9] offset:6336
.LBB2_61:                               ;   in Loop: Header=BB2_4 Depth=1
	s_mov_b32 s22, 0
	s_wait_dscnt 0x0
	s_barrier_signal -1
	s_barrier_wait -1
	s_wait_xcnt 0x0
	s_and_saveexec_b32 s23, s6
	s_delay_alu instid0(SALU_CYCLE_1)
	s_xor_b32 s23, exec_lo, s23
; %bb.62:                               ;   in Loop: Header=BB2_4 Depth=1
	s_and_b32 s22, s7, exec_lo
; %bb.63:                               ;   in Loop: Header=BB2_4 Depth=1
	s_or_saveexec_b32 s23, s23
	v_dual_mov_b32 v2, 0 :: v_dual_mov_b32 v3, v215
	s_xor_b32 exec_lo, exec_lo, s23
	s_cbranch_execz .LBB2_65
; %bb.64:                               ;   in Loop: Header=BB2_4 Depth=1
	ds_load_b64 v[4:5], v212
	v_mov_b32_e32 v3, v198
	s_or_b32 s22, s22, exec_lo
	s_wait_dscnt 0x0
	v_xor_b32_e32 v2, 0x80000000, v5
	ds_store_b32 v198, v4
.LBB2_65:                               ;   in Loop: Header=BB2_4 Depth=1
	s_or_b32 exec_lo, exec_lo, s23
	s_and_saveexec_b32 s23, s22
; %bb.66:                               ;   in Loop: Header=BB2_4 Depth=1
	ds_store_b32 v3, v2 offset:4
; %bb.67:                               ;   in Loop: Header=BB2_4 Depth=1
	s_or_b32 exec_lo, exec_lo, s23
	s_mov_b32 s22, 0
                                        ; implicit-def: $vgpr2
	s_and_saveexec_b32 s23, s8
	s_delay_alu instid0(SALU_CYCLE_1)
	s_xor_b32 s23, exec_lo, s23
	s_cbranch_execnz .LBB2_163
; %bb.68:                               ;   in Loop: Header=BB2_4 Depth=1
	s_or_saveexec_b32 s23, s23
	v_mov_b32_e32 v3, v216
	s_xor_b32 exec_lo, exec_lo, s23
	s_cbranch_execnz .LBB2_164
.LBB2_69:                               ;   in Loop: Header=BB2_4 Depth=1
	s_or_b32 exec_lo, exec_lo, s23
	s_and_saveexec_b32 s23, s22
.LBB2_70:                               ;   in Loop: Header=BB2_4 Depth=1
	ds_store_b32 v3, v2 offset:4
.LBB2_71:                               ;   in Loop: Header=BB2_4 Depth=1
	s_or_b32 exec_lo, exec_lo, s23
	s_mov_b32 s22, 0
	s_and_saveexec_b32 s23, s10
	s_delay_alu instid0(SALU_CYCLE_1)
	s_xor_b32 s23, exec_lo, s23
; %bb.72:                               ;   in Loop: Header=BB2_4 Depth=1
	s_and_b32 s22, s11, exec_lo
; %bb.73:                               ;   in Loop: Header=BB2_4 Depth=1
	s_or_saveexec_b32 s23, s23
	v_dual_mov_b32 v2, 0 :: v_dual_mov_b32 v3, v215
	s_xor_b32 exec_lo, exec_lo, s23
	s_cbranch_execz .LBB2_75
; %bb.74:                               ;   in Loop: Header=BB2_4 Depth=1
	ds_load_b64 v[4:5], v213 offset:264
	v_mov_b32_e32 v3, v217
	s_or_b32 s22, s22, exec_lo
	s_wait_dscnt 0x0
	v_xor_b32_e32 v2, 0x80000000, v5
	ds_store_b32 v217, v4
.LBB2_75:                               ;   in Loop: Header=BB2_4 Depth=1
	s_or_b32 exec_lo, exec_lo, s23
	s_and_saveexec_b32 s23, s22
; %bb.76:                               ;   in Loop: Header=BB2_4 Depth=1
	ds_store_b32 v3, v2 offset:4
; %bb.77:                               ;   in Loop: Header=BB2_4 Depth=1
	s_or_b32 exec_lo, exec_lo, s23
	s_mov_b32 s22, 0
	s_and_saveexec_b32 s23, s12
	s_delay_alu instid0(SALU_CYCLE_1)
	s_xor_b32 s23, exec_lo, s23
; %bb.78:                               ;   in Loop: Header=BB2_4 Depth=1
	s_and_b32 s22, s13, exec_lo
; %bb.79:                               ;   in Loop: Header=BB2_4 Depth=1
	s_or_saveexec_b32 s23, s23
	v_dual_mov_b32 v2, 0 :: v_dual_mov_b32 v3, v215
	s_xor_b32 exec_lo, exec_lo, s23
	s_cbranch_execz .LBB2_81
; %bb.80:                               ;   in Loop: Header=BB2_4 Depth=1
	ds_load_b64 v[4:5], v213 offset:528
	v_mov_b32_e32 v3, v218
	s_or_b32 s22, s22, exec_lo
	s_wait_dscnt 0x0
	v_xor_b32_e32 v2, 0x80000000, v5
	ds_store_b32 v218, v4
.LBB2_81:                               ;   in Loop: Header=BB2_4 Depth=1
	s_or_b32 exec_lo, exec_lo, s23
	s_and_saveexec_b32 s23, s22
; %bb.82:                               ;   in Loop: Header=BB2_4 Depth=1
	ds_store_b32 v3, v2 offset:4
; %bb.83:                               ;   in Loop: Header=BB2_4 Depth=1
	s_or_b32 exec_lo, exec_lo, s23
	s_wait_dscnt 0x0
	s_barrier_signal -1
	s_barrier_wait -1
	ds_load_b64 v[10:11], v212
	ds_load_b128 v[2:5], v200 offset:256
	ds_load_2addr_b64 v[6:9], v213 offset1:33
	ds_load_b128 v[18:21], v200 offset:272
	ds_load_b64 v[14:15], v213 offset:528
	s_wait_dscnt 0x0
	s_barrier_signal -1
	s_barrier_wait -1
	v_pk_mul_f32 v[22:23], v[2:3], v[10:11] op_sel:[1,1] op_sel_hi:[0,1]
	v_dual_mov_b32 v24, v5 :: v_dual_mov_b32 v25, v4
	v_pk_mul_f32 v[26:27], v[18:19], v[8:9] op_sel:[1,1] op_sel_hi:[0,1]
	v_dual_mov_b32 v30, v21 :: v_dual_mov_b32 v31, v20
	s_delay_alu instid0(VALU_DEP_4) | instskip(NEXT) | instid1(VALU_DEP_4)
	v_pk_fma_f32 v[28:29], v[2:3], v[10:11], v[22:23] op_sel_hi:[1,0,1]
	v_pk_mul_f32 v[24:25], v[24:25], v[6:7] op_sel:[0,1]
	v_pk_fma_f32 v[2:3], v[2:3], v[10:11], v[22:23] neg_lo:[0,0,1] neg_hi:[0,0,1]
	v_pk_fma_f32 v[22:23], v[18:19], v[8:9], v[26:27] op_sel_hi:[1,0,1]
	s_delay_alu instid0(VALU_DEP_3)
	v_pk_fma_f32 v[10:11], v[4:5], v[6:7], v[24:25] op_sel_hi:[1,0,1]
	v_mov_b32_e32 v3, v29
	v_pk_fma_f32 v[4:5], v[4:5], v[6:7], v[24:25] neg_lo:[0,0,1] neg_hi:[0,0,1]
	v_pk_mul_f32 v[28:29], v[30:31], v[14:15] op_sel:[0,1]
	v_pk_fma_f32 v[6:7], v[18:19], v[8:9], v[26:27] neg_lo:[0,0,1] neg_hi:[0,0,1]
	v_mov_b32_e32 v5, v11
	v_pk_add_f32 v[2:3], v[2:3], 0 op_sel_hi:[1,0]
	s_delay_alu instid0(VALU_DEP_4) | instskip(SKIP_1) | instid1(VALU_DEP_3)
	v_pk_fma_f32 v[8:9], v[20:21], v[14:15], v[28:29] op_sel_hi:[1,0,1]
	v_mov_b32_e32 v7, v23
	v_pk_add_f32 v[2:3], v[2:3], v[4:5]
	v_pk_fma_f32 v[4:5], v[20:21], v[14:15], v[28:29] neg_lo:[0,0,1] neg_hi:[0,0,1]
	s_delay_alu instid0(VALU_DEP_4) | instskip(NEXT) | instid1(VALU_DEP_3)
	v_mov_b32_e32 v5, v9
	v_pk_add_f32 v[2:3], v[2:3], v[6:7]
	s_delay_alu instid0(VALU_DEP_1)
	v_pk_add_f32 v[2:3], v[2:3], v[4:5]
	ds_store_b64 v201, v[2:3]
	s_wait_dscnt 0x0
	s_barrier_signal -1
	s_barrier_wait -1
	s_and_saveexec_b32 s22, s20
	s_cbranch_execz .LBB2_85
; %bb.84:                               ;   in Loop: Header=BB2_4 Depth=1
	ds_load_2addr_b64 v[2:5], v199 offset1:7
	ds_load_2addr_b64 v[6:9], v199 offset0:1 offset1:2
	ds_load_2addr_b64 v[18:21], v199 offset0:3 offset1:4
	;; [unrolled: 1-line block ×3, first 2 shown]
	s_wait_dscnt 0x2
	v_dual_add_f32 v2, v6, v2 :: v_dual_add_f32 v3, v7, v3
	s_delay_alu instid0(VALU_DEP_1) | instskip(SKIP_1) | instid1(VALU_DEP_1)
	v_dual_add_f32 v2, v8, v2 :: v_dual_add_f32 v3, v9, v3
	s_wait_dscnt 0x1
	v_dual_add_f32 v2, v2, v18 :: v_dual_add_f32 v3, v3, v19
	s_delay_alu instid0(VALU_DEP_1) | instskip(SKIP_1) | instid1(VALU_DEP_1)
	v_dual_add_f32 v2, v2, v20 :: v_dual_add_f32 v3, v3, v21
	s_wait_dscnt 0x0
	v_dual_add_f32 v2, v2, v22 :: v_dual_add_f32 v3, v3, v23
	s_delay_alu instid0(VALU_DEP_1) | instskip(NEXT) | instid1(VALU_DEP_1)
	v_pk_add_f32 v[2:3], v[2:3], v[24:25]
	v_pk_add_f32 v[112:113], v[2:3], v[4:5]
.LBB2_85:                               ;   in Loop: Header=BB2_4 Depth=1
	s_or_b32 exec_lo, exec_lo, s22
	v_add_nc_u64_e32 v[2:3], s[62:63], v[0:1]
	s_and_b32 vcc_lo, exec_lo, s73
	s_mov_b32 s22, -1
	s_barrier_signal -1
	s_barrier_wait -1
                                        ; implicit-def: $vgpr14_vgpr15
	s_cbranch_vccz .LBB2_95
; %bb.86:                               ;   in Loop: Header=BB2_4 Depth=1
	v_lshl_add_u64 v[4:5], v[102:103], 3, v[0:1]
	v_dual_mov_b32 v8, 0 :: v_dual_mov_b32 v6, 0
	v_mov_b32_e32 v7, 0
	s_delay_alu instid0(VALU_DEP_3) | instskip(NEXT) | instid1(VALU_DEP_1)
	v_lshl_add_u64 v[4:5], s[30:31], 3, v[4:5]
	v_add_nc_u64_e32 v[4:5], s[64:65], v[4:5]
	s_delay_alu instid0(VALU_DEP_1)
	v_dual_cndmask_b32 v5, v5, v3, s1 :: v_dual_cndmask_b32 v4, v4, v2, s1
	s_and_saveexec_b32 s22, s16
	s_cbranch_execz .LBB2_88
; %bb.87:                               ;   in Loop: Header=BB2_4 Depth=1
	global_load_b64 v[6:7], v[4:5], off
.LBB2_88:                               ;   in Loop: Header=BB2_4 Depth=1
	s_wait_xcnt 0x0
	s_or_b32 exec_lo, exec_lo, s22
	v_mov_b32_e32 v9, 0
	s_wait_loadcnt 0x0
	ds_store_b64 v16, v[6:7]
	s_and_saveexec_b32 s22, s17
	s_cbranch_execz .LBB2_90
; %bb.89:                               ;   in Loop: Header=BB2_4 Depth=1
	v_lshl_add_u64 v[6:7], s[46:47], 3, v[4:5]
	global_load_b64 v[8:9], v[6:7], off
.LBB2_90:                               ;   in Loop: Header=BB2_4 Depth=1
	s_wait_xcnt 0x0
	s_or_b32 exec_lo, exec_lo, s22
	v_dual_mov_b32 v6, 0 :: v_dual_mov_b32 v10, 0
	v_mov_b32_e32 v11, 0
	s_wait_loadcnt 0x0
	ds_store_b64 v16, v[8:9] offset:2112
	s_and_saveexec_b32 s22, s18
	s_cbranch_execz .LBB2_92
; %bb.91:                               ;   in Loop: Header=BB2_4 Depth=1
	v_lshl_add_u64 v[8:9], s[52:53], 3, v[4:5]
	global_load_b64 v[10:11], v[8:9], off
.LBB2_92:                               ;   in Loop: Header=BB2_4 Depth=1
	s_wait_xcnt 0x0
	s_or_b32 exec_lo, exec_lo, s22
	v_mov_b32_e32 v7, 0
	s_wait_loadcnt 0x0
	ds_store_b64 v16, v[10:11] offset:4224
	s_and_saveexec_b32 s22, s19
	s_cbranch_execz .LBB2_94
; %bb.93:                               ;   in Loop: Header=BB2_4 Depth=1
	v_lshl_add_u64 v[6:7], s[54:55], 3, v[4:5]
	global_load_b64 v[6:7], v[6:7], off
.LBB2_94:                               ;   in Loop: Header=BB2_4 Depth=1
	s_wait_xcnt 0x0
	s_or_b32 exec_lo, exec_lo, s22
	v_lshlrev_b32_e32 v62, 3, v56
	s_mov_b32 s22, 0
	s_wait_loadcnt 0x0
	ds_store_b64 v16, v[6:7] offset:6336
	v_add_nc_u64_e32 v[4:5], v[4:5], v[62:63]
	s_delay_alu instid0(VALU_DEP_1) | instskip(NEXT) | instid1(VALU_DEP_1)
	v_lshl_add_u64 v[4:5], s[60:61], 3, v[4:5]
	v_add_nc_u64_e32 v[4:5], 8, v[4:5]
	s_delay_alu instid0(VALU_DEP_1)
	v_dual_cndmask_b32 v15, v5, v3, s1 :: v_dual_cndmask_b32 v14, v4, v2, s1
.LBB2_95:                               ;   in Loop: Header=BB2_4 Depth=1
	s_and_b32 vcc_lo, exec_lo, s22
	s_cbranch_vccz .LBB2_97
; %bb.96:                               ;   in Loop: Header=BB2_4 Depth=1
	v_lshl_add_u64 v[4:5], s[46:47], 3, v[0:1]
	v_mov_b64_e32 v[14:15], v[2:3]
	s_delay_alu instid0(VALU_DEP_2) | instskip(NEXT) | instid1(VALU_DEP_1)
	v_add_nc_u64_e32 v[6:7], s[66:67], v[4:5]
	v_add_nc_u64_e32 v[8:9], s[66:67], v[6:7]
	s_clause 0x3
	global_load_b64 v[0:1], v[0:1], off offset:-256
	global_load_b64 v[4:5], v[4:5], off offset:-256
	;; [unrolled: 1-line block ×4, first 2 shown]
	s_wait_loadcnt 0x3
	ds_store_b64 v16, v[0:1]
	s_wait_loadcnt 0x2
	ds_store_b64 v16, v[4:5] offset:2112
	s_wait_loadcnt 0x1
	ds_store_b64 v16, v[6:7] offset:4224
	;; [unrolled: 2-line block ×3, first 2 shown]
.LBB2_97:                               ;   in Loop: Header=BB2_4 Depth=1
	s_wait_xcnt 0x3
	v_dual_add_nc_u32 v0, v198, v203 :: v_dual_add_nc_u32 v1, v200, v203
	s_wait_dscnt 0x0
	s_barrier_signal -1
	s_barrier_wait -1
	s_wait_xcnt 0x2
	ds_load_b64 v[4:5], v0
	s_wait_xcnt 0x1
	ds_load_b64 v[6:7], v1
	ds_load_2addr_b64 v[20:23], v201 offset0:8 offset1:16
	ds_load_2addr_b64 v[24:27], v210 offset0:8 offset1:16
	ds_load_b64 v[28:29], v201 offset:192
	ds_load_b64 v[30:31], v210 offset:192
	ds_load_2addr_b64 v[0:3], v213 offset1:33
	ds_load_b64 v[18:19], v212
	ds_load_b64 v[16:17], v213 offset:528
	s_wait_dscnt 0x7
	s_wait_xcnt 0x0
	v_pk_mul_f32 v[8:9], v[4:5], v[6:7] op_sel:[1,1] op_sel_hi:[1,0]
	s_wait_dscnt 0x5
	v_pk_mul_f32 v[10:11], v[20:21], v[24:25] op_sel:[1,1] op_sel_hi:[1,0]
	v_pk_mul_f32 v[34:35], v[22:23], v[26:27] op_sel:[1,1] op_sel_hi:[1,0]
	s_delay_alu instid0(VALU_DEP_3) | instskip(SKIP_1) | instid1(VALU_DEP_4)
	v_pk_fma_f32 v[32:33], v[4:5], v[6:7], v[8:9] op_sel_hi:[0,1,1] neg_lo:[0,0,1] neg_hi:[0,0,1]
	v_pk_fma_f32 v[4:5], v[4:5], v[6:7], v[8:9]
	v_pk_fma_f32 v[36:37], v[20:21], v[24:25], v[10:11] op_sel_hi:[0,1,1] neg_lo:[0,0,1] neg_hi:[0,0,1]
	v_pk_fma_f32 v[20:21], v[20:21], v[24:25], v[10:11]
	v_pk_fma_f32 v[24:25], v[22:23], v[26:27], v[34:35] op_sel_hi:[0,1,1] neg_lo:[0,0,1] neg_hi:[0,0,1]
	v_mov_b32_e32 v5, v33
	s_wait_dscnt 0x3
	v_pk_mul_f32 v[32:33], v[28:29], v[30:31] op_sel:[1,1] op_sel_hi:[1,0]
	v_mov_b32_e32 v21, v37
	v_pk_fma_f32 v[22:23], v[22:23], v[26:27], v[34:35]
	v_mov_b32_e32 v23, v25
	v_pk_add_f32 v[36:37], v[4:5], 0 op_sel_hi:[1,0]
	ds_load_b128 v[8:11], v200 offset:256
	ds_load_b128 v[4:7], v200 offset:272
	v_pk_fma_f32 v[24:25], v[28:29], v[30:31], v[32:33] op_sel_hi:[0,1,1] neg_lo:[0,0,1] neg_hi:[0,0,1]
	v_pk_fma_f32 v[26:27], v[28:29], v[30:31], v[32:33]
	s_wait_dscnt 0x0
	v_pk_add_f32 v[20:21], v[36:37], v[20:21]
	s_barrier_signal -1
	v_mov_b32_e32 v27, v25
	s_barrier_wait -1
	s_delay_alu instid0(VALU_DEP_2) | instskip(NEXT) | instid1(VALU_DEP_1)
	v_pk_add_f32 v[20:21], v[20:21], v[22:23]
	v_pk_add_f32 v[20:21], v[20:21], v[26:27]
	ds_store_b64 v201, v[20:21]
	s_wait_dscnt 0x0
	s_barrier_signal -1
	s_barrier_wait -1
	s_and_saveexec_b32 s22, s20
	s_cbranch_execz .LBB2_99
; %bb.98:                               ;   in Loop: Header=BB2_4 Depth=1
	ds_load_2addr_b64 v[20:23], v199 offset1:1
	ds_load_2addr_b64 v[24:27], v199 offset0:2 offset1:3
	ds_load_2addr_b64 v[28:31], v199 offset0:4 offset1:5
	s_wait_dscnt 0x2
	v_pk_add_f32 v[20:21], v[112:113], v[20:21]
	s_delay_alu instid0(VALU_DEP_1) | instskip(SKIP_1) | instid1(VALU_DEP_1)
	v_pk_add_f32 v[20:21], v[20:21], v[22:23]
	s_wait_dscnt 0x1
	v_pk_add_f32 v[24:25], v[20:21], v[24:25]
	ds_load_2addr_b64 v[20:23], v199 offset0:6 offset1:7
	v_pk_add_f32 v[24:25], v[24:25], v[26:27]
	s_wait_dscnt 0x1
	s_delay_alu instid0(VALU_DEP_1) | instskip(NEXT) | instid1(VALU_DEP_1)
	v_pk_add_f32 v[24:25], v[24:25], v[28:29]
	v_pk_add_f32 v[24:25], v[24:25], v[30:31]
	s_wait_dscnt 0x0
	s_delay_alu instid0(VALU_DEP_1) | instskip(NEXT) | instid1(VALU_DEP_1)
	v_pk_add_f32 v[20:21], v[24:25], v[20:21]
	v_pk_add_f32 v[112:113], v[20:21], v[22:23]
.LBB2_99:                               ;   in Loop: Header=BB2_4 Depth=1
	s_or_b32 exec_lo, exec_lo, s22
	v_pk_mul_f32 v[20:21], v[8:9], v[18:19] op_sel:[1,1] op_sel_hi:[0,1]
	v_dual_mov_b32 v22, v11 :: v_dual_mov_b32 v23, v10
	v_pk_mul_f32 v[24:25], v[4:5], v[2:3] op_sel:[1,1] op_sel_hi:[0,1]
	v_dual_mov_b32 v28, v7 :: v_dual_mov_b32 v29, v6
	s_delay_alu instid0(VALU_DEP_4) | instskip(NEXT) | instid1(VALU_DEP_4)
	v_pk_fma_f32 v[26:27], v[8:9], v[18:19], v[20:21] op_sel_hi:[1,0,1]
	v_pk_mul_f32 v[22:23], v[22:23], v[0:1] op_sel:[0,1]
	v_pk_fma_f32 v[8:9], v[8:9], v[18:19], v[20:21] neg_lo:[0,0,1] neg_hi:[0,0,1]
	v_pk_fma_f32 v[20:21], v[4:5], v[2:3], v[24:25] op_sel_hi:[1,0,1]
	v_pk_fma_f32 v[2:3], v[4:5], v[2:3], v[24:25] neg_lo:[0,0,1] neg_hi:[0,0,1]
	s_delay_alu instid0(VALU_DEP_4)
	v_pk_fma_f32 v[18:19], v[10:11], v[0:1], v[22:23] op_sel_hi:[1,0,1]
	v_mov_b32_e32 v9, v27
	v_pk_fma_f32 v[0:1], v[10:11], v[0:1], v[22:23] neg_lo:[0,0,1] neg_hi:[0,0,1]
	v_pk_mul_f32 v[26:27], v[28:29], v[16:17] op_sel:[0,1]
	s_barrier_signal -1
	v_mov_b32_e32 v1, v19
	v_pk_add_f32 v[8:9], v[8:9], 0 op_sel_hi:[1,0]
	s_barrier_wait -1
	v_pk_fma_f32 v[4:5], v[6:7], v[16:17], v[26:27] op_sel_hi:[1,0,1]
	v_mov_b32_e32 v3, v21
	v_pk_fma_f32 v[6:7], v[6:7], v[16:17], v[26:27] neg_lo:[0,0,1] neg_hi:[0,0,1]
	v_pk_add_f32 v[0:1], v[8:9], v[0:1]
	s_delay_alu instid0(VALU_DEP_4) | instskip(NEXT) | instid1(VALU_DEP_2)
	v_mov_b32_e32 v7, v5
	v_pk_add_f32 v[0:1], v[0:1], v[2:3]
	s_delay_alu instid0(VALU_DEP_1)
	v_pk_add_f32 v[0:1], v[0:1], v[6:7]
	ds_store_b64 v201, v[0:1]
	s_wait_dscnt 0x0
	s_barrier_signal -1
	s_barrier_wait -1
	s_and_saveexec_b32 s22, s14
	s_cbranch_execz .LBB2_101
; %bb.100:                              ;   in Loop: Header=BB2_4 Depth=1
	ds_load_2addr_b64 v[0:3], v199 offset1:1
	ds_load_2addr_b64 v[4:7], v199 offset0:2 offset1:3
	ds_load_2addr_b64 v[8:11], v199 offset0:4 offset1:5
	s_wait_dscnt 0x2
	v_pk_add_f32 v[0:1], v[112:113], v[0:1]
	s_delay_alu instid0(VALU_DEP_1) | instskip(SKIP_1) | instid1(VALU_DEP_1)
	v_pk_add_f32 v[0:1], v[0:1], v[2:3]
	s_wait_dscnt 0x1
	v_pk_add_f32 v[4:5], v[0:1], v[4:5]
	ds_load_2addr_b64 v[0:3], v199 offset0:6 offset1:7
	v_pk_add_f32 v[4:5], v[4:5], v[6:7]
	s_wait_dscnt 0x1
	s_delay_alu instid0(VALU_DEP_1) | instskip(NEXT) | instid1(VALU_DEP_1)
	v_pk_add_f32 v[4:5], v[4:5], v[8:9]
	v_pk_add_f32 v[4:5], v[4:5], v[10:11]
	s_wait_dscnt 0x0
	s_delay_alu instid0(VALU_DEP_1) | instskip(NEXT) | instid1(VALU_DEP_1)
	v_pk_add_f32 v[0:1], v[4:5], v[0:1]
	v_pk_add_f32 v[112:113], v[0:1], v[2:3]
.LBB2_101:                              ;   in Loop: Header=BB2_4 Depth=1
	s_or_b32 exec_lo, exec_lo, s22
	s_mul_u64 s[22:23], s[28:29], s[34:35]
	s_and_not1_b32 vcc_lo, exec_lo, s49
	s_lshl_b64 s[22:23], s[22:23], 3
	s_delay_alu instid0(SALU_CYCLE_1)
	s_add_nc_u64 s[22:23], s[42:43], s[22:23]
	s_barrier_signal -1
	s_barrier_wait -1
	s_cbranch_vccnz .LBB2_159
; %bb.102:                              ;   in Loop: Header=BB2_4 Depth=1
	v_add_nc_u64_e32 v[114:115], v[14:15], v[68:69]
	v_add_nc_u64_e32 v[116:117], v[14:15], v[70:71]
	;; [unrolled: 1-line block ×20, first 2 shown]
	v_lshl_add_u64 v[154:155], s[58:59], 3, v[12:13]
	v_mov_b32_e32 v235, v234
	s_mov_b32 s70, s77
	s_mov_b32 s78, s50
	s_delay_alu instid0(SALU_CYCLE_1)
	s_cmp_eq_u32 s51, s78
	s_cselect_b32 s79, s72, 0
	s_and_saveexec_b32 s80, s0
	s_cbranch_execz .LBB2_107
.LBB2_103:                              ;   in Loop: Header=BB2_4 Depth=1
	v_cmp_le_i32_e32 vcc_lo, s79, v194
	s_cmp_lg_u32 s79, 0
	s_cselect_b32 s71, -1, 0
	s_delay_alu instid0(SALU_CYCLE_1) | instskip(NEXT) | instid1(SALU_CYCLE_1)
	s_and_b32 s71, s71, vcc_lo
	s_and_saveexec_b32 s81, s71
	s_delay_alu instid0(SALU_CYCLE_1)
	s_xor_b32 s71, exec_lo, s81
; %bb.104:                              ;   in Loop: Header=BB2_4 Depth=1
	ds_store_b64 v219, v[110:111]
; %bb.105:                              ;   in Loop: Header=BB2_4 Depth=1
	s_and_not1_saveexec_b32 s71, s71
	s_cbranch_execz .LBB2_107
; %bb.106:                              ;   in Loop: Header=BB2_4 Depth=1
	s_ashr_i32 s71, s70, 31
	s_delay_alu instid0(SALU_CYCLE_1)
	v_lshl_add_u64 v[0:1], s[70:71], 3, v[154:155]
	global_load_b64 v[0:1], v[0:1], off
	s_wait_loadcnt 0x0
	ds_store_b64 v219, v[0:1]
.LBB2_107:                              ;   Parent Loop BB2_4 Depth=1
                                        ; =>  This Inner Loop Header: Depth=2
	s_wait_xcnt 0x0
	s_or_b32 exec_lo, exec_lo, s80
	s_cmp_eq_u32 s79, 0
	v_add_nc_u64_e32 v[0:1], v[114:115], v[66:67]
	s_cselect_b32 s71, -1, 0
	s_cmp_lg_u32 s79, 0
	s_wait_dscnt 0x0
	s_cselect_b32 s80, -1, 0
	s_barrier_signal -1
	s_and_b32 vcc_lo, exec_lo, s80
	s_barrier_wait -1
	s_cbranch_vccz .LBB2_115
; %bb.108:                              ;   in Loop: Header=BB2_107 Depth=2
	v_mov_b64_e32 v[156:157], 0
	v_mov_b64_e32 v[158:159], 0
	s_mov_b32 s81, exec_lo
	v_cmpx_gt_i32_e64 s79, v202
	s_cbranch_execz .LBB2_110
; %bb.109:                              ;   in Loop: Header=BB2_107 Depth=2
	global_load_b64 v[158:159], v[0:1], off
.LBB2_110:                              ;   in Loop: Header=BB2_107 Depth=2
	s_wait_xcnt 0x0
	s_or_b32 exec_lo, exec_lo, s81
	s_delay_alu instid0(SALU_CYCLE_1)
	s_mov_b32 s81, exec_lo
	v_cmpx_gt_i32_e64 s79, v220
	s_cbranch_execz .LBB2_112
; %bb.111:                              ;   in Loop: Header=BB2_107 Depth=2
	v_add_nc_u64_e32 v[2:3], v[118:119], v[66:67]
	global_load_b64 v[156:157], v[2:3], off
.LBB2_112:                              ;   in Loop: Header=BB2_107 Depth=2
	s_wait_xcnt 0x0
	s_or_b32 exec_lo, exec_lo, s81
	v_mov_b64_e32 v[160:161], 0
	s_mov_b32 s81, exec_lo
	v_cmpx_gt_i32_e64 s79, v221
	s_cbranch_execz .LBB2_114
; %bb.113:                              ;   in Loop: Header=BB2_107 Depth=2
	v_add_nc_u64_e32 v[2:3], v[120:121], v[66:67]
	global_load_b64 v[160:161], v[2:3], off
.LBB2_114:                              ;   in Loop: Header=BB2_107 Depth=2
	s_wait_xcnt 0x0
	s_or_b32 exec_lo, exec_lo, s81
	v_cmp_gt_i32_e64 s81, s79, v222
	s_branch .LBB2_117
.LBB2_115:                              ;   in Loop: Header=BB2_107 Depth=2
	s_mov_b32 s81, 0
                                        ; implicit-def: $vgpr160_vgpr161
                                        ; implicit-def: $vgpr156_vgpr157
                                        ; implicit-def: $vgpr158_vgpr159
	s_cbranch_execz .LBB2_117
; %bb.116:                              ;   in Loop: Header=BB2_107 Depth=2
	v_add_nc_u64_e32 v[2:3], v[118:119], v[66:67]
	v_add_nc_u64_e32 v[4:5], v[116:117], v[66:67]
	s_or_b32 s81, s81, exec_lo
	s_wait_loadcnt 0x0
	global_load_b64 v[158:159], v[0:1], off
	global_load_b64 v[156:157], v[2:3], off
	;; [unrolled: 1-line block ×3, first 2 shown]
.LBB2_117:                              ;   in Loop: Header=BB2_107 Depth=2
	v_dual_mov_b32 v162, 0 :: v_dual_mov_b32 v164, 0
	s_wait_xcnt 0x0
	s_delay_alu instid0(VALU_DEP_2)
	s_and_saveexec_b32 s82, s81
	s_cbranch_execz .LBB2_119
; %bb.118:                              ;   in Loop: Header=BB2_107 Depth=2
	v_add_nc_u64_e32 v[0:1], v[122:123], v[66:67]
	global_load_b64 v[162:163], v[0:1], off
	s_wait_loadcnt 0x0
	v_mov_b32_e32 v164, v163
.LBB2_119:                              ;   in Loop: Header=BB2_107 Depth=2
	s_wait_xcnt 0x0
	s_or_b32 exec_lo, exec_lo, s82
	ds_load_b64 v[4:5], v214
	ds_load_b128 v[0:3], v204
	v_cndmask_b32_e64 v40, 0, 1, s80
	s_and_not1_b32 vcc_lo, exec_lo, s80
	s_wait_loadcnt_dscnt 0x1
	v_pk_mul_f32 v[6:7], v[158:159], v[4:5] op_sel:[1,0]
	v_pk_mul_f32 v[8:9], v[156:157], v[4:5] op_sel:[1,0]
	;; [unrolled: 1-line block ×3, first 2 shown]
	v_pk_mul_f32 v[12:13], v[164:165], v[4:5] op_sel_hi:[0,1]
	s_delay_alu instid0(VALU_DEP_4)
	v_pk_fma_f32 v[14:15], v[158:159], v[4:5], v[6:7] op_sel:[0,0,1] op_sel_hi:[1,1,0]
	v_pk_fma_f32 v[6:7], v[158:159], v[4:5], v[6:7] op_sel:[0,0,1] op_sel_hi:[0,1,0] neg_lo:[0,0,1] neg_hi:[0,0,1]
	v_pk_fma_f32 v[16:17], v[156:157], v[4:5], v[8:9] op_sel:[0,0,1] op_sel_hi:[1,1,0]
	v_pk_fma_f32 v[8:9], v[156:157], v[4:5], v[8:9] op_sel:[0,0,1] op_sel_hi:[0,1,0] neg_lo:[0,0,1] neg_hi:[0,0,1]
	;; [unrolled: 2-line block ×3, first 2 shown]
	v_pk_fma_f32 v[20:21], v[162:163], v[4:5], v[12:13] op_sel:[0,0,1] op_sel_hi:[0,1,0] neg_lo:[0,0,1] neg_hi:[0,0,1]
	v_pk_fma_f32 v[12:13], v[162:163], v[4:5], v[12:13] op_sel:[0,0,1] op_sel_hi:[1,1,0]
	v_dual_mov_b32 v15, v7 :: v_dual_mov_b32 v17, v9
	s_delay_alu instid0(VALU_DEP_3)
	v_dual_mov_b32 v19, v11 :: v_dual_mov_b32 v13, v21
	ds_load_b128 v[4:7], v204 offset:16
	ds_store_2addr_b64 v205, v[14:15], v[16:17] offset1:67
	ds_store_2addr_b64 v205, v[18:19], v[12:13] offset0:134 offset1:201
	s_wait_dscnt 0x0
	s_barrier_signal -1
	s_barrier_wait -1
	ds_load_2addr_b64 v[20:23], v206 offset1:1
	ds_load_2addr_b64 v[16:19], v206 offset0:2 offset1:3
	v_add_nc_u64_e32 v[8:9], v[124:125], v[66:67]
	s_wait_dscnt 0x0
	s_barrier_signal -1
	s_barrier_wait -1
	s_cbranch_vccnz .LBB2_127
; %bb.120:                              ;   in Loop: Header=BB2_107 Depth=2
	v_mov_b64_e32 v[166:167], 0
	v_mov_b64_e32 v[168:169], 0
	s_mov_b32 s80, exec_lo
	v_cmpx_gt_i32_e64 s79, v223
	s_cbranch_execz .LBB2_122
; %bb.121:                              ;   in Loop: Header=BB2_107 Depth=2
	global_load_b64 v[168:169], v[8:9], off
.LBB2_122:                              ;   in Loop: Header=BB2_107 Depth=2
	s_wait_xcnt 0x0
	s_or_b32 exec_lo, exec_lo, s80
	s_delay_alu instid0(SALU_CYCLE_1)
	s_mov_b32 s80, exec_lo
	v_cmpx_gt_i32_e64 s79, v224
	s_cbranch_execz .LBB2_124
; %bb.123:                              ;   in Loop: Header=BB2_107 Depth=2
	v_add_nc_u64_e32 v[10:11], v[126:127], v[66:67]
	global_load_b64 v[166:167], v[10:11], off
.LBB2_124:                              ;   in Loop: Header=BB2_107 Depth=2
	s_wait_xcnt 0x0
	s_or_b32 exec_lo, exec_lo, s80
	v_mov_b64_e32 v[170:171], 0
	s_mov_b32 s80, exec_lo
	v_cmpx_gt_i32_e64 s79, v225
	s_cbranch_execz .LBB2_126
; %bb.125:                              ;   in Loop: Header=BB2_107 Depth=2
	v_add_nc_u64_e32 v[10:11], v[128:129], v[66:67]
	global_load_b64 v[170:171], v[10:11], off
.LBB2_126:                              ;   in Loop: Header=BB2_107 Depth=2
	s_wait_xcnt 0x0
	s_or_b32 exec_lo, exec_lo, s80
	v_cmp_gt_i32_e64 s80, s79, v226
	s_branch .LBB2_129
.LBB2_127:                              ;   in Loop: Header=BB2_107 Depth=2
	s_mov_b32 s80, 0
                                        ; implicit-def: $vgpr170_vgpr171
                                        ; implicit-def: $vgpr166_vgpr167
                                        ; implicit-def: $vgpr168_vgpr169
	s_cbranch_execz .LBB2_129
; %bb.128:                              ;   in Loop: Header=BB2_107 Depth=2
	v_add_nc_u64_e32 v[10:11], v[126:127], v[66:67]
	v_add_nc_u64_e32 v[12:13], v[130:131], v[66:67]
	s_or_b32 s80, s80, exec_lo
	s_wait_loadcnt 0x0
	global_load_b64 v[168:169], v[8:9], off
	global_load_b64 v[166:167], v[10:11], off
	;; [unrolled: 1-line block ×3, first 2 shown]
.LBB2_129:                              ;   in Loop: Header=BB2_107 Depth=2
	v_dual_mov_b32 v172, 0 :: v_dual_mov_b32 v62, 0
	s_wait_xcnt 0x0
	s_delay_alu instid0(VALU_DEP_2)
	s_and_saveexec_b32 s81, s80
	s_cbranch_execz .LBB2_131
; %bb.130:                              ;   in Loop: Header=BB2_107 Depth=2
	v_add_nc_u64_e32 v[8:9], v[132:133], v[66:67]
	global_load_b64 v[172:173], v[8:9], off
	s_wait_loadcnt 0x0
	v_mov_b32_e32 v62, v173
.LBB2_131:                              ;   in Loop: Header=BB2_107 Depth=2
	s_wait_xcnt 0x0
	s_or_b32 exec_lo, exec_lo, s81
	ds_load_b64 v[8:9], v214
	v_cmp_ne_u32_e32 vcc_lo, 1, v40
	s_and_b32 vcc_lo, exec_lo, vcc_lo
	s_wait_loadcnt_dscnt 0x0
	v_pk_mul_f32 v[10:11], v[168:169], v[8:9] op_sel:[1,1] op_sel_hi:[1,0]
	v_pk_mul_f32 v[12:13], v[166:167], v[8:9] op_sel:[1,1] op_sel_hi:[1,0]
	;; [unrolled: 1-line block ×4, first 2 shown]
	s_delay_alu instid0(VALU_DEP_4)
	v_pk_fma_f32 v[26:27], v[168:169], v[8:9], v[10:11]
	v_pk_fma_f32 v[10:11], v[168:169], v[8:9], v[10:11] op_sel_hi:[0,1,1] neg_lo:[0,0,1] neg_hi:[0,0,1]
	v_pk_fma_f32 v[28:29], v[166:167], v[8:9], v[12:13]
	v_pk_fma_f32 v[12:13], v[166:167], v[8:9], v[12:13] op_sel_hi:[0,1,1] neg_lo:[0,0,1] neg_hi:[0,0,1]
	;; [unrolled: 2-line block ×3, first 2 shown]
	v_pk_fma_f32 v[32:33], v[172:173], v[8:9], v[24:25] op_sel_hi:[0,1,1] neg_lo:[0,0,1] neg_hi:[0,0,1]
	v_pk_fma_f32 v[24:25], v[172:173], v[8:9], v[24:25]
	v_dual_mov_b32 v27, v11 :: v_dual_mov_b32 v29, v13
	s_delay_alu instid0(VALU_DEP_3)
	v_dual_mov_b32 v31, v15 :: v_dual_mov_b32 v25, v33
	ds_load_b128 v[12:15], v204 offset:128
	ds_load_b128 v[8:11], v204 offset:144
	ds_store_2addr_b64 v205, v[26:27], v[28:29] offset1:67
	ds_store_2addr_b64 v205, v[30:31], v[24:25] offset0:134 offset1:201
	s_wait_dscnt 0x0
	s_barrier_signal -1
	s_barrier_wait -1
	ds_load_2addr_b64 v[36:39], v206 offset1:1
	ds_load_2addr_b64 v[32:35], v206 offset0:2 offset1:3
	v_add_nc_u64_e32 v[24:25], v[134:135], v[66:67]
	s_wait_dscnt 0x0
	s_barrier_signal -1
	s_barrier_wait -1
	s_cbranch_vccnz .LBB2_139
; %bb.132:                              ;   in Loop: Header=BB2_107 Depth=2
	v_mov_b64_e32 v[174:175], 0
	v_mov_b64_e32 v[176:177], 0
	s_mov_b32 s80, exec_lo
	v_cmpx_gt_i32_e64 s79, v227
	s_cbranch_execz .LBB2_134
; %bb.133:                              ;   in Loop: Header=BB2_107 Depth=2
	global_load_b64 v[176:177], v[24:25], off
.LBB2_134:                              ;   in Loop: Header=BB2_107 Depth=2
	s_wait_xcnt 0x0
	s_or_b32 exec_lo, exec_lo, s80
	s_delay_alu instid0(SALU_CYCLE_1)
	s_mov_b32 s80, exec_lo
	v_cmpx_gt_i32_e64 s79, v228
	s_cbranch_execz .LBB2_136
; %bb.135:                              ;   in Loop: Header=BB2_107 Depth=2
	v_add_nc_u64_e32 v[26:27], v[136:137], v[66:67]
	global_load_b64 v[174:175], v[26:27], off
.LBB2_136:                              ;   in Loop: Header=BB2_107 Depth=2
	s_wait_xcnt 0x0
	s_or_b32 exec_lo, exec_lo, s80
	v_mov_b64_e32 v[178:179], 0
	s_mov_b32 s80, exec_lo
	v_cmpx_gt_i32_e64 s79, v229
	s_cbranch_execz .LBB2_138
; %bb.137:                              ;   in Loop: Header=BB2_107 Depth=2
	v_add_nc_u64_e32 v[26:27], v[138:139], v[66:67]
	global_load_b64 v[178:179], v[26:27], off
.LBB2_138:                              ;   in Loop: Header=BB2_107 Depth=2
	s_wait_xcnt 0x0
	s_or_b32 exec_lo, exec_lo, s80
	v_cmp_gt_i32_e64 s80, s79, v230
	s_branch .LBB2_141
.LBB2_139:                              ;   in Loop: Header=BB2_107 Depth=2
	s_mov_b32 s80, 0
                                        ; implicit-def: $vgpr178_vgpr179
                                        ; implicit-def: $vgpr174_vgpr175
                                        ; implicit-def: $vgpr176_vgpr177
	s_cbranch_execz .LBB2_141
; %bb.140:                              ;   in Loop: Header=BB2_107 Depth=2
	v_add_nc_u64_e32 v[26:27], v[136:137], v[66:67]
	v_add_nc_u64_e32 v[28:29], v[140:141], v[66:67]
	s_or_b32 s80, s80, exec_lo
	s_wait_loadcnt 0x0
	global_load_b64 v[176:177], v[24:25], off
	global_load_b64 v[174:175], v[26:27], off
	global_load_b64 v[178:179], v[28:29], off
.LBB2_141:                              ;   in Loop: Header=BB2_107 Depth=2
	v_dual_mov_b32 v180, 0 :: v_dual_mov_b32 v182, 0
	s_wait_xcnt 0x0
	s_delay_alu instid0(VALU_DEP_2)
	s_and_saveexec_b32 s81, s80
	s_cbranch_execz .LBB2_143
; %bb.142:                              ;   in Loop: Header=BB2_107 Depth=2
	v_add_nc_u64_e32 v[24:25], v[142:143], v[66:67]
	global_load_b64 v[180:181], v[24:25], off
	s_wait_loadcnt 0x0
	v_mov_b32_e32 v182, v181
.LBB2_143:                              ;   in Loop: Header=BB2_107 Depth=2
	s_wait_xcnt 0x0
	s_or_b32 exec_lo, exec_lo, s81
	ds_load_b64 v[24:25], v214
	ds_load_b128 v[28:31], v204 offset:256
	v_cmp_ne_u32_e32 vcc_lo, 1, v40
	v_add_nc_u64_e32 v[40:41], v[144:145], v[66:67]
	s_and_b32 vcc_lo, exec_lo, vcc_lo
	s_wait_loadcnt_dscnt 0x1
	v_pk_mul_f32 v[26:27], v[176:177], v[24:25] op_sel:[1,0]
	v_pk_mul_f32 v[42:43], v[174:175], v[24:25] op_sel:[1,0]
	;; [unrolled: 1-line block ×3, first 2 shown]
	v_pk_mul_f32 v[46:47], v[182:183], v[24:25] op_sel_hi:[0,1]
	s_delay_alu instid0(VALU_DEP_4)
	v_pk_fma_f32 v[48:49], v[176:177], v[24:25], v[26:27] op_sel:[0,0,1] op_sel_hi:[1,1,0]
	v_pk_fma_f32 v[26:27], v[176:177], v[24:25], v[26:27] op_sel:[0,0,1] op_sel_hi:[0,1,0] neg_lo:[0,0,1] neg_hi:[0,0,1]
	v_pk_fma_f32 v[50:51], v[174:175], v[24:25], v[42:43] op_sel:[0,0,1] op_sel_hi:[1,1,0]
	v_pk_fma_f32 v[42:43], v[174:175], v[24:25], v[42:43] op_sel:[0,0,1] op_sel_hi:[0,1,0] neg_lo:[0,0,1] neg_hi:[0,0,1]
	v_pk_fma_f32 v[52:53], v[178:179], v[24:25], v[44:45] op_sel:[0,0,1] op_sel_hi:[1,1,0]
	v_pk_fma_f32 v[44:45], v[178:179], v[24:25], v[44:45] op_sel:[0,0,1] op_sel_hi:[0,1,0] neg_lo:[0,0,1] neg_hi:[0,0,1]
	v_pk_fma_f32 v[54:55], v[180:181], v[24:25], v[46:47] op_sel:[0,0,1] op_sel_hi:[0,1,0] neg_lo:[0,0,1] neg_hi:[0,0,1]
	v_pk_fma_f32 v[46:47], v[180:181], v[24:25], v[46:47] op_sel:[0,0,1] op_sel_hi:[1,1,0]
	v_dual_mov_b32 v49, v27 :: v_dual_mov_b32 v51, v43
	s_delay_alu instid0(VALU_DEP_3)
	v_dual_mov_b32 v53, v45 :: v_dual_mov_b32 v47, v55
	ds_load_b128 v[24:27], v204 offset:272
	ds_store_2addr_b64 v205, v[48:49], v[50:51] offset1:67
	ds_store_2addr_b64 v205, v[52:53], v[46:47] offset0:134 offset1:201
	s_wait_dscnt 0x0
	s_barrier_signal -1
	s_barrier_wait -1
	ds_load_2addr_b64 v[52:55], v206 offset1:1
	ds_load_2addr_b64 v[48:51], v206 offset0:2 offset1:3
	s_wait_dscnt 0x0
	s_barrier_signal -1
	s_barrier_wait -1
	s_cbranch_vccnz .LBB2_151
; %bb.144:                              ;   in Loop: Header=BB2_107 Depth=2
	v_mov_b64_e32 v[184:185], 0
	v_mov_b64_e32 v[186:187], 0
	s_mov_b32 s80, exec_lo
	v_cmpx_gt_i32_e64 s79, v231
	s_cbranch_execz .LBB2_146
; %bb.145:                              ;   in Loop: Header=BB2_107 Depth=2
	global_load_b64 v[186:187], v[40:41], off
.LBB2_146:                              ;   in Loop: Header=BB2_107 Depth=2
	s_wait_xcnt 0x0
	s_or_b32 exec_lo, exec_lo, s80
	s_delay_alu instid0(SALU_CYCLE_1)
	s_mov_b32 s80, exec_lo
	v_cmpx_gt_i32_e64 s79, v232
	s_cbranch_execz .LBB2_148
; %bb.147:                              ;   in Loop: Header=BB2_107 Depth=2
	v_add_nc_u64_e32 v[42:43], v[146:147], v[66:67]
	global_load_b64 v[184:185], v[42:43], off
.LBB2_148:                              ;   in Loop: Header=BB2_107 Depth=2
	s_wait_xcnt 0x0
	s_or_b32 exec_lo, exec_lo, s80
	v_mov_b64_e32 v[188:189], 0
	s_mov_b32 s80, exec_lo
	v_cmpx_gt_i32_e64 s79, v233
	s_cbranch_execz .LBB2_150
; %bb.149:                              ;   in Loop: Header=BB2_107 Depth=2
	v_add_nc_u64_e32 v[42:43], v[148:149], v[66:67]
	global_load_b64 v[188:189], v[42:43], off
.LBB2_150:                              ;   in Loop: Header=BB2_107 Depth=2
	s_wait_xcnt 0x0
	s_or_b32 exec_lo, exec_lo, s80
	v_cmp_gt_i32_e64 s80, s79, v57
	s_branch .LBB2_153
.LBB2_151:                              ;   in Loop: Header=BB2_107 Depth=2
	s_mov_b32 s80, 0
                                        ; implicit-def: $vgpr188_vgpr189
                                        ; implicit-def: $vgpr184_vgpr185
                                        ; implicit-def: $vgpr186_vgpr187
	s_cbranch_execz .LBB2_153
; %bb.152:                              ;   in Loop: Header=BB2_107 Depth=2
	v_add_nc_u64_e32 v[42:43], v[146:147], v[66:67]
	v_add_nc_u64_e32 v[44:45], v[150:151], v[66:67]
	s_or_b32 s80, s80, exec_lo
	s_wait_loadcnt 0x0
	global_load_b64 v[186:187], v[40:41], off
	global_load_b64 v[184:185], v[42:43], off
	global_load_b64 v[188:189], v[44:45], off
.LBB2_153:                              ;   in Loop: Header=BB2_107 Depth=2
	v_dual_mov_b32 v190, 0 :: v_dual_mov_b32 v192, 0
	s_wait_xcnt 0x0
	s_delay_alu instid0(VALU_DEP_2)
	s_and_saveexec_b32 s81, s80
	s_cbranch_execz .LBB2_155
; %bb.154:                              ;   in Loop: Header=BB2_107 Depth=2
	v_add_nc_u64_e32 v[40:41], v[152:153], v[66:67]
	global_load_b64 v[190:191], v[40:41], off
	s_wait_loadcnt 0x0
	v_mov_b32_e32 v192, v191
.LBB2_155:                              ;   in Loop: Header=BB2_107 Depth=2
	s_wait_xcnt 0x0
	s_or_b32 exec_lo, exec_lo, s81
	ds_load_b64 v[44:45], v214
	ds_load_b128 v[40:43], v204 offset:384
	v_pk_add_f32 v[36:37], v[36:37], 0 op_sel_hi:[1,0]
	v_pk_add_f32 v[20:21], v[20:21], 0 op_sel_hi:[1,0]
	;; [unrolled: 1-line block ×3, first 2 shown]
	v_cmp_gt_i32_e32 vcc_lo, s79, v194
	s_delay_alu instid0(VALU_DEP_4) | instskip(NEXT) | instid1(VALU_DEP_4)
	v_pk_add_f32 v[36:37], v[36:37], v[38:39]
	v_pk_add_f32 v[20:21], v[20:21], v[22:23]
	s_delay_alu instid0(VALU_DEP_4) | instskip(SKIP_1) | instid1(VALU_DEP_3)
	v_pk_add_f32 v[52:53], v[52:53], v[54:55]
	s_or_b32 s71, s71, vcc_lo
	v_pk_add_f32 v[32:33], v[36:37], v[32:33]
	s_delay_alu instid0(VALU_DEP_3) | instskip(NEXT) | instid1(VALU_DEP_3)
	v_pk_add_f32 v[16:17], v[20:21], v[16:17]
	v_pk_add_f32 v[38:39], v[52:53], v[48:49]
	s_and_b32 s79, s21, s71
	s_delay_alu instid0(VALU_DEP_3) | instskip(NEXT) | instid1(VALU_DEP_3)
	v_pk_add_f32 v[32:33], v[32:33], v[34:35]
	v_pk_add_f32 v[16:17], v[16:17], v[18:19]
	s_wait_loadcnt_dscnt 0x1
	v_pk_mul_f32 v[46:47], v[186:187], v[44:45] op_sel:[1,0]
	v_pk_mul_f32 v[236:237], v[184:185], v[44:45] op_sel:[1,0]
	;; [unrolled: 1-line block ×3, first 2 shown]
	v_pk_mul_f32 v[240:241], v[192:193], v[44:45] op_sel_hi:[0,1]
	s_delay_alu instid0(VALU_DEP_4)
	v_pk_fma_f32 v[242:243], v[186:187], v[44:45], v[46:47] op_sel:[0,0,1] op_sel_hi:[1,1,0]
	v_pk_fma_f32 v[46:47], v[186:187], v[44:45], v[46:47] op_sel:[0,0,1] op_sel_hi:[0,1,0] neg_lo:[0,0,1] neg_hi:[0,0,1]
	v_pk_fma_f32 v[244:245], v[184:185], v[44:45], v[236:237] op_sel:[0,0,1] op_sel_hi:[1,1,0]
	v_pk_fma_f32 v[236:237], v[184:185], v[44:45], v[236:237] op_sel:[0,0,1] op_sel_hi:[0,1,0] neg_lo:[0,0,1] neg_hi:[0,0,1]
	;; [unrolled: 2-line block ×3, first 2 shown]
	v_pk_fma_f32 v[248:249], v[190:191], v[44:45], v[240:241] op_sel:[0,0,1] op_sel_hi:[0,1,0] neg_lo:[0,0,1] neg_hi:[0,0,1]
	v_pk_fma_f32 v[240:241], v[190:191], v[44:45], v[240:241] op_sel:[0,0,1] op_sel_hi:[1,1,0]
	v_dual_mov_b32 v243, v47 :: v_dual_mov_b32 v245, v237
	s_delay_alu instid0(VALU_DEP_3)
	v_dual_mov_b32 v247, v239 :: v_dual_mov_b32 v241, v249
	ds_load_b128 v[44:47], v204 offset:400
	ds_store_2addr_b64 v205, v[242:243], v[244:245] offset1:67
	ds_store_2addr_b64 v205, v[246:247], v[240:241] offset0:134 offset1:201
	s_wait_dscnt 0x0
	s_barrier_signal -1
	s_barrier_wait -1
	ds_load_2addr_b64 v[236:239], v206 offset1:1
	ds_load_2addr_b64 v[240:243], v206 offset0:2 offset1:3
	s_wait_dscnt 0x0
	s_barrier_signal -1
	s_barrier_wait -1
	v_pk_add_f32 v[236:237], v[236:237], 0 op_sel_hi:[1,0]
	s_delay_alu instid0(VALU_DEP_1) | instskip(NEXT) | instid1(VALU_DEP_1)
	v_pk_add_f32 v[22:23], v[236:237], v[238:239]
	v_pk_add_f32 v[20:21], v[22:23], v[240:241]
	;; [unrolled: 1-line block ×3, first 2 shown]
	s_delay_alu instid0(VALU_DEP_2)
	v_pk_add_f32 v[18:19], v[20:21], v[242:243]
	ds_store_2addr_b64 v211, v[16:17], v[32:33] offset1:16
	ds_store_2addr_b64 v211, v[22:23], v[18:19] offset0:32 offset1:48
	s_wait_dscnt 0x0
	s_barrier_signal -1
	s_barrier_wait -1
	s_and_saveexec_b32 s71, s79
	s_cbranch_execz .LBB2_157
; %bb.156:                              ;   in Loop: Header=BB2_107 Depth=2
	ds_load_b64 v[36:37], v207
	ds_load_2addr_b64 v[16:19], v207 offset0:1 offset1:2
	ds_load_2addr_b64 v[20:23], v207 offset0:3 offset1:4
	;; [unrolled: 1-line block ×3, first 2 shown]
	s_wait_dscnt 0x2
	v_dual_add_f32 v16, v16, v36 :: v_dual_add_f32 v17, v17, v37
	s_delay_alu instid0(VALU_DEP_1) | instskip(SKIP_3) | instid1(VALU_DEP_1)
	v_dual_add_f32 v36, v18, v16 :: v_dual_add_f32 v37, v19, v17
	ds_load_2addr_b64 v[16:19], v207 offset0:7 offset1:8
	s_wait_dscnt 0x2
	v_dual_add_f32 v20, v36, v20 :: v_dual_add_f32 v21, v37, v21
	v_dual_add_f32 v36, v20, v22 :: v_dual_add_f32 v37, v21, v23
	ds_load_2addr_b64 v[20:23], v207 offset0:9 offset1:10
	s_wait_dscnt 0x2
	v_pk_add_f32 v[32:33], v[36:37], v[32:33]
	s_delay_alu instid0(VALU_DEP_1) | instskip(SKIP_3) | instid1(VALU_DEP_1)
	v_pk_add_f32 v[36:37], v[32:33], v[34:35]
	ds_load_2addr_b64 v[32:35], v207 offset0:11 offset1:12
	s_wait_dscnt 0x2
	v_pk_add_f32 v[16:17], v[36:37], v[16:17]
	v_pk_add_f32 v[16:17], v[16:17], v[18:19]
	s_wait_dscnt 0x1
	s_delay_alu instid0(VALU_DEP_1)
	v_pk_add_f32 v[20:21], v[16:17], v[20:21]
	ds_load_2addr_b64 v[16:19], v207 offset0:13 offset1:14
	v_pk_add_f32 v[20:21], v[20:21], v[22:23]
	ds_load_b64 v[22:23], v208
	s_wait_dscnt 0x2
	v_pk_add_f32 v[20:21], v[20:21], v[32:33]
	s_delay_alu instid0(VALU_DEP_1) | instskip(SKIP_1) | instid1(VALU_DEP_1)
	v_pk_add_f32 v[20:21], v[20:21], v[34:35]
	s_wait_dscnt 0x1
	v_pk_add_f32 v[16:17], v[20:21], v[16:17]
	s_delay_alu instid0(VALU_DEP_1) | instskip(SKIP_1) | instid1(VALU_DEP_1)
	v_pk_add_f32 v[16:17], v[16:17], v[18:19]
	s_wait_dscnt 0x0
	v_pk_add_f32 v[16:17], v[16:17], v[22:23]
	global_store_b64 v235, v[16:17], s[22:23] scale_offset
.LBB2_157:                              ;   in Loop: Header=BB2_107 Depth=2
	s_wait_xcnt 0x0
	s_or_b32 exec_lo, exec_lo, s71
	v_dual_mov_b32 v16, v158 :: v_dual_mov_b32 v17, v158
	v_dual_mov_b32 v158, v159 :: v_dual_mov_b32 v18, v156
	;; [unrolled: 1-line block ×4, first 2 shown]
	s_delay_alu instid0(VALU_DEP_3) | instskip(SKIP_1) | instid1(VALU_DEP_4)
	v_pk_mul_f32 v[20:21], v[158:159], v[0:1]
	v_dual_mov_b32 v160, v161 :: v_dual_mov_b32 v163, v162
	v_pk_mul_f32 v[34:35], v[156:157], v[2:3]
	v_dual_mov_b32 v191, v190 :: v_dual_mov_b32 v193, v192
	s_delay_alu instid0(VALU_DEP_4)
	v_pk_fma_f32 v[32:33], v[16:17], v[0:1], v[20:21] op_sel:[0,0,1] op_sel_hi:[1,1,0]
	v_pk_fma_f32 v[0:1], v[16:17], v[0:1], v[20:21] op_sel:[0,0,1] op_sel_hi:[1,1,0] neg_lo:[0,0,1] neg_hi:[0,0,1]
	v_mov_b32_e32 v165, v164
	v_pk_fma_f32 v[16:17], v[18:19], v[2:3], v[34:35] op_sel:[0,0,1] op_sel_hi:[1,1,0]
	v_pk_mul_f32 v[20:21], v[160:161], v[4:5]
	v_mov_b32_e32 v1, v33
	v_pk_fma_f32 v[2:3], v[18:19], v[2:3], v[34:35] op_sel:[0,0,1] op_sel_hi:[1,1,0] neg_lo:[0,0,1] neg_hi:[0,0,1]
	v_pk_mul_f32 v[32:33], v[164:165], v[6:7]
	v_mov_b32_e32 v3, v17
	v_pk_fma_f32 v[16:17], v[22:23], v[4:5], v[20:21] op_sel:[0,0,1] op_sel_hi:[1,1,0]
	v_pk_add_f32 v[0:1], v[112:113], v[0:1]
	v_pk_fma_f32 v[4:5], v[22:23], v[4:5], v[20:21] op_sel:[0,0,1] op_sel_hi:[1,1,0] neg_lo:[0,0,1] neg_hi:[0,0,1]
	v_pk_fma_f32 v[18:19], v[162:163], v[6:7], v[32:33] op_sel:[0,0,1] op_sel_hi:[1,1,0]
	s_delay_alu instid0(VALU_DEP_4) | instskip(NEXT) | instid1(VALU_DEP_4)
	v_dual_mov_b32 v16, v15 :: v_dual_mov_b32 v5, v17
	v_pk_add_f32 v[0:1], v[0:1], v[2:3]
	v_pk_fma_f32 v[2:3], v[162:163], v[6:7], v[32:33] op_sel:[0,0,1] op_sel_hi:[1,1,0] neg_lo:[0,0,1] neg_hi:[0,0,1]
	v_pk_mul_f32 v[6:7], v[168:169], v[12:13] op_sel:[1,1] op_sel_hi:[0,1]
	v_mov_b32_e32 v3, v19
	v_pk_mul_f32 v[16:17], v[166:167], v[16:17] op_sel:[1,0] op_sel_hi:[0,0]
	v_pk_add_f32 v[0:1], v[0:1], v[4:5]
	v_add_nc_u64_e32 v[114:115], s[68:69], v[114:115]
	v_pk_fma_f32 v[4:5], v[168:169], v[12:13], v[6:7] op_sel_hi:[1,0,1]
	v_dual_mov_b32 v173, v62 :: v_dual_mov_b32 v4, v176
	s_delay_alu instid0(VALU_DEP_4) | instskip(SKIP_1) | instid1(VALU_DEP_4)
	v_pk_add_f32 v[0:1], v[0:1], v[2:3]
	v_pk_fma_f32 v[2:3], v[168:169], v[12:13], v[6:7] neg_lo:[0,0,1] neg_hi:[0,0,1]
	v_mov_b32_e32 v3, v5
	v_pk_fma_f32 v[6:7], v[166:167], v[14:15], v[16:17] op_sel_hi:[1,0,1]
	v_pk_fma_f32 v[12:13], v[166:167], v[14:15], v[16:17] neg_lo:[0,0,1] neg_hi:[0,0,1]
	v_dual_mov_b32 v5, v176 :: v_dual_mov_b32 v176, v177
	s_delay_alu instid0(VALU_DEP_4) | instskip(SKIP_3) | instid1(VALU_DEP_3)
	v_pk_add_f32 v[0:1], v[0:1], v[2:3]
	v_pk_mul_f32 v[2:3], v[170:171], v[8:9] op_sel:[1,1] op_sel_hi:[0,1]
	v_dual_mov_b32 v13, v7 :: v_dual_mov_b32 v6, v11
	v_dual_mov_b32 v14, v174 :: v_dual_mov_b32 v181, v180
	v_pk_fma_f32 v[16:17], v[170:171], v[8:9], v[2:3] op_sel_hi:[1,0,1]
	v_pk_fma_f32 v[2:3], v[170:171], v[8:9], v[2:3] neg_lo:[0,0,1] neg_hi:[0,0,1]
	v_mov_b32_e32 v15, v174
	v_pk_add_f32 v[0:1], v[0:1], v[12:13]
	v_pk_mul_f32 v[6:7], v[172:173], v[6:7] op_sel:[1,0] op_sel_hi:[0,0]
	v_dual_mov_b32 v3, v17 :: v_dual_mov_b32 v174, v175
	v_mov_b32_e32 v8, v178
	v_add_nc_u64_e32 v[116:117], s[68:69], v[116:117]
	s_delay_alu instid0(VALU_DEP_4) | instskip(NEXT) | instid1(VALU_DEP_4)
	v_pk_fma_f32 v[12:13], v[172:173], v[10:11], v[6:7] op_sel_hi:[1,0,1]
	v_pk_add_f32 v[0:1], v[0:1], v[2:3]
	v_pk_mul_f32 v[2:3], v[176:177], v[28:29]
	v_pk_fma_f32 v[6:7], v[172:173], v[10:11], v[6:7] neg_lo:[0,0,1] neg_hi:[0,0,1]
	s_delay_alu instid0(VALU_DEP_4) | instskip(SKIP_1) | instid1(VALU_DEP_4)
	v_dual_mov_b32 v9, v178 :: v_dual_mov_b32 v7, v13
	v_mov_b32_e32 v178, v179
	v_pk_fma_f32 v[10:11], v[4:5], v[28:29], v[2:3] op_sel:[0,0,1] op_sel_hi:[1,1,0]
	v_pk_fma_f32 v[2:3], v[4:5], v[28:29], v[2:3] op_sel:[0,0,1] op_sel_hi:[1,1,0] neg_lo:[0,0,1] neg_hi:[0,0,1]
	v_mov_b32_e32 v183, v182
	v_pk_add_f32 v[0:1], v[0:1], v[6:7]
	v_pk_mul_f32 v[6:7], v[174:175], v[30:31]
	v_dual_mov_b32 v3, v11 :: v_dual_mov_b32 v4, v186
	v_mov_b32_e32 v5, v186
	v_add_nc_u64_e32 v[118:119], s[68:69], v[118:119]
	s_delay_alu instid0(VALU_DEP_4) | instskip(NEXT) | instid1(VALU_DEP_4)
	v_pk_fma_f32 v[10:11], v[14:15], v[30:31], v[6:7] op_sel:[0,0,1] op_sel_hi:[1,1,0]
	v_pk_add_f32 v[0:1], v[0:1], v[2:3]
	v_pk_mul_f32 v[2:3], v[178:179], v[24:25]
	v_pk_fma_f32 v[6:7], v[14:15], v[30:31], v[6:7] op_sel:[0,0,1] op_sel_hi:[1,1,0] neg_lo:[0,0,1] neg_hi:[0,0,1]
	s_delay_alu instid0(VALU_DEP_4) | instskip(SKIP_1) | instid1(VALU_DEP_4)
	v_dual_mov_b32 v186, v187 :: v_dual_mov_b32 v7, v11
	v_dual_mov_b32 v10, v184 :: v_dual_mov_b32 v11, v184
	v_pk_fma_f32 v[12:13], v[8:9], v[24:25], v[2:3] op_sel:[0,0,1] op_sel_hi:[1,1,0]
	v_pk_fma_f32 v[2:3], v[8:9], v[24:25], v[2:3] op_sel:[0,0,1] op_sel_hi:[1,1,0] neg_lo:[0,0,1] neg_hi:[0,0,1]
	v_mov_b32_e32 v184, v185
	v_pk_add_f32 v[0:1], v[0:1], v[6:7]
	v_pk_mul_f32 v[6:7], v[182:183], v[26:27]
	v_dual_mov_b32 v3, v13 :: v_dual_mov_b32 v8, v188
	v_mov_b32_e32 v9, v188
	v_add_nc_u64_e32 v[120:121], s[68:69], v[120:121]
	s_delay_alu instid0(VALU_DEP_4) | instskip(NEXT) | instid1(VALU_DEP_4)
	v_pk_fma_f32 v[12:13], v[180:181], v[26:27], v[6:7] op_sel:[0,0,1] op_sel_hi:[1,1,0]
	v_pk_add_f32 v[0:1], v[0:1], v[2:3]
	v_pk_fma_f32 v[2:3], v[180:181], v[26:27], v[6:7] op_sel:[0,0,1] op_sel_hi:[1,1,0] neg_lo:[0,0,1] neg_hi:[0,0,1]
	v_pk_mul_f32 v[6:7], v[186:187], v[40:41]
	s_delay_alu instid0(VALU_DEP_4) | instskip(SKIP_2) | instid1(VALU_DEP_4)
	v_dual_mov_b32 v188, v189 :: v_dual_mov_b32 v3, v13
	v_pk_mul_f32 v[12:13], v[184:185], v[42:43]
	v_add_nc_u64_e32 v[122:123], s[68:69], v[122:123]
	v_pk_fma_f32 v[14:15], v[4:5], v[40:41], v[6:7] op_sel:[0,0,1] op_sel_hi:[1,1,0]
	v_pk_fma_f32 v[4:5], v[4:5], v[40:41], v[6:7] op_sel:[0,0,1] op_sel_hi:[1,1,0] neg_lo:[0,0,1] neg_hi:[0,0,1]
	v_pk_add_f32 v[0:1], v[0:1], v[2:3]
	v_pk_fma_f32 v[2:3], v[10:11], v[42:43], v[12:13] op_sel:[0,0,1] op_sel_hi:[1,1,0]
	v_pk_mul_f32 v[16:17], v[188:189], v[44:45]
	v_mov_b32_e32 v5, v15
	v_pk_fma_f32 v[6:7], v[10:11], v[42:43], v[12:13] op_sel:[0,0,1] op_sel_hi:[1,1,0] neg_lo:[0,0,1] neg_hi:[0,0,1]
	v_pk_mul_f32 v[10:11], v[192:193], v[46:47]
	v_mov_b32_e32 v7, v3
	v_pk_fma_f32 v[2:3], v[8:9], v[44:45], v[16:17] op_sel:[0,0,1] op_sel_hi:[1,1,0]
	v_pk_add_f32 v[0:1], v[0:1], v[4:5]
	v_pk_fma_f32 v[4:5], v[8:9], v[44:45], v[16:17] op_sel:[0,0,1] op_sel_hi:[1,1,0] neg_lo:[0,0,1] neg_hi:[0,0,1]
	v_add_nc_u64_e32 v[124:125], s[68:69], v[124:125]
	v_add_nc_u64_e32 v[126:127], s[68:69], v[126:127]
	v_mov_b32_e32 v5, v3
	v_pk_fma_f32 v[2:3], v[190:191], v[46:47], v[10:11] op_sel:[0,0,1] op_sel_hi:[1,1,0]
	v_pk_add_f32 v[0:1], v[0:1], v[6:7]
	v_pk_fma_f32 v[6:7], v[190:191], v[46:47], v[10:11] op_sel:[0,0,1] op_sel_hi:[1,1,0] neg_lo:[0,0,1] neg_hi:[0,0,1]
	v_add_nc_u64_e32 v[128:129], s[68:69], v[128:129]
	v_add_nc_u64_e32 v[130:131], s[68:69], v[130:131]
	v_mov_b32_e32 v7, v3
	v_pk_add_f32 v[0:1], v[0:1], v[4:5]
	v_add_nc_u64_e32 v[132:133], s[68:69], v[132:133]
	v_add_nc_u64_e32 v[134:135], s[68:69], v[134:135]
	;; [unrolled: 1-line block ×11, first 2 shown]
	v_pk_add_f32 v[112:113], v[0:1], v[6:7]
	v_add_nc_u32_e32 v235, 64, v235
	s_add_co_i32 s71, s78, 1
	s_add_co_i32 s78, s78, 2
	s_add_co_i32 s70, s70, s75
	s_cmp_ge_u32 s78, s48
	s_wait_storecnt 0x0
	s_barrier_signal -1
	s_barrier_wait -1
	s_cbranch_scc1 .LBB2_159
; %bb.158:                              ;   in Loop: Header=BB2_107 Depth=2
	s_mov_b32 s78, s71
	s_delay_alu instid0(SALU_CYCLE_1)
	s_cmp_eq_u32 s51, s78
	s_cselect_b32 s79, s72, 0
	s_and_saveexec_b32 s80, s0
	s_cbranch_execnz .LBB2_103
	s_branch .LBB2_107
.LBB2_159:                              ;   in Loop: Header=BB2_4 Depth=1
	ds_store_b64 v209, v[112:113]
	s_wait_dscnt 0x0
	s_barrier_signal -1
	s_barrier_wait -1
	s_and_saveexec_b32 s70, s76
	s_cbranch_execz .LBB2_2
; %bb.160:                              ;   in Loop: Header=BB2_4 Depth=1
	ds_load_2addr_b64 v[0:3], v195 offset1:67
	ds_load_2addr_b64 v[4:7], v195 offset0:134 offset1:201
	s_wait_dscnt 0x1
	v_pk_add_f32 v[0:1], v[2:3], v[0:1]
	v_lshl_add_u64 v[2:3], v[58:59], 3, s[22:23]
	s_wait_dscnt 0x0
	s_delay_alu instid0(VALU_DEP_2) | instskip(NEXT) | instid1(VALU_DEP_1)
	v_pk_add_f32 v[0:1], v[4:5], v[0:1]
	v_pk_add_f32 v[0:1], v[0:1], v[6:7]
	global_store_b64 v[2:3], v[0:1], off
	s_branch .LBB2_2
.LBB2_161:                              ;   in Loop: Header=BB2_4 Depth=1
	ds_load_b64 v[4:5], v213
	s_mov_b32 s22, exec_lo
	s_wait_dscnt 0x0
	v_xor_b32_e32 v2, 0x80000000, v5
	ds_store_b32 v216, v4
	s_or_saveexec_b32 s23, s23
	v_mov_b32_e32 v3, v216
	s_xor_b32 exec_lo, exec_lo, s23
	s_cbranch_execz .LBB2_33
.LBB2_162:                              ;   in Loop: Header=BB2_4 Depth=1
	v_dual_mov_b32 v2, 0 :: v_dual_mov_b32 v3, v215
	s_and_not1_b32 s22, s22, exec_lo
	s_and_b32 s70, s9, exec_lo
	s_delay_alu instid0(SALU_CYCLE_1)
	s_or_b32 s22, s22, s70
	s_or_b32 exec_lo, exec_lo, s23
	s_and_saveexec_b32 s23, s22
	s_cbranch_execnz .LBB2_34
	s_branch .LBB2_35
.LBB2_163:                              ;   in Loop: Header=BB2_4 Depth=1
	ds_load_b64 v[4:5], v213
	s_mov_b32 s22, exec_lo
	s_wait_dscnt 0x0
	v_xor_b32_e32 v2, 0x80000000, v5
	ds_store_b32 v216, v4
	s_or_saveexec_b32 s23, s23
	v_mov_b32_e32 v3, v216
	s_xor_b32 exec_lo, exec_lo, s23
	s_cbranch_execz .LBB2_69
.LBB2_164:                              ;   in Loop: Header=BB2_4 Depth=1
	v_dual_mov_b32 v2, 0 :: v_dual_mov_b32 v3, v215
	s_and_not1_b32 s22, s22, exec_lo
	s_and_b32 s70, s9, exec_lo
	s_delay_alu instid0(SALU_CYCLE_1)
	s_or_b32 s22, s22, s70
	s_or_b32 exec_lo, exec_lo, s23
	s_and_saveexec_b32 s23, s22
	s_cbranch_execnz .LBB2_70
	s_branch .LBB2_71
.LBB2_165:
	s_sendmsg sendmsg(MSG_DEALLOC_VGPRS)
	s_endpgm
	.section	.rodata,"a",@progbits
	.p2align	6, 0x0
	.amdhsa_kernel _ZL26rocblas_hemvn_kernel_upperILb1ELi64ELi4ELi33ELi32ELi16EiPK19rocblas_complex_numIfES3_PS1_EviT6_lT7_lT5_lS6_lS7_lS5_lT8_i
		.amdhsa_group_segment_fixed_size 9600
		.amdhsa_private_segment_fixed_size 0
		.amdhsa_kernarg_size 376
		.amdhsa_user_sgpr_count 2
		.amdhsa_user_sgpr_dispatch_ptr 0
		.amdhsa_user_sgpr_queue_ptr 0
		.amdhsa_user_sgpr_kernarg_segment_ptr 1
		.amdhsa_user_sgpr_dispatch_id 0
		.amdhsa_user_sgpr_kernarg_preload_length 0
		.amdhsa_user_sgpr_kernarg_preload_offset 0
		.amdhsa_user_sgpr_private_segment_size 0
		.amdhsa_wavefront_size32 1
		.amdhsa_uses_dynamic_stack 0
		.amdhsa_enable_private_segment 0
		.amdhsa_system_sgpr_workgroup_id_x 1
		.amdhsa_system_sgpr_workgroup_id_y 0
		.amdhsa_system_sgpr_workgroup_id_z 1
		.amdhsa_system_sgpr_workgroup_info 0
		.amdhsa_system_vgpr_workitem_id 1
		.amdhsa_next_free_vgpr 250
		.amdhsa_next_free_sgpr 86
		.amdhsa_named_barrier_count 0
		.amdhsa_reserve_vcc 1
		.amdhsa_float_round_mode_32 0
		.amdhsa_float_round_mode_16_64 0
		.amdhsa_float_denorm_mode_32 3
		.amdhsa_float_denorm_mode_16_64 3
		.amdhsa_fp16_overflow 0
		.amdhsa_memory_ordered 1
		.amdhsa_forward_progress 1
		.amdhsa_inst_pref_size 73
		.amdhsa_round_robin_scheduling 0
		.amdhsa_exception_fp_ieee_invalid_op 0
		.amdhsa_exception_fp_denorm_src 0
		.amdhsa_exception_fp_ieee_div_zero 0
		.amdhsa_exception_fp_ieee_overflow 0
		.amdhsa_exception_fp_ieee_underflow 0
		.amdhsa_exception_fp_ieee_inexact 0
		.amdhsa_exception_int_div_zero 0
	.end_amdhsa_kernel
	.section	.text._ZL26rocblas_hemvn_kernel_upperILb1ELi64ELi4ELi33ELi32ELi16EiPK19rocblas_complex_numIfES3_PS1_EviT6_lT7_lT5_lS6_lS7_lS5_lT8_i,"axG",@progbits,_ZL26rocblas_hemvn_kernel_upperILb1ELi64ELi4ELi33ELi32ELi16EiPK19rocblas_complex_numIfES3_PS1_EviT6_lT7_lT5_lS6_lS7_lS5_lT8_i,comdat
.Lfunc_end2:
	.size	_ZL26rocblas_hemvn_kernel_upperILb1ELi64ELi4ELi33ELi32ELi16EiPK19rocblas_complex_numIfES3_PS1_EviT6_lT7_lT5_lS6_lS7_lS5_lT8_i, .Lfunc_end2-_ZL26rocblas_hemvn_kernel_upperILb1ELi64ELi4ELi33ELi32ELi16EiPK19rocblas_complex_numIfES3_PS1_EviT6_lT7_lT5_lS6_lS7_lS5_lT8_i
                                        ; -- End function
	.set _ZL26rocblas_hemvn_kernel_upperILb1ELi64ELi4ELi33ELi32ELi16EiPK19rocblas_complex_numIfES3_PS1_EviT6_lT7_lT5_lS6_lS7_lS5_lT8_i.num_vgpr, 250
	.set _ZL26rocblas_hemvn_kernel_upperILb1ELi64ELi4ELi33ELi32ELi16EiPK19rocblas_complex_numIfES3_PS1_EviT6_lT7_lT5_lS6_lS7_lS5_lT8_i.num_agpr, 0
	.set _ZL26rocblas_hemvn_kernel_upperILb1ELi64ELi4ELi33ELi32ELi16EiPK19rocblas_complex_numIfES3_PS1_EviT6_lT7_lT5_lS6_lS7_lS5_lT8_i.numbered_sgpr, 86
	.set _ZL26rocblas_hemvn_kernel_upperILb1ELi64ELi4ELi33ELi32ELi16EiPK19rocblas_complex_numIfES3_PS1_EviT6_lT7_lT5_lS6_lS7_lS5_lT8_i.num_named_barrier, 0
	.set _ZL26rocblas_hemvn_kernel_upperILb1ELi64ELi4ELi33ELi32ELi16EiPK19rocblas_complex_numIfES3_PS1_EviT6_lT7_lT5_lS6_lS7_lS5_lT8_i.private_seg_size, 0
	.set _ZL26rocblas_hemvn_kernel_upperILb1ELi64ELi4ELi33ELi32ELi16EiPK19rocblas_complex_numIfES3_PS1_EviT6_lT7_lT5_lS6_lS7_lS5_lT8_i.uses_vcc, 1
	.set _ZL26rocblas_hemvn_kernel_upperILb1ELi64ELi4ELi33ELi32ELi16EiPK19rocblas_complex_numIfES3_PS1_EviT6_lT7_lT5_lS6_lS7_lS5_lT8_i.uses_flat_scratch, 0
	.set _ZL26rocblas_hemvn_kernel_upperILb1ELi64ELi4ELi33ELi32ELi16EiPK19rocblas_complex_numIfES3_PS1_EviT6_lT7_lT5_lS6_lS7_lS5_lT8_i.has_dyn_sized_stack, 0
	.set _ZL26rocblas_hemvn_kernel_upperILb1ELi64ELi4ELi33ELi32ELi16EiPK19rocblas_complex_numIfES3_PS1_EviT6_lT7_lT5_lS6_lS7_lS5_lT8_i.has_recursion, 0
	.set _ZL26rocblas_hemvn_kernel_upperILb1ELi64ELi4ELi33ELi32ELi16EiPK19rocblas_complex_numIfES3_PS1_EviT6_lT7_lT5_lS6_lS7_lS5_lT8_i.has_indirect_call, 0
	.section	.AMDGPU.csdata,"",@progbits
; Kernel info:
; codeLenInByte = 9324
; TotalNumSgprs: 88
; NumVgprs: 250
; ScratchSize: 0
; MemoryBound: 1
; FloatMode: 240
; IeeeMode: 1
; LDSByteSize: 9600 bytes/workgroup (compile time only)
; SGPRBlocks: 0
; VGPRBlocks: 15
; NumSGPRsForWavesPerEU: 88
; NumVGPRsForWavesPerEU: 250
; NamedBarCnt: 0
; Occupancy: 4
; WaveLimiterHint : 0
; COMPUTE_PGM_RSRC2:SCRATCH_EN: 0
; COMPUTE_PGM_RSRC2:USER_SGPR: 2
; COMPUTE_PGM_RSRC2:TRAP_HANDLER: 0
; COMPUTE_PGM_RSRC2:TGID_X_EN: 1
; COMPUTE_PGM_RSRC2:TGID_Y_EN: 0
; COMPUTE_PGM_RSRC2:TGID_Z_EN: 1
; COMPUTE_PGM_RSRC2:TIDIG_COMP_CNT: 1
	.section	.text._ZL36rocblas_hemvn_kernel_upper_block_sumILi64EiPK19rocblas_complex_numIfEPS1_S1_EviT1_lS5_lT2_lT0_lPT3_i,"axG",@progbits,_ZL36rocblas_hemvn_kernel_upper_block_sumILi64EiPK19rocblas_complex_numIfEPS1_S1_EviT1_lS5_lT2_lT0_lPT3_i,comdat
	.globl	_ZL36rocblas_hemvn_kernel_upper_block_sumILi64EiPK19rocblas_complex_numIfEPS1_S1_EviT1_lS5_lT2_lT0_lPT3_i ; -- Begin function _ZL36rocblas_hemvn_kernel_upper_block_sumILi64EiPK19rocblas_complex_numIfEPS1_S1_EviT1_lS5_lT2_lT0_lPT3_i
	.p2align	8
	.type	_ZL36rocblas_hemvn_kernel_upper_block_sumILi64EiPK19rocblas_complex_numIfEPS1_S1_EviT1_lS5_lT2_lT0_lPT3_i,@function
_ZL36rocblas_hemvn_kernel_upper_block_sumILi64EiPK19rocblas_complex_numIfEPS1_S1_EviT1_lS5_lT2_lT0_lPT3_i: ; @_ZL36rocblas_hemvn_kernel_upper_block_sumILi64EiPK19rocblas_complex_numIfEPS1_S1_EviT1_lS5_lT2_lT0_lPT3_i
; %bb.0:
	s_load_b32 s3, s[0:1], 0x50
	s_bfe_u32 s2, ttmp6, 0x40014
	s_lshr_b32 s4, ttmp7, 16
	s_add_co_i32 s2, s2, 1
	s_bfe_u32 s6, ttmp6, 0x40008
	s_mul_i32 s5, s4, s2
	s_getreg_b32 s2, hwreg(HW_REG_IB_STS2, 6, 4)
	s_add_co_i32 s6, s6, s5
	s_cmp_eq_u32 s2, 0
	s_mov_b32 s17, 0
	s_cselect_b32 s16, s4, s6
	s_wait_kmcnt 0x0
	s_cmp_ge_u32 s16, s3
	s_cbranch_scc1 .LBB3_21
; %bb.1:
	s_clause 0x1
	s_load_b128 s[20:23], s[0:1], 0x28
	s_load_b32 s25, s[0:1], 0x38
	s_bfe_u32 s4, ttmp6, 0x4000c
	s_and_b32 s5, ttmp6, 15
	s_add_co_i32 s4, s4, 1
	s_load_b32 s24, s[0:1], 0x0
	s_mul_i32 s4, ttmp9, s4
	s_load_b128 s[12:15], s[0:1], 0x40
	s_add_co_i32 s5, s5, s4
	s_wait_kmcnt 0x0
	s_lshl_b64 s[18:19], s[22:23], 3
	s_cmp_eq_u32 s2, 0
	s_add_nc_u64 s[18:19], s[20:21], s[18:19]
	s_cselect_b32 s27, ttmp9, s5
	s_load_b256 s[4:11], s[0:1], 0x8
	v_lshl_or_b32 v2, s27, 6, v0
	s_wait_xcnt 0x0
	s_add_nc_u64 s[0:1], s[0:1], 0x58
	s_delay_alu instid0(VALU_DEP_1)
	v_mul_lo_u32 v0, s25, v2
	v_ashrrev_i32_e32 v3, 31, v2
	s_ashr_i32 s25, s24, 31
	v_cmp_gt_i32_e64 s2, s24, v2
	s_cmp_gt_i32 s27, -1
	s_cselect_b32 s26, -1, 0
	s_add_co_i32 s27, s27, 1
	v_ashrrev_i32_e32 v1, 31, v0
	v_lshl_add_u64 v[2:3], v[2:3], 3, s[14:15]
	s_lshl_b64 s[14:15], s[24:25], 3
	s_branch .LBB3_5
.LBB3_2:                                ;   in Loop: Header=BB3_5 Depth=1
	global_store_b64 v[6:7], v[8:9], off
.LBB3_3:                                ;   in Loop: Header=BB3_5 Depth=1
	s_wait_xcnt 0x0
	s_or_b32 exec_lo, exec_lo, s28
.LBB3_4:                                ;   in Loop: Header=BB3_5 Depth=1
	s_add_co_i32 s16, s16, 0x10000
	s_delay_alu instid0(SALU_CYCLE_1)
	s_cmp_lt_u32 s16, s3
	s_cbranch_scc0 .LBB3_21
.LBB3_5:                                ; =>This Loop Header: Depth=1
                                        ;     Child Loop BB3_16 Depth 2
	s_wait_kmcnt 0x0
	s_mul_u64 s[20:21], s[6:7], s[16:17]
	s_delay_alu instid0(SALU_CYCLE_1) | instskip(NEXT) | instid1(SALU_CYCLE_1)
	s_lshl_b64 s[20:21], s[20:21], 3
	s_add_nc_u64 s[22:23], s[4:5], s[20:21]
	s_load_b64 s[20:21], s[22:23], 0x0
	s_wait_xcnt 0x0
	s_mul_u64 s[22:23], s[10:11], s[16:17]
	s_delay_alu instid0(SALU_CYCLE_1) | instskip(NEXT) | instid1(SALU_CYCLE_1)
	s_lshl_b64 s[22:23], s[22:23], 3
	s_add_nc_u64 s[24:25], s[8:9], s[22:23]
	s_load_b64 s[22:23], s[24:25], 0x0
	s_wait_kmcnt 0x0
	s_wait_xcnt 0x0
	s_or_b32 s24, s20, s21
	s_delay_alu instid0(SALU_CYCLE_1) | instskip(NEXT) | instid1(SALU_CYCLE_1)
	s_bitset0_b32 s24, 31
	s_cmp_eq_u32 s24, 0
	s_cselect_b32 s28, -1, 0
	s_cmp_eq_f32 s22, 1.0
	s_cselect_b32 s24, -1, 0
	s_cmp_eq_f32 s23, 0
	s_cselect_b32 s25, -1, 0
	s_delay_alu instid0(SALU_CYCLE_1) | instskip(NEXT) | instid1(SALU_CYCLE_1)
	s_and_b32 s24, s24, s25
	s_and_b32 s24, s28, s24
	s_delay_alu instid0(SALU_CYCLE_1)
	s_and_b32 vcc_lo, exec_lo, s24
	s_cbranch_vccnz .LBB3_4
; %bb.6:                                ;   in Loop: Header=BB3_5 Depth=1
	s_mul_u64 s[24:25], s[12:13], s[16:17]
	s_and_not1_b32 vcc_lo, exec_lo, s28
	s_lshl_b64 s[24:25], s[24:25], 3
	s_mov_b32 s28, -1
	s_add_nc_u64 s[24:25], s[18:19], s[24:25]
	s_cbranch_vccnz .LBB3_12
; %bb.7:                                ;   in Loop: Header=BB3_5 Depth=1
	s_and_saveexec_b32 s28, s2
	s_cbranch_execz .LBB3_11
; %bb.8:                                ;   in Loop: Header=BB3_5 Depth=1
	s_cmp_neq_f32 s22, 0
	v_dual_mov_b32 v4, 0 :: v_dual_mov_b32 v5, 0
	s_cselect_b32 s29, -1, 0
	s_cmp_neq_f32 s23, 0
	s_cselect_b32 s30, -1, 0
	s_delay_alu instid0(SALU_CYCLE_1) | instskip(NEXT) | instid1(SALU_CYCLE_1)
	s_or_b32 s29, s29, s30
	s_and_not1_b32 vcc_lo, exec_lo, s29
	s_cbranch_vccnz .LBB3_10
; %bb.9:                                ;   in Loop: Header=BB3_5 Depth=1
	v_lshl_add_u64 v[4:5], v[0:1], 3, s[24:25]
	v_mov_b64_e32 v[6:7], s[22:23]
	global_load_b64 v[4:5], v[4:5], off
	s_wait_loadcnt 0x0
	v_pk_mul_f32 v[8:9], v[4:5], v[6:7] op_sel:[1,1] op_sel_hi:[1,0]
	s_delay_alu instid0(VALU_DEP_1) | instskip(SKIP_2) | instid1(VALU_DEP_2)
	v_pk_fma_f32 v[10:11], v[4:5], v[6:7], v[8:9] op_sel_hi:[0,1,1]
	s_wait_xcnt 0x0
	v_pk_fma_f32 v[4:5], v[4:5], v[6:7], v[8:9] neg_lo:[0,0,1] neg_hi:[0,0,1]
	v_mov_b32_e32 v5, v11
.LBB3_10:                               ;   in Loop: Header=BB3_5 Depth=1
	v_lshl_add_u64 v[6:7], v[0:1], 3, s[24:25]
	global_store_b64 v[6:7], v[4:5], off
.LBB3_11:                               ;   in Loop: Header=BB3_5 Depth=1
	s_wait_xcnt 0x0
	s_or_b32 exec_lo, exec_lo, s28
	s_mov_b32 s28, 0
.LBB3_12:                               ;   in Loop: Header=BB3_5 Depth=1
	s_delay_alu instid0(SALU_CYCLE_1)
	s_and_not1_b32 vcc_lo, exec_lo, s28
	s_cbranch_vccnz .LBB3_4
; %bb.13:                               ;   in Loop: Header=BB3_5 Depth=1
	s_and_saveexec_b32 s28, s2
	s_cbranch_execz .LBB3_3
; %bb.14:                               ;   in Loop: Header=BB3_5 Depth=1
	v_mov_b32_e32 v5, 0
	s_and_not1_b32 vcc_lo, exec_lo, s26
	s_delay_alu instid0(VALU_DEP_1)
	v_mov_b32_e32 v4, v5
	s_cbranch_vccnz .LBB3_17
; %bb.15:                               ;   in Loop: Header=BB3_5 Depth=1
	s_load_b32 s30, s[0:1], 0x0
	s_mov_b32 s31, s17
	v_mov_b32_e32 v4, 0
	s_mov_b32 s29, s27
	s_delay_alu instid0(VALU_DEP_1) | instskip(SKIP_2) | instid1(SALU_CYCLE_1)
	v_mov_b32_e32 v5, v4
	s_wait_kmcnt 0x0
	s_mul_u64 s[30:31], s[14:15], s[30:31]
	v_mad_nc_u64_u32 v[6:7], s30, s16, v[2:3]
	s_delay_alu instid0(VALU_DEP_1)
	v_mad_u32 v7, s31, s16, v7
.LBB3_16:                               ;   Parent Loop BB3_5 Depth=1
                                        ; =>  This Inner Loop Header: Depth=2
	global_load_b64 v[8:9], v[6:7], off
	s_wait_xcnt 0x0
	v_add_nc_u64_e32 v[6:7], s[14:15], v[6:7]
	s_add_co_i32 s29, s29, -1
	s_delay_alu instid0(SALU_CYCLE_1)
	s_cmp_eq_u32 s29, 0
	s_wait_loadcnt 0x0
	v_pk_add_f32 v[4:5], v[4:5], v[8:9]
	s_cbranch_scc0 .LBB3_16
.LBB3_17:                               ;   in Loop: Header=BB3_5 Depth=1
	s_cmp_neq_f32 s22, 0
                                        ; implicit-def: $vgpr9
	s_cselect_b32 s29, -1, 0
	s_cmp_neq_f32 s23, 0
	s_cselect_b32 s30, -1, 0
	s_delay_alu instid0(SALU_CYCLE_1) | instskip(NEXT) | instid1(SALU_CYCLE_1)
	s_or_b32 s29, s29, s30
	s_and_not1_b32 vcc_lo, exec_lo, s29
	s_mov_b32 s29, -1
	s_cbranch_vccz .LBB3_19
; %bb.18:                               ;   in Loop: Header=BB3_5 Depth=1
	v_mov_b64_e32 v[6:7], s[20:21]
	s_mov_b32 s29, 0
	s_delay_alu instid0(VALU_DEP_1) | instskip(SKIP_1) | instid1(VALU_DEP_2)
	v_pk_mul_f32 v[10:11], v[4:5], v[6:7] op_sel:[1,1] op_sel_hi:[1,0]
	v_pk_mul_f32 v[12:13], v[4:5], v[6:7] op_sel_hi:[0,1]
	v_pk_fma_f32 v[8:9], v[4:5], v[6:7], v[10:11] op_sel_hi:[0,1,1]
	s_delay_alu instid0(VALU_DEP_2)
	v_sub_f32_e32 v8, v12, v10
.LBB3_19:                               ;   in Loop: Header=BB3_5 Depth=1
	v_lshl_add_u64 v[6:7], v[0:1], 3, s[24:25]
	s_and_not1_b32 vcc_lo, exec_lo, s29
	s_cbranch_vccnz .LBB3_2
; %bb.20:                               ;   in Loop: Header=BB3_5 Depth=1
	global_load_b64 v[8:9], v[6:7], off
	v_mov_b64_e32 v[10:11], s[22:23]
	v_mov_b64_e32 v[12:13], s[20:21]
	s_delay_alu instid0(VALU_DEP_1) | instskip(NEXT) | instid1(VALU_DEP_1)
	v_pk_mul_f32 v[16:17], v[4:5], v[12:13] op_sel:[1,1] op_sel_hi:[1,0]
	v_pk_fma_f32 v[20:21], v[4:5], v[12:13], v[16:17] op_sel_hi:[0,1,1]
	v_pk_fma_f32 v[4:5], v[4:5], v[12:13], v[16:17] neg_lo:[0,0,1] neg_hi:[0,0,1]
	s_delay_alu instid0(VALU_DEP_2) | instskip(SKIP_2) | instid1(VALU_DEP_1)
	v_mov_b32_e32 v5, v21
	s_wait_loadcnt 0x0
	v_pk_mul_f32 v[14:15], v[8:9], v[10:11] op_sel:[1,1] op_sel_hi:[1,0]
	v_pk_fma_f32 v[18:19], v[8:9], v[10:11], v[14:15] op_sel_hi:[0,1,1]
	v_pk_fma_f32 v[8:9], v[8:9], v[10:11], v[14:15] neg_lo:[0,0,1] neg_hi:[0,0,1]
	s_delay_alu instid0(VALU_DEP_2) | instskip(NEXT) | instid1(VALU_DEP_1)
	v_mov_b32_e32 v9, v19
	v_pk_add_f32 v[8:9], v[4:5], v[8:9]
	s_branch .LBB3_2
.LBB3_21:
	s_endpgm
	.section	.rodata,"a",@progbits
	.p2align	6, 0x0
	.amdhsa_kernel _ZL36rocblas_hemvn_kernel_upper_block_sumILi64EiPK19rocblas_complex_numIfEPS1_S1_EviT1_lS5_lT2_lT0_lPT3_i
		.amdhsa_group_segment_fixed_size 0
		.amdhsa_private_segment_fixed_size 0
		.amdhsa_kernarg_size 344
		.amdhsa_user_sgpr_count 2
		.amdhsa_user_sgpr_dispatch_ptr 0
		.amdhsa_user_sgpr_queue_ptr 0
		.amdhsa_user_sgpr_kernarg_segment_ptr 1
		.amdhsa_user_sgpr_dispatch_id 0
		.amdhsa_user_sgpr_kernarg_preload_length 0
		.amdhsa_user_sgpr_kernarg_preload_offset 0
		.amdhsa_user_sgpr_private_segment_size 0
		.amdhsa_wavefront_size32 1
		.amdhsa_uses_dynamic_stack 0
		.amdhsa_enable_private_segment 0
		.amdhsa_system_sgpr_workgroup_id_x 1
		.amdhsa_system_sgpr_workgroup_id_y 0
		.amdhsa_system_sgpr_workgroup_id_z 1
		.amdhsa_system_sgpr_workgroup_info 0
		.amdhsa_system_vgpr_workitem_id 0
		.amdhsa_next_free_vgpr 22
		.amdhsa_next_free_sgpr 32
		.amdhsa_named_barrier_count 0
		.amdhsa_reserve_vcc 1
		.amdhsa_float_round_mode_32 0
		.amdhsa_float_round_mode_16_64 0
		.amdhsa_float_denorm_mode_32 3
		.amdhsa_float_denorm_mode_16_64 3
		.amdhsa_fp16_overflow 0
		.amdhsa_memory_ordered 1
		.amdhsa_forward_progress 1
		.amdhsa_inst_pref_size 8
		.amdhsa_round_robin_scheduling 0
		.amdhsa_exception_fp_ieee_invalid_op 0
		.amdhsa_exception_fp_denorm_src 0
		.amdhsa_exception_fp_ieee_div_zero 0
		.amdhsa_exception_fp_ieee_overflow 0
		.amdhsa_exception_fp_ieee_underflow 0
		.amdhsa_exception_fp_ieee_inexact 0
		.amdhsa_exception_int_div_zero 0
	.end_amdhsa_kernel
	.section	.text._ZL36rocblas_hemvn_kernel_upper_block_sumILi64EiPK19rocblas_complex_numIfEPS1_S1_EviT1_lS5_lT2_lT0_lPT3_i,"axG",@progbits,_ZL36rocblas_hemvn_kernel_upper_block_sumILi64EiPK19rocblas_complex_numIfEPS1_S1_EviT1_lS5_lT2_lT0_lPT3_i,comdat
.Lfunc_end3:
	.size	_ZL36rocblas_hemvn_kernel_upper_block_sumILi64EiPK19rocblas_complex_numIfEPS1_S1_EviT1_lS5_lT2_lT0_lPT3_i, .Lfunc_end3-_ZL36rocblas_hemvn_kernel_upper_block_sumILi64EiPK19rocblas_complex_numIfEPS1_S1_EviT1_lS5_lT2_lT0_lPT3_i
                                        ; -- End function
	.set _ZL36rocblas_hemvn_kernel_upper_block_sumILi64EiPK19rocblas_complex_numIfEPS1_S1_EviT1_lS5_lT2_lT0_lPT3_i.num_vgpr, 22
	.set _ZL36rocblas_hemvn_kernel_upper_block_sumILi64EiPK19rocblas_complex_numIfEPS1_S1_EviT1_lS5_lT2_lT0_lPT3_i.num_agpr, 0
	.set _ZL36rocblas_hemvn_kernel_upper_block_sumILi64EiPK19rocblas_complex_numIfEPS1_S1_EviT1_lS5_lT2_lT0_lPT3_i.numbered_sgpr, 32
	.set _ZL36rocblas_hemvn_kernel_upper_block_sumILi64EiPK19rocblas_complex_numIfEPS1_S1_EviT1_lS5_lT2_lT0_lPT3_i.num_named_barrier, 0
	.set _ZL36rocblas_hemvn_kernel_upper_block_sumILi64EiPK19rocblas_complex_numIfEPS1_S1_EviT1_lS5_lT2_lT0_lPT3_i.private_seg_size, 0
	.set _ZL36rocblas_hemvn_kernel_upper_block_sumILi64EiPK19rocblas_complex_numIfEPS1_S1_EviT1_lS5_lT2_lT0_lPT3_i.uses_vcc, 1
	.set _ZL36rocblas_hemvn_kernel_upper_block_sumILi64EiPK19rocblas_complex_numIfEPS1_S1_EviT1_lS5_lT2_lT0_lPT3_i.uses_flat_scratch, 0
	.set _ZL36rocblas_hemvn_kernel_upper_block_sumILi64EiPK19rocblas_complex_numIfEPS1_S1_EviT1_lS5_lT2_lT0_lPT3_i.has_dyn_sized_stack, 0
	.set _ZL36rocblas_hemvn_kernel_upper_block_sumILi64EiPK19rocblas_complex_numIfEPS1_S1_EviT1_lS5_lT2_lT0_lPT3_i.has_recursion, 0
	.set _ZL36rocblas_hemvn_kernel_upper_block_sumILi64EiPK19rocblas_complex_numIfEPS1_S1_EviT1_lS5_lT2_lT0_lPT3_i.has_indirect_call, 0
	.section	.AMDGPU.csdata,"",@progbits
; Kernel info:
; codeLenInByte = 916
; TotalNumSgprs: 34
; NumVgprs: 22
; ScratchSize: 0
; MemoryBound: 0
; FloatMode: 240
; IeeeMode: 1
; LDSByteSize: 0 bytes/workgroup (compile time only)
; SGPRBlocks: 0
; VGPRBlocks: 1
; NumSGPRsForWavesPerEU: 34
; NumVGPRsForWavesPerEU: 22
; NamedBarCnt: 0
; Occupancy: 16
; WaveLimiterHint : 0
; COMPUTE_PGM_RSRC2:SCRATCH_EN: 0
; COMPUTE_PGM_RSRC2:USER_SGPR: 2
; COMPUTE_PGM_RSRC2:TRAP_HANDLER: 0
; COMPUTE_PGM_RSRC2:TGID_X_EN: 1
; COMPUTE_PGM_RSRC2:TGID_Y_EN: 0
; COMPUTE_PGM_RSRC2:TGID_Z_EN: 1
; COMPUTE_PGM_RSRC2:TIDIG_COMP_CNT: 0
	.section	.text._ZL26rocblas_hemvn_kernel_upperILb1ELi64ELi4ELi33ELi32ELi16El19rocblas_complex_numIfEPKS1_PS1_EviT6_lT7_lT5_lS6_lS7_lS5_lT8_i,"axG",@progbits,_ZL26rocblas_hemvn_kernel_upperILb1ELi64ELi4ELi33ELi32ELi16El19rocblas_complex_numIfEPKS1_PS1_EviT6_lT7_lT5_lS6_lS7_lS5_lT8_i,comdat
	.globl	_ZL26rocblas_hemvn_kernel_upperILb1ELi64ELi4ELi33ELi32ELi16El19rocblas_complex_numIfEPKS1_PS1_EviT6_lT7_lT5_lS6_lS7_lS5_lT8_i ; -- Begin function _ZL26rocblas_hemvn_kernel_upperILb1ELi64ELi4ELi33ELi32ELi16El19rocblas_complex_numIfEPKS1_PS1_EviT6_lT7_lT5_lS6_lS7_lS5_lT8_i
	.p2align	8
	.type	_ZL26rocblas_hemvn_kernel_upperILb1ELi64ELi4ELi33ELi32ELi16El19rocblas_complex_numIfEPKS1_PS1_EviT6_lT7_lT5_lS6_lS7_lS5_lT8_i,@function
_ZL26rocblas_hemvn_kernel_upperILb1ELi64ELi4ELi33ELi32ELi16El19rocblas_complex_numIfEPKS1_PS1_EviT6_lT7_lT5_lS6_lS7_lS5_lT8_i: ; @_ZL26rocblas_hemvn_kernel_upperILb1ELi64ELi4ELi33ELi32ELi16El19rocblas_complex_numIfEPKS1_PS1_EviT6_lT7_lT5_lS6_lS7_lS5_lT8_i
; %bb.0:
	s_clause 0x1
	s_load_b64 s[4:5], s[0:1], 0x84
	s_load_b32 s33, s[0:1], 0x70
	s_bfe_u32 s2, ttmp6, 0x40014
	s_lshr_b32 s3, ttmp7, 16
	s_add_co_i32 s2, s2, 1
	s_bfe_u32 s6, ttmp6, 0x40008
	s_mul_i32 s7, s3, s2
	s_getreg_b32 s2, hwreg(HW_REG_IB_STS2, 6, 4)
	s_add_co_i32 s6, s6, s7
	s_mov_b32 s23, 0
	s_wait_kmcnt 0x0
	s_lshr_b32 s7, s4, 16
	s_and_b32 s4, s4, 0xffff
	s_and_b32 s5, s5, 0xffff
	s_mul_i32 s4, s7, s4
	s_cmp_eq_u32 s2, 0
	s_mul_i32 s4, s4, s5
	s_cselect_b32 s22, s3, s6
	s_cmp_lg_u32 s4, 0x100
	s_cselect_b32 s3, -1, 0
	s_cmp_ge_u32 s22, s33
	s_cselect_b32 s4, -1, 0
	s_delay_alu instid0(SALU_CYCLE_1) | instskip(NEXT) | instid1(SALU_CYCLE_1)
	s_or_b32 s3, s3, s4
	s_and_b32 vcc_lo, exec_lo, s3
	s_cbranch_vccnz .LBB4_163
; %bb.1:
	s_clause 0x4
	s_load_b32 s6, s[0:1], 0x0
	s_load_b64 s[4:5], s[0:1], 0x4
	s_load_b512 s[36:51], s[0:1], 0x18
	s_load_b64 s[8:9], s[0:1], 0x68
	s_load_b64 s[12:13], s[0:1], 0x58
	s_bfe_u32 s7, ttmp6, 0x4000c
	s_add_nc_u64 s[10:11], s[0:1], 0x78
	s_add_co_i32 s7, s7, 1
	s_and_b32 s3, ttmp6, 15
	s_wait_xcnt 0x0
	s_mul_i32 s0, ttmp9, s7
	v_and_b32_e32 v178, 0x3ff, v0
	s_add_co_i32 s3, s3, s0
	v_bfe_u32 v1, v0, 10, 10
	v_dual_mov_b32 v59, 0 :: v_dual_bitop2_b32 v56, 31, v0 bitop3:0x40
	s_load_b32 s24, s[10:11], 0x0
	s_mov_b32 s25, s23
	s_delay_alu instid0(VALU_DEP_2) | instskip(NEXT) | instid1(VALU_DEP_2)
	v_lshl_add_u32 v36, v1, 6, v178
	v_dual_lshlrev_b32 v60, 3, v178 :: v_dual_lshlrev_b32 v38, 3, v56
	v_mov_b32_e32 v57, v59
	s_wait_kmcnt 0x0
	s_ashr_i32 s7, s6, 31
	s_cmp_eq_u32 s2, 0
	v_lshrrev_b32_e32 v37, 5, v36
	s_cselect_b32 s26, ttmp9, s3
	s_or_b32 s0, s4, s5
	s_lshl_b64 s[2:3], s[46:47], 3
	s_bitset0_b32 s0, 31
	s_lshl_b64 s[4:5], s[38:39], 3
	s_cmp_lg_u32 s0, 0
	v_mad_nc_u64_u32 v[2:3], s40, v37, v[56:57]
	s_cselect_b32 s58, -1, 0
	s_cmp_neq_f32 s12, 1.0
	s_add_nc_u64 s[10:11], s[44:45], s[2:3]
	v_lshl_or_b32 v44, v56, 8, v38
	s_mul_u64 s[28:29], s[24:25], s[6:7]
	s_cselect_b32 s54, -1, 0
	s_cmp_neq_f32 s13, 0
	s_add_nc_u64 s[12:13], s[36:37], s[4:5]
	v_and_b32_e32 v45, 0x7fe0, v36
	v_add_nc_u32_e32 v40, 8, v37
	s_cselect_b32 s55, -1, 0
	s_lshl_b32 s60, s26, 6
	s_lshr_b32 s1, s7, 26
	v_dual_add_nc_u32 v62, s60, v178 :: v_dual_lshlrev_b32 v43, 2, v37
	s_add_co_i32 s1, s6, s1
	v_mad_u32 v3, s41, v37, v3
	s_and_not1_b32 s1, s1, 63
	s_delay_alu instid0(VALU_DEP_2)
	v_ashrrev_i32_e32 v63, 31, v62
	s_add_co_i32 s2, s24, -1
	s_sub_co_i32 s25, s6, s1
	s_cmp_eq_u32 s26, s2
	v_dual_lshlrev_b32 v58, 5, v1 :: v_dual_bitop2_b32 v8, 2, v43 bitop3:0x54
	v_mul_u64_e32 v[4:5], s[48:49], v[62:63]
	s_cselect_b32 s30, s25, 0
	v_dual_add_nc_u32 v180, v44, v45 :: v_dual_bitop2_b32 v9, 3, v43 bitop3:0x54
	s_cmp_lg_u32 s30, 0
	v_lshlrev_b64_e32 v[2:3], 3, v[2:3]
	s_cselect_b32 s64, -1, 0
	s_cmp_eq_u32 s30, 0
	v_add_nc_u64_e32 v[10:11], 0x118, v[58:59]
	s_cselect_b32 s5, -1, 0
	s_ashr_i32 s61, s60, 31
	s_ashr_i32 s27, s26, 31
	s_lshl_b64 s[14:15], s[60:61], 3
	s_mul_u64 s[6:7], s[6:7], s[26:27]
	s_add_nc_u64 s[12:13], s[12:13], s[14:15]
	s_lshl_b64 s[6:7], s[6:7], 3
	v_add_nc_u64_e32 v[6:7], s[12:13], v[2:3]
	s_mul_u64 s[12:13], s[40:41], s[60:61]
	s_add_nc_u64 s[36:37], s[8:9], s[6:7]
	v_cmp_le_u32_e64 s9, v8, v56
	v_add_nc_u64_e32 v[12:13], 0x180, v[58:59]
	v_add_nc_u64_e32 v[14:15], 0x188, v[58:59]
	;; [unrolled: 1-line block ×3, first 2 shown]
	v_lshl_add_u64 v[64:65], s[12:13], 3, v[6:7]
	v_add_nc_u64_e32 v[6:7], 0x110, v[58:59]
	v_cmp_eq_u32_e64 s12, v9, v56
	v_add_nc_u64_e32 v[18:19], 0x198, v[58:59]
	v_add_nc_u64_e32 v[20:21], 0x200, v[58:59]
	;; [unrolled: 1-line block ×6, first 2 shown]
	v_lshl_add_u64 v[66:67], v[4:5], 3, s[10:11]
	v_add_nc_u64_e32 v[4:5], 0x100, v[58:59]
	v_cmp_eq_u32_e64 s10, v8, v56
	v_cmp_le_u32_e64 s11, v9, v56
	v_add_nc_u64_e32 v[8:9], 0x108, v[58:59]
	v_add_nc_u64_e32 v[30:31], 0x288, v[58:59]
	;; [unrolled: 1-line block ×4, first 2 shown]
	v_mul_u64_e32 v[4:5], s[40:41], v[4:5]
	v_mul_u64_e32 v[6:7], s[40:41], v[6:7]
	;; [unrolled: 1-line block ×16, first 2 shown]
	v_dual_add_nc_u32 v41, 16, v37 :: v_dual_add_nc_u32 v42, 24, v37
	v_cmp_gt_i32_e32 vcc_lo, s30, v178
	s_sub_co_i32 s20, s30, 32
	v_mul_u32_u24_e32 v39, 0x108, v37
	s_delay_alu instid0(VALU_DEP_3)
	v_cmp_gt_i32_e64 s4, s30, v41
	v_cmp_le_u32_e64 s6, v43, v56
	s_or_b32 s56, s5, vcc_lo
	v_cmp_gt_i32_e64 s5, s30, v42
	v_cmp_eq_u32_e64 s7, v43, v56
	v_cmp_ge_u32_e64 s8, v43, v56
	v_or_b32_e32 v43, 1, v43
	v_cmp_gt_i32_e64 s17, s20, v41
	v_cmp_gt_i32_e64 s18, s20, v42
	v_lshrrev_b32_e32 v41, 4, v36
	v_and_b32_e32 v42, 15, v0
	v_dual_add_nc_u32 v187, v38, v39 :: v_dual_bitop2_b32 v0, 48, v0 bitop3:0x40
	v_or_b32_e32 v46, 32, v56
	v_sub_nc_u64_e32 v[68:69], v[4:5], v[2:3]
	v_sub_nc_u64_e32 v[70:71], v[6:7], v[2:3]
	;; [unrolled: 1-line block ×16, first 2 shown]
	v_dual_lshlrev_b32 v2, 5, v41 :: v_dual_lshlrev_b32 v0, 3, v0
	v_mul_u32_u24_e32 v4, 33, v56
	v_cmp_gt_i32_e64 s3, s30, v40
	v_cmp_gt_i32_e64 s14, s20, v40
	v_mul_u32_u24_e32 v40, 0x420, v37
	v_cmp_eq_u32_e64 s15, v43, v56
	v_mul_u32_u24_e32 v43, 0x108, v43
	v_or_b32_e32 v3, 0x78, v60
	v_mad_u32_u24 v182, 0x218, v42, v2
	v_mad_u32_u24 v183, 0x218, v42, v0
	v_dual_lshlrev_b32 v0, 3, v37 :: v_dual_lshlrev_b32 v185, 3, v4
	v_lshlrev_b32_e32 v190, 2, v1
	v_mul_i32_i24_e32 v2, 0xffffffe8, v41
	s_add_co_i32 s57, s26, 1
	v_cmp_eq_u32_e64 s0, 0, v1
	s_ashr_i32 s31, s30, 31
	s_lshl_b64 s[34:35], s[40:41], 6
	s_xor_b32 s27, s56, -1
	s_lshl_b64 s[38:39], s[40:41], 7
	s_lshl_b64 s[46:47], s[40:41], 5
	v_sub_nc_u64_e32 v[100:101], 0, v[56:57]
	v_mov_b64_e32 v[102:103], 0
	s_cmp_lt_u32 s57, s24
	v_cmp_gt_i32_e64 s1, s30, v56
	v_cmp_gt_i32_e64 s2, s30, v37
	;; [unrolled: 1-line block ×3, first 2 shown]
	v_mad_u32_u24 v179, 0x108, v56, v38
	v_add_nc_u32_e32 v181, 0x2380, v45
	v_cmp_gt_u32_e64 s16, 32, v36
	v_cmp_gt_u32_e64 s19, 64, v36
	v_mad_u32_u24 v184, 0x218, v42, v3
	v_cmp_gt_i32_e64 s20, s20, v37
	v_cmp_eq_u32_e64 s21, 1, v37
	v_mul_i32_i24_e32 v186, 0xffffffe8, v37
	v_dual_add_nc_u32 v188, v38, v40 :: v_dual_add_nc_u32 v189, v38, v43
	v_mad_u32_u24 v191, 0x860, v1, v60
	v_mad_u32_u24 v192, 0x218, v1, v60
	v_cndmask_b32_e64 v193, 0, 1, s58
	v_add_nc_u32_e32 v194, v185, v0
	v_add_nc_u32_e32 v195, 0x2380, v0
	v_dual_mov_b32 v61, v59 :: v_dual_add_nc_u32 v196, v182, v2
	v_add_nc_u32_e32 v197, 0x2380, v60
	v_dual_add_nc_u32 v198, 8, v180 :: v_dual_add_nc_u32 v199, 16, v180
	v_dual_add_nc_u32 v200, 24, v180 :: v_dual_bitop2_b32 v203, 1, v190 bitop3:0x54
	v_add_nc_u32_e32 v201, 0x2180, v60
	v_add_nc_u32_e32 v202, 0x2180, v58
	v_dual_add_nc_u32 v206, 16, v190 :: v_dual_bitop2_b32 v204, 2, v190 bitop3:0x54
	v_dual_add_nc_u32 v207, 17, v190 :: v_dual_bitop2_b32 v205, 3, v190 bitop3:0x54
	v_dual_add_nc_u32 v208, 18, v190 :: v_dual_add_nc_u32 v209, 19, v190
	v_dual_add_nc_u32 v210, 32, v190 :: v_dual_add_nc_u32 v211, 33, v190
	;; [unrolled: 1-line block ×5, first 2 shown]
	s_mul_u64 s[52:53], s[48:49], s[60:61]
	s_cselect_b32 s65, -1, 0
	s_or_b32 s59, s54, s55
	s_mul_u64 s[44:45], s[40:41], 0xc0
	s_sub_nc_u64 s[52:53], 0, s[52:53]
	s_add_co_i32 s66, s24, -2
	s_and_b32 s67, s0, s56
	s_mov_b64 s[54:55], 0xffffffffffffff00
	s_mov_b64 s[56:57], 0xfffffffffffffef8
	s_or_b32 s68, s59, s58
	s_sub_nc_u64 s[58:59], 0, s[30:31]
	s_add_co_i32 s69, s60, 64
	s_lshl_b64 s[40:41], s[40:41], 9
	s_branch .LBB4_4
.LBB4_2:                                ;   in Loop: Header=BB4_4 Depth=1
	s_wait_xcnt 0x0
	s_or_b32 exec_lo, exec_lo, s62
.LBB4_3:                                ;   in Loop: Header=BB4_4 Depth=1
	s_add_co_i32 s22, s22, 0x10000
	s_delay_alu instid0(SALU_CYCLE_1)
	s_cmp_lt_u32 s22, s33
	s_cbranch_scc0 .LBB4_163
.LBB4_4:                                ; =>This Loop Header: Depth=1
                                        ;     Child Loop BB4_105 Depth 2
	s_and_not1_b32 vcc_lo, exec_lo, s68
	s_cbranch_vccnz .LBB4_3
; %bb.5:                                ;   in Loop: Header=BB4_4 Depth=1
	v_cmp_ne_u32_e32 vcc_lo, 1, v193
	s_cbranch_vccnz .LBB4_3
; %bb.6:                                ;   in Loop: Header=BB4_4 Depth=1
	s_mul_u64 s[60:61], s[50:51], s[22:23]
	s_delay_alu instid0(SALU_CYCLE_1)
	v_lshl_add_u64 v[12:13], s[60:61], 3, v[66:67]
	s_and_saveexec_b32 s60, s0
	s_cbranch_execz .LBB4_11
; %bb.7:                                ;   in Loop: Header=BB4_4 Depth=1
	s_and_saveexec_b32 s61, s27
	s_delay_alu instid0(SALU_CYCLE_1)
	s_xor_b32 s61, exec_lo, s61
; %bb.8:                                ;   in Loop: Header=BB4_4 Depth=1
	ds_store_b64 v197, v[102:103]
; %bb.9:                                ;   in Loop: Header=BB4_4 Depth=1
	s_and_not1_saveexec_b32 s61, s61
	s_cbranch_execz .LBB4_11
; %bb.10:                               ;   in Loop: Header=BB4_4 Depth=1
	global_load_b64 v[0:1], v[12:13], off
	s_wait_loadcnt 0x0
	ds_store_b64 v197, v[0:1]
.LBB4_11:                               ;   in Loop: Header=BB4_4 Depth=1
	s_wait_xcnt 0x0
	s_or_b32 exec_lo, exec_lo, s60
	s_mul_u64 s[60:61], s[42:43], s[22:23]
	s_and_b32 vcc_lo, exec_lo, s64
	v_lshl_add_u64 v[2:3], s[60:61], 3, v[64:65]
	s_mov_b32 s60, -1
                                        ; implicit-def: $vgpr0_vgpr1
	s_cbranch_vccz .LBB4_21
; %bb.12:                               ;   in Loop: Header=BB4_4 Depth=1
	s_delay_alu instid0(VALU_DEP_1) | instskip(SKIP_2) | instid1(VALU_DEP_3)
	v_lshl_add_u64 v[0:1], v[100:101], 3, v[2:3]
	v_dual_mov_b32 v6, 0 :: v_dual_mov_b32 v4, 0
	v_mov_b32_e32 v5, 0
	v_lshl_add_u64 v[0:1], s[30:31], 3, v[0:1]
	s_delay_alu instid0(VALU_DEP_1) | instskip(NEXT) | instid1(VALU_DEP_1)
	v_add_nc_u64_e32 v[0:1], -8, v[0:1]
	v_dual_cndmask_b32 v1, v1, v3, s1 :: v_dual_cndmask_b32 v0, v0, v2, s1
	s_and_saveexec_b32 s60, s2
	s_cbranch_execz .LBB4_14
; %bb.13:                               ;   in Loop: Header=BB4_4 Depth=1
	global_load_b64 v[4:5], v[0:1], off
.LBB4_14:                               ;   in Loop: Header=BB4_4 Depth=1
	s_wait_xcnt 0x0
	s_or_b32 exec_lo, exec_lo, s60
	v_mov_b32_e32 v7, 0
	s_wait_loadcnt 0x0
	ds_store_b64 v187, v[4:5]
	s_and_saveexec_b32 s60, s3
	s_cbranch_execz .LBB4_16
; %bb.15:                               ;   in Loop: Header=BB4_4 Depth=1
	v_add_nc_u64_e32 v[4:5], s[34:35], v[0:1]
	global_load_b64 v[6:7], v[4:5], off
.LBB4_16:                               ;   in Loop: Header=BB4_4 Depth=1
	s_wait_xcnt 0x0
	s_or_b32 exec_lo, exec_lo, s60
	v_dual_mov_b32 v4, 0 :: v_dual_mov_b32 v8, 0
	v_mov_b32_e32 v9, 0
	s_wait_loadcnt 0x0
	ds_store_b64 v187, v[6:7] offset:2112
	s_and_saveexec_b32 s60, s4
	s_cbranch_execz .LBB4_18
; %bb.17:                               ;   in Loop: Header=BB4_4 Depth=1
	v_add_nc_u64_e32 v[6:7], s[38:39], v[0:1]
	global_load_b64 v[8:9], v[6:7], off
.LBB4_18:                               ;   in Loop: Header=BB4_4 Depth=1
	s_wait_xcnt 0x0
	s_or_b32 exec_lo, exec_lo, s60
	v_mov_b32_e32 v5, 0
	s_wait_loadcnt 0x0
	ds_store_b64 v187, v[8:9] offset:4224
	s_and_saveexec_b32 s60, s5
	s_cbranch_execz .LBB4_20
; %bb.19:                               ;   in Loop: Header=BB4_4 Depth=1
	v_add_nc_u64_e32 v[4:5], s[44:45], v[0:1]
	global_load_b64 v[4:5], v[4:5], off
.LBB4_20:                               ;   in Loop: Header=BB4_4 Depth=1
	s_wait_xcnt 0x0
	s_or_b32 exec_lo, exec_lo, s60
	v_lshlrev_b32_e32 v58, 3, v56
	s_mov_b32 s60, 0
	s_wait_loadcnt 0x0
	ds_store_b64 v187, v[4:5] offset:6336
	v_add_nc_u64_e32 v[0:1], v[0:1], v[58:59]
	s_delay_alu instid0(VALU_DEP_1) | instskip(NEXT) | instid1(VALU_DEP_1)
	v_lshl_add_u64 v[0:1], s[58:59], 3, v[0:1]
	v_add_nc_u64_e32 v[0:1], 8, v[0:1]
	s_delay_alu instid0(VALU_DEP_1)
	v_dual_cndmask_b32 v1, v1, v3, s1 :: v_dual_cndmask_b32 v0, v0, v2, s1
.LBB4_21:                               ;   in Loop: Header=BB4_4 Depth=1
	s_and_b32 vcc_lo, exec_lo, s60
	s_cbranch_vccz .LBB4_23
; %bb.22:                               ;   in Loop: Header=BB4_4 Depth=1
	v_add_nc_u64_e32 v[0:1], s[34:35], v[2:3]
	s_delay_alu instid0(VALU_DEP_1) | instskip(NEXT) | instid1(VALU_DEP_1)
	v_add_nc_u64_e32 v[4:5], s[34:35], v[0:1]
	v_add_nc_u64_e32 v[6:7], s[34:35], v[4:5]
	s_clause 0x3
	global_load_b64 v[8:9], v[2:3], off
	global_load_b64 v[10:11], v[0:1], off
	;; [unrolled: 1-line block ×4, first 2 shown]
	s_wait_xcnt 0x2
	v_mov_b64_e32 v[0:1], v[2:3]
	s_wait_loadcnt 0x3
	ds_store_b64 v187, v[8:9]
	s_wait_loadcnt 0x2
	ds_store_b64 v187, v[10:11] offset:2112
	s_wait_loadcnt 0x1
	ds_store_b64 v187, v[4:5] offset:4224
	;; [unrolled: 2-line block ×3, first 2 shown]
.LBB4_23:                               ;   in Loop: Header=BB4_4 Depth=1
	s_mov_b32 s60, 0
	s_wait_dscnt 0x0
	s_barrier_signal -1
	s_barrier_wait -1
	s_wait_xcnt 0x0
	s_and_saveexec_b32 s61, s6
	s_delay_alu instid0(SALU_CYCLE_1)
	s_xor_b32 s61, exec_lo, s61
; %bb.24:                               ;   in Loop: Header=BB4_4 Depth=1
	s_and_b32 s60, s7, exec_lo
; %bb.25:                               ;   in Loop: Header=BB4_4 Depth=1
	s_or_saveexec_b32 s61, s61
	v_dual_mov_b32 v2, 0 :: v_dual_mov_b32 v3, v179
	s_xor_b32 exec_lo, exec_lo, s61
	s_cbranch_execz .LBB4_27
; %bb.26:                               ;   in Loop: Header=BB4_4 Depth=1
	ds_load_b64 v[4:5], v188
	v_mov_b32_e32 v3, v180
	s_or_b32 s60, s60, exec_lo
	s_wait_dscnt 0x0
	v_xor_b32_e32 v2, 0x80000000, v5
	ds_store_b32 v180, v4
.LBB4_27:                               ;   in Loop: Header=BB4_4 Depth=1
	s_or_b32 exec_lo, exec_lo, s61
	s_and_saveexec_b32 s61, s60
; %bb.28:                               ;   in Loop: Header=BB4_4 Depth=1
	ds_store_b32 v3, v2 offset:4
; %bb.29:                               ;   in Loop: Header=BB4_4 Depth=1
	s_or_b32 exec_lo, exec_lo, s61
	s_mov_b32 s60, 0
                                        ; implicit-def: $vgpr2
	s_and_saveexec_b32 s61, s8
	s_delay_alu instid0(SALU_CYCLE_1)
	s_xor_b32 s61, exec_lo, s61
	s_cbranch_execnz .LBB4_159
; %bb.30:                               ;   in Loop: Header=BB4_4 Depth=1
	s_or_saveexec_b32 s61, s61
	v_mov_b32_e32 v3, v198
	s_xor_b32 exec_lo, exec_lo, s61
	s_cbranch_execnz .LBB4_160
.LBB4_31:                               ;   in Loop: Header=BB4_4 Depth=1
	s_or_b32 exec_lo, exec_lo, s61
	s_and_saveexec_b32 s61, s60
.LBB4_32:                               ;   in Loop: Header=BB4_4 Depth=1
	ds_store_b32 v3, v2 offset:4
.LBB4_33:                               ;   in Loop: Header=BB4_4 Depth=1
	s_or_b32 exec_lo, exec_lo, s61
	s_mov_b32 s60, 0
	s_and_saveexec_b32 s61, s9
	s_delay_alu instid0(SALU_CYCLE_1)
	s_xor_b32 s61, exec_lo, s61
; %bb.34:                               ;   in Loop: Header=BB4_4 Depth=1
	s_and_b32 s60, s10, exec_lo
; %bb.35:                               ;   in Loop: Header=BB4_4 Depth=1
	s_or_saveexec_b32 s61, s61
	v_dual_mov_b32 v2, 0 :: v_dual_mov_b32 v3, v179
	s_xor_b32 exec_lo, exec_lo, s61
	s_cbranch_execz .LBB4_37
; %bb.36:                               ;   in Loop: Header=BB4_4 Depth=1
	ds_load_b64 v[4:5], v189 offset:264
	v_mov_b32_e32 v3, v199
	s_or_b32 s60, s60, exec_lo
	s_wait_dscnt 0x0
	v_xor_b32_e32 v2, 0x80000000, v5
	ds_store_b32 v199, v4
.LBB4_37:                               ;   in Loop: Header=BB4_4 Depth=1
	s_or_b32 exec_lo, exec_lo, s61
	s_and_saveexec_b32 s61, s60
; %bb.38:                               ;   in Loop: Header=BB4_4 Depth=1
	ds_store_b32 v3, v2 offset:4
; %bb.39:                               ;   in Loop: Header=BB4_4 Depth=1
	s_or_b32 exec_lo, exec_lo, s61
	s_mov_b32 s60, 0
	s_and_saveexec_b32 s61, s11
	s_delay_alu instid0(SALU_CYCLE_1)
	s_xor_b32 s61, exec_lo, s61
; %bb.40:                               ;   in Loop: Header=BB4_4 Depth=1
	s_and_b32 s60, s12, exec_lo
; %bb.41:                               ;   in Loop: Header=BB4_4 Depth=1
	s_or_saveexec_b32 s61, s61
	v_dual_mov_b32 v2, 0 :: v_dual_mov_b32 v3, v179
	s_xor_b32 exec_lo, exec_lo, s61
	s_cbranch_execz .LBB4_43
; %bb.42:                               ;   in Loop: Header=BB4_4 Depth=1
	ds_load_b64 v[4:5], v189 offset:528
	v_mov_b32_e32 v3, v200
	s_or_b32 s60, s60, exec_lo
	s_wait_dscnt 0x0
	v_xor_b32_e32 v2, 0x80000000, v5
	ds_store_b32 v200, v4
.LBB4_43:                               ;   in Loop: Header=BB4_4 Depth=1
	s_or_b32 exec_lo, exec_lo, s61
	s_and_saveexec_b32 s61, s60
; %bb.44:                               ;   in Loop: Header=BB4_4 Depth=1
	ds_store_b32 v3, v2 offset:4
; %bb.45:                               ;   in Loop: Header=BB4_4 Depth=1
	s_or_b32 exec_lo, exec_lo, s61
	s_wait_dscnt 0x0
	s_barrier_signal -1
	s_barrier_wait -1
	ds_load_b64 v[10:11], v188
	ds_load_b128 v[2:5], v181
	ds_load_2addr_b64 v[6:9], v189 offset1:33
	ds_load_b128 v[14:17], v181 offset:16
	ds_load_b64 v[18:19], v189 offset:528
	v_mov_b64_e32 v[104:105], 0
	s_wait_dscnt 0x0
	s_barrier_signal -1
	s_barrier_wait -1
	v_pk_mul_f32 v[20:21], v[2:3], v[10:11] op_sel:[1,1] op_sel_hi:[0,1]
	v_dual_mov_b32 v22, v5 :: v_dual_mov_b32 v23, v4
	v_pk_mul_f32 v[24:25], v[14:15], v[8:9] op_sel:[1,1] op_sel_hi:[0,1]
	v_dual_mov_b32 v28, v17 :: v_dual_mov_b32 v29, v16
	s_delay_alu instid0(VALU_DEP_4) | instskip(NEXT) | instid1(VALU_DEP_4)
	v_pk_fma_f32 v[26:27], v[2:3], v[10:11], v[20:21] op_sel_hi:[1,0,1]
	v_pk_mul_f32 v[22:23], v[22:23], v[6:7] op_sel:[0,1]
	v_pk_fma_f32 v[2:3], v[2:3], v[10:11], v[20:21] neg_lo:[0,0,1] neg_hi:[0,0,1]
	v_pk_fma_f32 v[20:21], v[14:15], v[8:9], v[24:25] op_sel_hi:[1,0,1]
	s_delay_alu instid0(VALU_DEP_3)
	v_pk_fma_f32 v[10:11], v[4:5], v[6:7], v[22:23] op_sel_hi:[1,0,1]
	v_mov_b32_e32 v3, v27
	v_pk_fma_f32 v[4:5], v[4:5], v[6:7], v[22:23] neg_lo:[0,0,1] neg_hi:[0,0,1]
	v_pk_mul_f32 v[26:27], v[28:29], v[18:19] op_sel:[0,1]
	v_pk_fma_f32 v[6:7], v[14:15], v[8:9], v[24:25] neg_lo:[0,0,1] neg_hi:[0,0,1]
	v_mov_b32_e32 v5, v11
	v_pk_add_f32 v[2:3], v[2:3], 0 op_sel_hi:[1,0]
	s_delay_alu instid0(VALU_DEP_4) | instskip(SKIP_1) | instid1(VALU_DEP_3)
	v_pk_fma_f32 v[8:9], v[16:17], v[18:19], v[26:27] op_sel_hi:[1,0,1]
	v_mov_b32_e32 v7, v21
	v_pk_add_f32 v[2:3], v[2:3], v[4:5]
	v_pk_fma_f32 v[4:5], v[16:17], v[18:19], v[26:27] neg_lo:[0,0,1] neg_hi:[0,0,1]
	s_delay_alu instid0(VALU_DEP_4) | instskip(NEXT) | instid1(VALU_DEP_3)
	v_mov_b32_e32 v5, v9
	v_pk_add_f32 v[2:3], v[2:3], v[6:7]
	s_delay_alu instid0(VALU_DEP_1)
	v_pk_add_f32 v[2:3], v[2:3], v[4:5]
	ds_store_b64 v194, v[2:3]
	s_wait_dscnt 0x0
	s_barrier_signal -1
	s_barrier_wait -1
	s_and_saveexec_b32 s60, s16
	s_cbranch_execz .LBB4_47
; %bb.46:                               ;   in Loop: Header=BB4_4 Depth=1
	ds_load_2addr_b64 v[2:5], v185 offset1:7
	ds_load_2addr_b64 v[6:9], v185 offset0:1 offset1:2
	ds_load_2addr_b64 v[14:17], v185 offset0:3 offset1:4
	;; [unrolled: 1-line block ×3, first 2 shown]
	s_wait_dscnt 0x2
	v_dual_add_f32 v2, v6, v2 :: v_dual_add_f32 v3, v7, v3
	s_delay_alu instid0(VALU_DEP_1) | instskip(SKIP_1) | instid1(VALU_DEP_1)
	v_dual_add_f32 v2, v8, v2 :: v_dual_add_f32 v3, v9, v3
	s_wait_dscnt 0x1
	v_dual_add_f32 v2, v2, v14 :: v_dual_add_f32 v3, v3, v15
	s_delay_alu instid0(VALU_DEP_1) | instskip(SKIP_1) | instid1(VALU_DEP_1)
	v_dual_add_f32 v2, v2, v16 :: v_dual_add_f32 v3, v3, v17
	s_wait_dscnt 0x0
	v_dual_add_f32 v2, v2, v18 :: v_dual_add_f32 v3, v3, v19
	s_delay_alu instid0(VALU_DEP_1) | instskip(NEXT) | instid1(VALU_DEP_1)
	v_dual_add_f32 v2, v2, v20 :: v_dual_add_f32 v3, v3, v21
	v_pk_add_f32 v[104:105], v[2:3], v[4:5]
.LBB4_47:                               ;   in Loop: Header=BB4_4 Depth=1
	s_or_b32 exec_lo, exec_lo, s60
	v_lshl_add_u64 v[4:5], s[46:47], 3, v[0:1]
	s_and_b32 vcc_lo, exec_lo, s64
	s_mov_b32 s60, -1
	s_barrier_signal -1
	s_delay_alu instid0(VALU_DEP_1)
	v_add_nc_u64_e32 v[2:3], 0x100, v[4:5]
	s_barrier_wait -1
                                        ; implicit-def: $vgpr0_vgpr1
	s_cbranch_vccz .LBB4_57
; %bb.48:                               ;   in Loop: Header=BB4_4 Depth=1
	v_lshl_add_u64 v[0:1], v[100:101], 3, v[4:5]
	v_dual_mov_b32 v8, 0 :: v_dual_mov_b32 v6, 0
	v_mov_b32_e32 v7, 0
	s_delay_alu instid0(VALU_DEP_3) | instskip(NEXT) | instid1(VALU_DEP_1)
	v_lshl_add_u64 v[0:1], s[30:31], 3, v[0:1]
	v_add_nc_u64_e32 v[0:1], -8, v[0:1]
	s_delay_alu instid0(VALU_DEP_1)
	v_dual_cndmask_b32 v1, v1, v3, s13 :: v_dual_cndmask_b32 v0, v0, v2, s13
	s_and_saveexec_b32 s60, s20
	s_cbranch_execz .LBB4_50
; %bb.49:                               ;   in Loop: Header=BB4_4 Depth=1
	global_load_b64 v[6:7], v[0:1], off
.LBB4_50:                               ;   in Loop: Header=BB4_4 Depth=1
	s_wait_xcnt 0x0
	s_or_b32 exec_lo, exec_lo, s60
	v_mov_b32_e32 v9, 0
	s_wait_loadcnt 0x0
	ds_store_b64 v187, v[6:7]
	s_and_saveexec_b32 s60, s14
	s_cbranch_execz .LBB4_52
; %bb.51:                               ;   in Loop: Header=BB4_4 Depth=1
	v_add_nc_u64_e32 v[6:7], s[34:35], v[0:1]
	global_load_b64 v[8:9], v[6:7], off
.LBB4_52:                               ;   in Loop: Header=BB4_4 Depth=1
	s_wait_xcnt 0x0
	s_or_b32 exec_lo, exec_lo, s60
	v_dual_mov_b32 v6, 0 :: v_dual_mov_b32 v10, 0
	v_mov_b32_e32 v11, 0
	s_wait_loadcnt 0x0
	ds_store_b64 v187, v[8:9] offset:2112
	s_and_saveexec_b32 s60, s17
	s_cbranch_execz .LBB4_54
; %bb.53:                               ;   in Loop: Header=BB4_4 Depth=1
	v_add_nc_u64_e32 v[8:9], s[38:39], v[0:1]
	global_load_b64 v[10:11], v[8:9], off
.LBB4_54:                               ;   in Loop: Header=BB4_4 Depth=1
	s_wait_xcnt 0x0
	s_or_b32 exec_lo, exec_lo, s60
	v_mov_b32_e32 v7, 0
	s_wait_loadcnt 0x0
	ds_store_b64 v187, v[10:11] offset:4224
	s_and_saveexec_b32 s60, s18
	s_cbranch_execz .LBB4_56
; %bb.55:                               ;   in Loop: Header=BB4_4 Depth=1
	v_add_nc_u64_e32 v[6:7], s[44:45], v[0:1]
	global_load_b64 v[6:7], v[6:7], off
.LBB4_56:                               ;   in Loop: Header=BB4_4 Depth=1
	s_wait_xcnt 0x0
	s_or_b32 exec_lo, exec_lo, s60
	v_lshlrev_b32_e32 v58, 3, v56
	s_mov_b32 s60, 0
	s_wait_loadcnt 0x0
	ds_store_b64 v187, v[6:7] offset:6336
	v_add_nc_u64_e32 v[0:1], v[0:1], v[58:59]
	s_delay_alu instid0(VALU_DEP_1) | instskip(NEXT) | instid1(VALU_DEP_1)
	v_lshl_add_u64 v[0:1], s[58:59], 3, v[0:1]
	v_add_nc_u64_e32 v[0:1], 0x108, v[0:1]
	s_delay_alu instid0(VALU_DEP_1)
	v_dual_cndmask_b32 v1, v1, v3, s13 :: v_dual_cndmask_b32 v0, v0, v2, s13
.LBB4_57:                               ;   in Loop: Header=BB4_4 Depth=1
	s_and_b32 vcc_lo, exec_lo, s60
	s_cbranch_vccz .LBB4_59
; %bb.58:                               ;   in Loop: Header=BB4_4 Depth=1
	v_add_nc_u64_e32 v[0:1], s[34:35], v[4:5]
	s_delay_alu instid0(VALU_DEP_1) | instskip(NEXT) | instid1(VALU_DEP_1)
	v_add_nc_u64_e32 v[6:7], s[34:35], v[0:1]
	v_add_nc_u64_e32 v[8:9], s[34:35], v[6:7]
	s_clause 0x3
	global_load_b64 v[4:5], v[4:5], off offset:256
	global_load_b64 v[10:11], v[0:1], off offset:256
	;; [unrolled: 1-line block ×4, first 2 shown]
	s_wait_xcnt 0x2
	v_mov_b64_e32 v[0:1], v[2:3]
	s_wait_loadcnt 0x3
	ds_store_b64 v187, v[4:5]
	s_wait_loadcnt 0x2
	ds_store_b64 v187, v[10:11] offset:2112
	s_wait_loadcnt 0x1
	ds_store_b64 v187, v[6:7] offset:4224
	;; [unrolled: 2-line block ×3, first 2 shown]
.LBB4_59:                               ;   in Loop: Header=BB4_4 Depth=1
	s_mov_b32 s60, 0
	s_wait_dscnt 0x0
	s_barrier_signal -1
	s_barrier_wait -1
	s_wait_xcnt 0x0
	s_and_saveexec_b32 s61, s6
	s_delay_alu instid0(SALU_CYCLE_1)
	s_xor_b32 s61, exec_lo, s61
; %bb.60:                               ;   in Loop: Header=BB4_4 Depth=1
	s_and_b32 s60, s7, exec_lo
; %bb.61:                               ;   in Loop: Header=BB4_4 Depth=1
	s_or_saveexec_b32 s61, s61
	v_dual_mov_b32 v2, 0 :: v_dual_mov_b32 v3, v179
	s_xor_b32 exec_lo, exec_lo, s61
	s_cbranch_execz .LBB4_63
; %bb.62:                               ;   in Loop: Header=BB4_4 Depth=1
	ds_load_b64 v[4:5], v188
	v_mov_b32_e32 v3, v180
	s_or_b32 s60, s60, exec_lo
	s_wait_dscnt 0x0
	v_xor_b32_e32 v2, 0x80000000, v5
	ds_store_b32 v180, v4
.LBB4_63:                               ;   in Loop: Header=BB4_4 Depth=1
	s_or_b32 exec_lo, exec_lo, s61
	s_and_saveexec_b32 s61, s60
; %bb.64:                               ;   in Loop: Header=BB4_4 Depth=1
	ds_store_b32 v3, v2 offset:4
; %bb.65:                               ;   in Loop: Header=BB4_4 Depth=1
	s_or_b32 exec_lo, exec_lo, s61
	s_mov_b32 s60, 0
                                        ; implicit-def: $vgpr2
	s_and_saveexec_b32 s61, s8
	s_delay_alu instid0(SALU_CYCLE_1)
	s_xor_b32 s61, exec_lo, s61
	s_cbranch_execnz .LBB4_161
; %bb.66:                               ;   in Loop: Header=BB4_4 Depth=1
	s_or_saveexec_b32 s61, s61
	v_mov_b32_e32 v3, v198
	s_xor_b32 exec_lo, exec_lo, s61
	s_cbranch_execnz .LBB4_162
.LBB4_67:                               ;   in Loop: Header=BB4_4 Depth=1
	s_or_b32 exec_lo, exec_lo, s61
	s_and_saveexec_b32 s61, s60
.LBB4_68:                               ;   in Loop: Header=BB4_4 Depth=1
	ds_store_b32 v3, v2 offset:4
.LBB4_69:                               ;   in Loop: Header=BB4_4 Depth=1
	s_or_b32 exec_lo, exec_lo, s61
	s_mov_b32 s60, 0
	s_and_saveexec_b32 s61, s9
	s_delay_alu instid0(SALU_CYCLE_1)
	s_xor_b32 s61, exec_lo, s61
; %bb.70:                               ;   in Loop: Header=BB4_4 Depth=1
	s_and_b32 s60, s10, exec_lo
; %bb.71:                               ;   in Loop: Header=BB4_4 Depth=1
	s_or_saveexec_b32 s61, s61
	v_dual_mov_b32 v2, 0 :: v_dual_mov_b32 v3, v179
	s_xor_b32 exec_lo, exec_lo, s61
	s_cbranch_execz .LBB4_73
; %bb.72:                               ;   in Loop: Header=BB4_4 Depth=1
	ds_load_b64 v[4:5], v189 offset:264
	v_mov_b32_e32 v3, v199
	s_or_b32 s60, s60, exec_lo
	s_wait_dscnt 0x0
	v_xor_b32_e32 v2, 0x80000000, v5
	ds_store_b32 v199, v4
.LBB4_73:                               ;   in Loop: Header=BB4_4 Depth=1
	s_or_b32 exec_lo, exec_lo, s61
	s_and_saveexec_b32 s61, s60
; %bb.74:                               ;   in Loop: Header=BB4_4 Depth=1
	ds_store_b32 v3, v2 offset:4
; %bb.75:                               ;   in Loop: Header=BB4_4 Depth=1
	s_or_b32 exec_lo, exec_lo, s61
	s_mov_b32 s60, 0
	s_and_saveexec_b32 s61, s11
	s_delay_alu instid0(SALU_CYCLE_1)
	s_xor_b32 s61, exec_lo, s61
; %bb.76:                               ;   in Loop: Header=BB4_4 Depth=1
	s_and_b32 s60, s12, exec_lo
; %bb.77:                               ;   in Loop: Header=BB4_4 Depth=1
	s_or_saveexec_b32 s61, s61
	v_dual_mov_b32 v2, 0 :: v_dual_mov_b32 v3, v179
	s_xor_b32 exec_lo, exec_lo, s61
	s_cbranch_execz .LBB4_79
; %bb.78:                               ;   in Loop: Header=BB4_4 Depth=1
	ds_load_b64 v[4:5], v189 offset:528
	v_mov_b32_e32 v3, v200
	s_or_b32 s60, s60, exec_lo
	s_wait_dscnt 0x0
	v_xor_b32_e32 v2, 0x80000000, v5
	ds_store_b32 v200, v4
.LBB4_79:                               ;   in Loop: Header=BB4_4 Depth=1
	s_or_b32 exec_lo, exec_lo, s61
	s_and_saveexec_b32 s61, s60
; %bb.80:                               ;   in Loop: Header=BB4_4 Depth=1
	ds_store_b32 v3, v2 offset:4
; %bb.81:                               ;   in Loop: Header=BB4_4 Depth=1
	s_or_b32 exec_lo, exec_lo, s61
	s_wait_dscnt 0x0
	s_barrier_signal -1
	s_barrier_wait -1
	ds_load_b64 v[10:11], v188
	ds_load_b128 v[2:5], v181 offset:256
	ds_load_2addr_b64 v[6:9], v189 offset1:33
	ds_load_b128 v[14:17], v181 offset:272
	ds_load_b64 v[18:19], v189 offset:528
	s_wait_dscnt 0x0
	s_barrier_signal -1
	s_barrier_wait -1
	v_pk_mul_f32 v[20:21], v[2:3], v[10:11] op_sel:[1,1] op_sel_hi:[0,1]
	v_dual_mov_b32 v22, v5 :: v_dual_mov_b32 v23, v4
	v_pk_mul_f32 v[24:25], v[14:15], v[8:9] op_sel:[1,1] op_sel_hi:[0,1]
	v_dual_mov_b32 v28, v17 :: v_dual_mov_b32 v29, v16
	s_delay_alu instid0(VALU_DEP_4) | instskip(NEXT) | instid1(VALU_DEP_4)
	v_pk_fma_f32 v[26:27], v[2:3], v[10:11], v[20:21] op_sel_hi:[1,0,1]
	v_pk_mul_f32 v[22:23], v[22:23], v[6:7] op_sel:[0,1]
	v_pk_fma_f32 v[2:3], v[2:3], v[10:11], v[20:21] neg_lo:[0,0,1] neg_hi:[0,0,1]
	v_pk_fma_f32 v[20:21], v[14:15], v[8:9], v[24:25] op_sel_hi:[1,0,1]
	s_delay_alu instid0(VALU_DEP_3)
	v_pk_fma_f32 v[10:11], v[4:5], v[6:7], v[22:23] op_sel_hi:[1,0,1]
	v_mov_b32_e32 v3, v27
	v_pk_fma_f32 v[4:5], v[4:5], v[6:7], v[22:23] neg_lo:[0,0,1] neg_hi:[0,0,1]
	v_pk_mul_f32 v[26:27], v[28:29], v[18:19] op_sel:[0,1]
	v_pk_fma_f32 v[6:7], v[14:15], v[8:9], v[24:25] neg_lo:[0,0,1] neg_hi:[0,0,1]
	v_mov_b32_e32 v5, v11
	v_pk_add_f32 v[2:3], v[2:3], 0 op_sel_hi:[1,0]
	s_delay_alu instid0(VALU_DEP_4) | instskip(SKIP_1) | instid1(VALU_DEP_3)
	v_pk_fma_f32 v[8:9], v[16:17], v[18:19], v[26:27] op_sel_hi:[1,0,1]
	v_mov_b32_e32 v7, v21
	v_pk_add_f32 v[2:3], v[2:3], v[4:5]
	v_pk_fma_f32 v[4:5], v[16:17], v[18:19], v[26:27] neg_lo:[0,0,1] neg_hi:[0,0,1]
	s_delay_alu instid0(VALU_DEP_4) | instskip(NEXT) | instid1(VALU_DEP_3)
	v_mov_b32_e32 v5, v9
	v_pk_add_f32 v[2:3], v[2:3], v[6:7]
	s_delay_alu instid0(VALU_DEP_1)
	v_pk_add_f32 v[2:3], v[2:3], v[4:5]
	ds_store_b64 v194, v[2:3]
	s_wait_dscnt 0x0
	s_barrier_signal -1
	s_barrier_wait -1
	s_and_saveexec_b32 s60, s21
	s_cbranch_execz .LBB4_83
; %bb.82:                               ;   in Loop: Header=BB4_4 Depth=1
	ds_load_2addr_b64 v[2:5], v185 offset1:7
	ds_load_2addr_b64 v[6:9], v185 offset0:1 offset1:2
	ds_load_2addr_b64 v[14:17], v185 offset0:3 offset1:4
	;; [unrolled: 1-line block ×3, first 2 shown]
	s_wait_dscnt 0x2
	v_dual_add_f32 v2, v6, v2 :: v_dual_add_f32 v3, v7, v3
	s_delay_alu instid0(VALU_DEP_1) | instskip(SKIP_1) | instid1(VALU_DEP_1)
	v_dual_add_f32 v2, v8, v2 :: v_dual_add_f32 v3, v9, v3
	s_wait_dscnt 0x1
	v_dual_add_f32 v2, v2, v14 :: v_dual_add_f32 v3, v3, v15
	s_delay_alu instid0(VALU_DEP_1) | instskip(SKIP_1) | instid1(VALU_DEP_1)
	v_dual_add_f32 v2, v2, v16 :: v_dual_add_f32 v3, v3, v17
	s_wait_dscnt 0x0
	v_dual_add_f32 v2, v2, v18 :: v_dual_add_f32 v3, v3, v19
	s_delay_alu instid0(VALU_DEP_1) | instskip(NEXT) | instid1(VALU_DEP_1)
	v_pk_add_f32 v[2:3], v[2:3], v[20:21]
	v_pk_add_f32 v[104:105], v[2:3], v[4:5]
.LBB4_83:                               ;   in Loop: Header=BB4_4 Depth=1
	s_or_b32 exec_lo, exec_lo, s60
	v_add_nc_u64_e32 v[2:3], s[54:55], v[0:1]
	s_and_b32 vcc_lo, exec_lo, s64
	s_mov_b32 s60, -1
	s_barrier_signal -1
	s_barrier_wait -1
                                        ; implicit-def: $vgpr14_vgpr15
	s_cbranch_vccz .LBB4_93
; %bb.84:                               ;   in Loop: Header=BB4_4 Depth=1
	v_lshl_add_u64 v[4:5], v[100:101], 3, v[0:1]
	v_dual_mov_b32 v8, 0 :: v_dual_mov_b32 v6, 0
	v_mov_b32_e32 v7, 0
	s_delay_alu instid0(VALU_DEP_3) | instskip(NEXT) | instid1(VALU_DEP_1)
	v_lshl_add_u64 v[4:5], s[30:31], 3, v[4:5]
	v_add_nc_u64_e32 v[4:5], s[56:57], v[4:5]
	s_delay_alu instid0(VALU_DEP_1)
	v_dual_cndmask_b32 v5, v5, v3, s1 :: v_dual_cndmask_b32 v4, v4, v2, s1
	s_and_saveexec_b32 s60, s20
	s_cbranch_execz .LBB4_86
; %bb.85:                               ;   in Loop: Header=BB4_4 Depth=1
	global_load_b64 v[6:7], v[4:5], off
.LBB4_86:                               ;   in Loop: Header=BB4_4 Depth=1
	s_wait_xcnt 0x0
	s_or_b32 exec_lo, exec_lo, s60
	v_mov_b32_e32 v9, 0
	s_wait_loadcnt 0x0
	ds_store_b64 v187, v[6:7]
	s_and_saveexec_b32 s60, s14
	s_cbranch_execz .LBB4_88
; %bb.87:                               ;   in Loop: Header=BB4_4 Depth=1
	v_add_nc_u64_e32 v[6:7], s[34:35], v[4:5]
	global_load_b64 v[8:9], v[6:7], off
.LBB4_88:                               ;   in Loop: Header=BB4_4 Depth=1
	s_wait_xcnt 0x0
	s_or_b32 exec_lo, exec_lo, s60
	v_dual_mov_b32 v6, 0 :: v_dual_mov_b32 v10, 0
	v_mov_b32_e32 v11, 0
	s_wait_loadcnt 0x0
	ds_store_b64 v187, v[8:9] offset:2112
	s_and_saveexec_b32 s60, s17
	s_cbranch_execz .LBB4_90
; %bb.89:                               ;   in Loop: Header=BB4_4 Depth=1
	v_add_nc_u64_e32 v[8:9], s[38:39], v[4:5]
	global_load_b64 v[10:11], v[8:9], off
.LBB4_90:                               ;   in Loop: Header=BB4_4 Depth=1
	s_wait_xcnt 0x0
	s_or_b32 exec_lo, exec_lo, s60
	v_mov_b32_e32 v7, 0
	s_wait_loadcnt 0x0
	ds_store_b64 v187, v[10:11] offset:4224
	s_and_saveexec_b32 s60, s18
	s_cbranch_execz .LBB4_92
; %bb.91:                               ;   in Loop: Header=BB4_4 Depth=1
	v_add_nc_u64_e32 v[6:7], s[44:45], v[4:5]
	global_load_b64 v[6:7], v[6:7], off
.LBB4_92:                               ;   in Loop: Header=BB4_4 Depth=1
	s_wait_xcnt 0x0
	s_or_b32 exec_lo, exec_lo, s60
	v_lshlrev_b32_e32 v58, 3, v56
	s_mov_b32 s60, 0
	s_wait_loadcnt 0x0
	ds_store_b64 v187, v[6:7] offset:6336
	v_add_nc_u64_e32 v[4:5], v[4:5], v[58:59]
	s_delay_alu instid0(VALU_DEP_1) | instskip(NEXT) | instid1(VALU_DEP_1)
	v_lshl_add_u64 v[4:5], s[58:59], 3, v[4:5]
	v_add_nc_u64_e32 v[4:5], 8, v[4:5]
	s_delay_alu instid0(VALU_DEP_1)
	v_dual_cndmask_b32 v15, v5, v3, s1 :: v_dual_cndmask_b32 v14, v4, v2, s1
.LBB4_93:                               ;   in Loop: Header=BB4_4 Depth=1
	s_and_b32 vcc_lo, exec_lo, s60
	s_cbranch_vccz .LBB4_95
; %bb.94:                               ;   in Loop: Header=BB4_4 Depth=1
	v_add_nc_u64_e32 v[4:5], s[34:35], v[0:1]
	v_mov_b64_e32 v[14:15], v[2:3]
	s_delay_alu instid0(VALU_DEP_2) | instskip(NEXT) | instid1(VALU_DEP_1)
	v_add_nc_u64_e32 v[6:7], s[34:35], v[4:5]
	v_add_nc_u64_e32 v[8:9], s[34:35], v[6:7]
	s_clause 0x3
	global_load_b64 v[0:1], v[0:1], off offset:-256
	global_load_b64 v[4:5], v[4:5], off offset:-256
	;; [unrolled: 1-line block ×4, first 2 shown]
	s_wait_loadcnt 0x3
	ds_store_b64 v187, v[0:1]
	s_wait_loadcnt 0x2
	ds_store_b64 v187, v[4:5] offset:2112
	s_wait_loadcnt 0x1
	ds_store_b64 v187, v[6:7] offset:4224
	;; [unrolled: 2-line block ×3, first 2 shown]
.LBB4_95:                               ;   in Loop: Header=BB4_4 Depth=1
	s_wait_xcnt 0x3
	v_dual_add_nc_u32 v0, v180, v186 :: v_dual_add_nc_u32 v1, v181, v186
	s_wait_dscnt 0x0
	s_barrier_signal -1
	s_barrier_wait -1
	s_wait_xcnt 0x2
	ds_load_b64 v[4:5], v0
	s_wait_xcnt 0x1
	ds_load_b64 v[6:7], v1
	ds_load_2addr_b64 v[20:23], v194 offset0:8 offset1:16
	ds_load_2addr_b64 v[24:27], v195 offset0:8 offset1:16
	ds_load_b64 v[28:29], v194 offset:192
	ds_load_b64 v[30:31], v195 offset:192
	ds_load_2addr_b64 v[0:3], v189 offset1:33
	ds_load_b64 v[18:19], v188
	ds_load_b64 v[16:17], v189 offset:528
	s_wait_dscnt 0x7
	s_wait_xcnt 0x0
	v_pk_mul_f32 v[8:9], v[4:5], v[6:7] op_sel:[1,1] op_sel_hi:[1,0]
	s_wait_dscnt 0x5
	v_pk_mul_f32 v[10:11], v[20:21], v[24:25] op_sel:[1,1] op_sel_hi:[1,0]
	v_pk_mul_f32 v[34:35], v[22:23], v[26:27] op_sel:[1,1] op_sel_hi:[1,0]
	s_delay_alu instid0(VALU_DEP_3) | instskip(SKIP_1) | instid1(VALU_DEP_4)
	v_pk_fma_f32 v[32:33], v[4:5], v[6:7], v[8:9] op_sel_hi:[0,1,1] neg_lo:[0,0,1] neg_hi:[0,0,1]
	v_pk_fma_f32 v[4:5], v[4:5], v[6:7], v[8:9]
	v_pk_fma_f32 v[36:37], v[20:21], v[24:25], v[10:11] op_sel_hi:[0,1,1] neg_lo:[0,0,1] neg_hi:[0,0,1]
	v_pk_fma_f32 v[20:21], v[20:21], v[24:25], v[10:11]
	v_pk_fma_f32 v[24:25], v[22:23], v[26:27], v[34:35] op_sel_hi:[0,1,1] neg_lo:[0,0,1] neg_hi:[0,0,1]
	v_mov_b32_e32 v5, v33
	s_wait_dscnt 0x3
	v_pk_mul_f32 v[32:33], v[28:29], v[30:31] op_sel:[1,1] op_sel_hi:[1,0]
	v_mov_b32_e32 v21, v37
	v_pk_fma_f32 v[22:23], v[22:23], v[26:27], v[34:35]
	v_mov_b32_e32 v23, v25
	v_pk_add_f32 v[36:37], v[4:5], 0 op_sel_hi:[1,0]
	ds_load_b128 v[8:11], v181 offset:256
	ds_load_b128 v[4:7], v181 offset:272
	v_pk_fma_f32 v[24:25], v[28:29], v[30:31], v[32:33] op_sel_hi:[0,1,1] neg_lo:[0,0,1] neg_hi:[0,0,1]
	v_pk_fma_f32 v[26:27], v[28:29], v[30:31], v[32:33]
	s_wait_dscnt 0x0
	v_pk_add_f32 v[20:21], v[36:37], v[20:21]
	s_barrier_signal -1
	v_mov_b32_e32 v27, v25
	s_barrier_wait -1
	s_delay_alu instid0(VALU_DEP_2) | instskip(NEXT) | instid1(VALU_DEP_1)
	v_pk_add_f32 v[20:21], v[20:21], v[22:23]
	v_pk_add_f32 v[20:21], v[20:21], v[26:27]
	ds_store_b64 v194, v[20:21]
	s_wait_dscnt 0x0
	s_barrier_signal -1
	s_barrier_wait -1
	s_and_saveexec_b32 s60, s21
	s_cbranch_execz .LBB4_97
; %bb.96:                               ;   in Loop: Header=BB4_4 Depth=1
	ds_load_2addr_b64 v[20:23], v185 offset1:1
	ds_load_2addr_b64 v[24:27], v185 offset0:2 offset1:3
	ds_load_2addr_b64 v[28:31], v185 offset0:4 offset1:5
	s_wait_dscnt 0x2
	v_pk_add_f32 v[20:21], v[104:105], v[20:21]
	s_delay_alu instid0(VALU_DEP_1) | instskip(SKIP_1) | instid1(VALU_DEP_1)
	v_pk_add_f32 v[20:21], v[20:21], v[22:23]
	s_wait_dscnt 0x1
	v_pk_add_f32 v[24:25], v[20:21], v[24:25]
	ds_load_2addr_b64 v[20:23], v185 offset0:6 offset1:7
	v_pk_add_f32 v[24:25], v[24:25], v[26:27]
	s_wait_dscnt 0x1
	s_delay_alu instid0(VALU_DEP_1) | instskip(NEXT) | instid1(VALU_DEP_1)
	v_pk_add_f32 v[24:25], v[24:25], v[28:29]
	v_pk_add_f32 v[24:25], v[24:25], v[30:31]
	s_wait_dscnt 0x0
	s_delay_alu instid0(VALU_DEP_1) | instskip(NEXT) | instid1(VALU_DEP_1)
	v_pk_add_f32 v[20:21], v[24:25], v[20:21]
	v_pk_add_f32 v[104:105], v[20:21], v[22:23]
.LBB4_97:                               ;   in Loop: Header=BB4_4 Depth=1
	s_or_b32 exec_lo, exec_lo, s60
	v_pk_mul_f32 v[20:21], v[8:9], v[18:19] op_sel:[1,1] op_sel_hi:[0,1]
	v_dual_mov_b32 v22, v11 :: v_dual_mov_b32 v23, v10
	v_pk_mul_f32 v[24:25], v[4:5], v[2:3] op_sel:[1,1] op_sel_hi:[0,1]
	v_dual_mov_b32 v28, v7 :: v_dual_mov_b32 v29, v6
	s_delay_alu instid0(VALU_DEP_4) | instskip(NEXT) | instid1(VALU_DEP_4)
	v_pk_fma_f32 v[26:27], v[8:9], v[18:19], v[20:21] op_sel_hi:[1,0,1]
	v_pk_mul_f32 v[22:23], v[22:23], v[0:1] op_sel:[0,1]
	v_pk_fma_f32 v[8:9], v[8:9], v[18:19], v[20:21] neg_lo:[0,0,1] neg_hi:[0,0,1]
	v_pk_fma_f32 v[20:21], v[4:5], v[2:3], v[24:25] op_sel_hi:[1,0,1]
	v_pk_fma_f32 v[2:3], v[4:5], v[2:3], v[24:25] neg_lo:[0,0,1] neg_hi:[0,0,1]
	s_delay_alu instid0(VALU_DEP_4)
	v_pk_fma_f32 v[18:19], v[10:11], v[0:1], v[22:23] op_sel_hi:[1,0,1]
	v_mov_b32_e32 v9, v27
	v_pk_fma_f32 v[0:1], v[10:11], v[0:1], v[22:23] neg_lo:[0,0,1] neg_hi:[0,0,1]
	v_pk_mul_f32 v[26:27], v[28:29], v[16:17] op_sel:[0,1]
	s_barrier_signal -1
	v_mov_b32_e32 v1, v19
	v_pk_add_f32 v[8:9], v[8:9], 0 op_sel_hi:[1,0]
	s_barrier_wait -1
	v_pk_fma_f32 v[4:5], v[6:7], v[16:17], v[26:27] op_sel_hi:[1,0,1]
	v_mov_b32_e32 v3, v21
	v_pk_fma_f32 v[6:7], v[6:7], v[16:17], v[26:27] neg_lo:[0,0,1] neg_hi:[0,0,1]
	v_pk_add_f32 v[0:1], v[8:9], v[0:1]
	s_delay_alu instid0(VALU_DEP_4) | instskip(NEXT) | instid1(VALU_DEP_2)
	v_mov_b32_e32 v7, v5
	v_pk_add_f32 v[0:1], v[0:1], v[2:3]
	s_delay_alu instid0(VALU_DEP_1)
	v_pk_add_f32 v[0:1], v[0:1], v[6:7]
	ds_store_b64 v194, v[0:1]
	s_wait_dscnt 0x0
	s_barrier_signal -1
	s_barrier_wait -1
	s_and_saveexec_b32 s60, s16
	s_cbranch_execz .LBB4_99
; %bb.98:                               ;   in Loop: Header=BB4_4 Depth=1
	ds_load_2addr_b64 v[0:3], v185 offset1:1
	ds_load_2addr_b64 v[4:7], v185 offset0:2 offset1:3
	ds_load_2addr_b64 v[8:11], v185 offset0:4 offset1:5
	s_wait_dscnt 0x2
	v_pk_add_f32 v[0:1], v[104:105], v[0:1]
	s_delay_alu instid0(VALU_DEP_1) | instskip(SKIP_1) | instid1(VALU_DEP_1)
	v_pk_add_f32 v[0:1], v[0:1], v[2:3]
	s_wait_dscnt 0x1
	v_pk_add_f32 v[4:5], v[0:1], v[4:5]
	ds_load_2addr_b64 v[0:3], v185 offset0:6 offset1:7
	v_pk_add_f32 v[4:5], v[4:5], v[6:7]
	s_wait_dscnt 0x1
	s_delay_alu instid0(VALU_DEP_1) | instskip(NEXT) | instid1(VALU_DEP_1)
	v_pk_add_f32 v[4:5], v[4:5], v[8:9]
	v_pk_add_f32 v[4:5], v[4:5], v[10:11]
	s_wait_dscnt 0x0
	s_delay_alu instid0(VALU_DEP_1) | instskip(NEXT) | instid1(VALU_DEP_1)
	v_pk_add_f32 v[0:1], v[4:5], v[0:1]
	v_pk_add_f32 v[104:105], v[0:1], v[2:3]
.LBB4_99:                               ;   in Loop: Header=BB4_4 Depth=1
	s_or_b32 exec_lo, exec_lo, s60
	s_mul_u64 s[60:61], s[28:29], s[22:23]
	s_and_not1_b32 vcc_lo, exec_lo, s65
	s_lshl_b64 s[60:61], s[60:61], 3
	s_delay_alu instid0(SALU_CYCLE_1)
	s_add_nc_u64 s[60:61], s[36:37], s[60:61]
	s_barrier_signal -1
	s_barrier_wait -1
	s_cbranch_vccnz .LBB4_157
; %bb.100:                              ;   in Loop: Header=BB4_4 Depth=1
	v_add_nc_u64_e32 v[106:107], v[14:15], v[68:69]
	v_add_nc_u64_e32 v[108:109], v[14:15], v[70:71]
	;; [unrolled: 1-line block ×16, first 2 shown]
	v_lshl_add_u64 v[138:139], s[52:53], 3, v[12:13]
	s_mov_b32 s62, s69
	s_mov_b32 s70, s26
	s_delay_alu instid0(SALU_CYCLE_1)
	s_cmp_eq_u32 s66, s70
	s_cselect_b32 s71, s25, 0
	s_and_saveexec_b32 s72, s0
	s_cbranch_execz .LBB4_105
.LBB4_101:                              ;   in Loop: Header=BB4_4 Depth=1
	v_cmp_le_i32_e32 vcc_lo, s71, v178
	s_cmp_lg_u32 s71, 0
	s_cselect_b32 s63, -1, 0
	s_delay_alu instid0(SALU_CYCLE_1) | instskip(NEXT) | instid1(SALU_CYCLE_1)
	s_and_b32 s63, s63, vcc_lo
	s_and_saveexec_b32 s73, s63
	s_delay_alu instid0(SALU_CYCLE_1)
	s_xor_b32 s63, exec_lo, s73
; %bb.102:                              ;   in Loop: Header=BB4_4 Depth=1
	ds_store_b64 v201, v[102:103]
; %bb.103:                              ;   in Loop: Header=BB4_4 Depth=1
	s_and_not1_saveexec_b32 s63, s63
	s_cbranch_execz .LBB4_105
; %bb.104:                              ;   in Loop: Header=BB4_4 Depth=1
	s_ashr_i32 s63, s62, 31
	s_delay_alu instid0(SALU_CYCLE_1) | instskip(NEXT) | instid1(SALU_CYCLE_1)
	s_mul_u64 s[74:75], s[48:49], s[62:63]
	v_lshl_add_u64 v[0:1], s[74:75], 3, v[138:139]
	global_load_b64 v[0:1], v[0:1], off
	s_wait_loadcnt 0x0
	ds_store_b64 v201, v[0:1]
.LBB4_105:                              ;   Parent Loop BB4_4 Depth=1
                                        ; =>  This Inner Loop Header: Depth=2
	s_wait_xcnt 0x0
	s_or_b32 exec_lo, exec_lo, s72
	s_cmp_eq_u32 s71, 0
	v_add_nc_u64_e32 v[0:1], v[106:107], v[60:61]
	s_cselect_b32 s63, -1, 0
	s_cmp_lg_u32 s71, 0
	s_wait_dscnt 0x0
	s_cselect_b32 s72, -1, 0
	s_barrier_signal -1
	s_and_b32 vcc_lo, exec_lo, s72
	s_barrier_wait -1
	s_cbranch_vccz .LBB4_113
; %bb.106:                              ;   in Loop: Header=BB4_105 Depth=2
	v_mov_b64_e32 v[140:141], 0
	v_mov_b64_e32 v[142:143], 0
	s_mov_b32 s73, exec_lo
	v_cmpx_gt_i32_e64 s71, v190
	s_cbranch_execz .LBB4_108
; %bb.107:                              ;   in Loop: Header=BB4_105 Depth=2
	global_load_b64 v[142:143], v[0:1], off
.LBB4_108:                              ;   in Loop: Header=BB4_105 Depth=2
	s_wait_xcnt 0x0
	s_or_b32 exec_lo, exec_lo, s73
	s_delay_alu instid0(SALU_CYCLE_1)
	s_mov_b32 s73, exec_lo
	v_cmpx_gt_i32_e64 s71, v203
	s_cbranch_execz .LBB4_110
; %bb.109:                              ;   in Loop: Header=BB4_105 Depth=2
	v_add_nc_u64_e32 v[2:3], v[110:111], v[60:61]
	global_load_b64 v[140:141], v[2:3], off
.LBB4_110:                              ;   in Loop: Header=BB4_105 Depth=2
	s_wait_xcnt 0x0
	s_or_b32 exec_lo, exec_lo, s73
	v_mov_b64_e32 v[144:145], 0
	s_mov_b32 s73, exec_lo
	v_cmpx_gt_i32_e64 s71, v204
	s_cbranch_execz .LBB4_112
; %bb.111:                              ;   in Loop: Header=BB4_105 Depth=2
	v_add_nc_u64_e32 v[2:3], v[108:109], v[60:61]
	global_load_b64 v[144:145], v[2:3], off
.LBB4_112:                              ;   in Loop: Header=BB4_105 Depth=2
	s_wait_xcnt 0x0
	s_or_b32 exec_lo, exec_lo, s73
	v_cmp_gt_i32_e64 s73, s71, v205
	s_branch .LBB4_115
.LBB4_113:                              ;   in Loop: Header=BB4_105 Depth=2
	s_mov_b32 s73, 0
                                        ; implicit-def: $vgpr144_vgpr145
                                        ; implicit-def: $vgpr140_vgpr141
                                        ; implicit-def: $vgpr142_vgpr143
	s_cbranch_execz .LBB4_115
; %bb.114:                              ;   in Loop: Header=BB4_105 Depth=2
	v_add_nc_u64_e32 v[2:3], v[110:111], v[60:61]
	v_add_nc_u64_e32 v[4:5], v[108:109], v[60:61]
	s_or_b32 s73, s73, exec_lo
	s_wait_loadcnt 0x0
	global_load_b64 v[142:143], v[0:1], off
	global_load_b64 v[140:141], v[2:3], off
	;; [unrolled: 1-line block ×3, first 2 shown]
.LBB4_115:                              ;   in Loop: Header=BB4_105 Depth=2
	v_dual_mov_b32 v146, 0 :: v_dual_mov_b32 v148, 0
	s_wait_xcnt 0x0
	s_delay_alu instid0(VALU_DEP_2)
	s_and_saveexec_b32 s74, s73
	s_cbranch_execz .LBB4_117
; %bb.116:                              ;   in Loop: Header=BB4_105 Depth=2
	v_add_nc_u64_e32 v[0:1], v[112:113], v[60:61]
	global_load_b64 v[146:147], v[0:1], off
	s_wait_loadcnt 0x0
	v_mov_b32_e32 v148, v147
.LBB4_117:                              ;   in Loop: Header=BB4_105 Depth=2
	s_wait_xcnt 0x0
	s_or_b32 exec_lo, exec_lo, s74
	ds_load_b64 v[4:5], v197
	ds_load_b128 v[0:3], v202
	v_cndmask_b32_e64 v40, 0, 1, s72
	s_and_not1_b32 vcc_lo, exec_lo, s72
	s_wait_loadcnt_dscnt 0x1
	v_pk_mul_f32 v[6:7], v[142:143], v[4:5] op_sel:[1,0]
	v_pk_mul_f32 v[8:9], v[140:141], v[4:5] op_sel:[1,0]
	;; [unrolled: 1-line block ×3, first 2 shown]
	v_pk_mul_f32 v[12:13], v[148:149], v[4:5] op_sel_hi:[0,1]
	s_delay_alu instid0(VALU_DEP_4)
	v_pk_fma_f32 v[14:15], v[142:143], v[4:5], v[6:7] op_sel:[0,0,1] op_sel_hi:[1,1,0]
	v_pk_fma_f32 v[6:7], v[142:143], v[4:5], v[6:7] op_sel:[0,0,1] op_sel_hi:[0,1,0] neg_lo:[0,0,1] neg_hi:[0,0,1]
	v_pk_fma_f32 v[16:17], v[140:141], v[4:5], v[8:9] op_sel:[0,0,1] op_sel_hi:[1,1,0]
	v_pk_fma_f32 v[8:9], v[140:141], v[4:5], v[8:9] op_sel:[0,0,1] op_sel_hi:[0,1,0] neg_lo:[0,0,1] neg_hi:[0,0,1]
	;; [unrolled: 2-line block ×3, first 2 shown]
	v_pk_fma_f32 v[20:21], v[146:147], v[4:5], v[12:13] op_sel:[0,0,1] op_sel_hi:[0,1,0] neg_lo:[0,0,1] neg_hi:[0,0,1]
	v_pk_fma_f32 v[12:13], v[146:147], v[4:5], v[12:13] op_sel:[0,0,1] op_sel_hi:[1,1,0]
	v_dual_mov_b32 v15, v7 :: v_dual_mov_b32 v17, v9
	s_delay_alu instid0(VALU_DEP_3)
	v_dual_mov_b32 v19, v11 :: v_dual_mov_b32 v13, v21
	ds_load_b128 v[4:7], v202 offset:16
	ds_store_2addr_b64 v191, v[14:15], v[16:17] offset1:67
	ds_store_2addr_b64 v191, v[18:19], v[12:13] offset0:134 offset1:201
	s_wait_dscnt 0x0
	s_barrier_signal -1
	s_barrier_wait -1
	ds_load_2addr_b64 v[20:23], v182 offset1:1
	ds_load_2addr_b64 v[16:19], v182 offset0:2 offset1:3
	v_add_nc_u64_e32 v[8:9], v[114:115], v[60:61]
	s_wait_dscnt 0x0
	s_barrier_signal -1
	s_barrier_wait -1
	s_cbranch_vccnz .LBB4_125
; %bb.118:                              ;   in Loop: Header=BB4_105 Depth=2
	v_mov_b64_e32 v[150:151], 0
	v_mov_b64_e32 v[152:153], 0
	s_mov_b32 s72, exec_lo
	v_cmpx_gt_i32_e64 s71, v206
	s_cbranch_execz .LBB4_120
; %bb.119:                              ;   in Loop: Header=BB4_105 Depth=2
	global_load_b64 v[152:153], v[8:9], off
.LBB4_120:                              ;   in Loop: Header=BB4_105 Depth=2
	s_wait_xcnt 0x0
	s_or_b32 exec_lo, exec_lo, s72
	s_delay_alu instid0(SALU_CYCLE_1)
	s_mov_b32 s72, exec_lo
	v_cmpx_gt_i32_e64 s71, v207
	s_cbranch_execz .LBB4_122
; %bb.121:                              ;   in Loop: Header=BB4_105 Depth=2
	v_add_nc_u64_e32 v[10:11], v[116:117], v[60:61]
	global_load_b64 v[150:151], v[10:11], off
.LBB4_122:                              ;   in Loop: Header=BB4_105 Depth=2
	s_wait_xcnt 0x0
	s_or_b32 exec_lo, exec_lo, s72
	v_mov_b64_e32 v[154:155], 0
	s_mov_b32 s72, exec_lo
	v_cmpx_gt_i32_e64 s71, v208
	s_cbranch_execz .LBB4_124
; %bb.123:                              ;   in Loop: Header=BB4_105 Depth=2
	v_add_nc_u64_e32 v[10:11], v[118:119], v[60:61]
	global_load_b64 v[154:155], v[10:11], off
.LBB4_124:                              ;   in Loop: Header=BB4_105 Depth=2
	s_wait_xcnt 0x0
	s_or_b32 exec_lo, exec_lo, s72
	v_cmp_gt_i32_e64 s72, s71, v209
	s_branch .LBB4_127
.LBB4_125:                              ;   in Loop: Header=BB4_105 Depth=2
	s_mov_b32 s72, 0
                                        ; implicit-def: $vgpr154_vgpr155
                                        ; implicit-def: $vgpr150_vgpr151
                                        ; implicit-def: $vgpr152_vgpr153
	s_cbranch_execz .LBB4_127
; %bb.126:                              ;   in Loop: Header=BB4_105 Depth=2
	v_add_nc_u64_e32 v[10:11], v[116:117], v[60:61]
	v_add_nc_u64_e32 v[12:13], v[118:119], v[60:61]
	s_or_b32 s72, s72, exec_lo
	s_wait_loadcnt 0x0
	global_load_b64 v[152:153], v[8:9], off
	global_load_b64 v[150:151], v[10:11], off
	;; [unrolled: 1-line block ×3, first 2 shown]
.LBB4_127:                              ;   in Loop: Header=BB4_105 Depth=2
	v_dual_mov_b32 v156, 0 :: v_dual_mov_b32 v58, 0
	s_wait_xcnt 0x0
	s_delay_alu instid0(VALU_DEP_2)
	s_and_saveexec_b32 s73, s72
	s_cbranch_execz .LBB4_129
; %bb.128:                              ;   in Loop: Header=BB4_105 Depth=2
	v_add_nc_u64_e32 v[8:9], v[120:121], v[60:61]
	global_load_b64 v[156:157], v[8:9], off
	s_wait_loadcnt 0x0
	v_mov_b32_e32 v58, v157
.LBB4_129:                              ;   in Loop: Header=BB4_105 Depth=2
	s_wait_xcnt 0x0
	s_or_b32 exec_lo, exec_lo, s73
	ds_load_b64 v[8:9], v197
	v_cmp_ne_u32_e32 vcc_lo, 1, v40
	s_and_b32 vcc_lo, exec_lo, vcc_lo
	s_wait_loadcnt_dscnt 0x0
	v_pk_mul_f32 v[10:11], v[152:153], v[8:9] op_sel:[1,1] op_sel_hi:[1,0]
	v_pk_mul_f32 v[12:13], v[150:151], v[8:9] op_sel:[1,1] op_sel_hi:[1,0]
	;; [unrolled: 1-line block ×4, first 2 shown]
	s_delay_alu instid0(VALU_DEP_4)
	v_pk_fma_f32 v[26:27], v[152:153], v[8:9], v[10:11]
	v_pk_fma_f32 v[10:11], v[152:153], v[8:9], v[10:11] op_sel_hi:[0,1,1] neg_lo:[0,0,1] neg_hi:[0,0,1]
	v_pk_fma_f32 v[28:29], v[150:151], v[8:9], v[12:13]
	v_pk_fma_f32 v[12:13], v[150:151], v[8:9], v[12:13] op_sel_hi:[0,1,1] neg_lo:[0,0,1] neg_hi:[0,0,1]
	;; [unrolled: 2-line block ×3, first 2 shown]
	v_pk_fma_f32 v[32:33], v[156:157], v[8:9], v[24:25] op_sel_hi:[0,1,1] neg_lo:[0,0,1] neg_hi:[0,0,1]
	v_pk_fma_f32 v[24:25], v[156:157], v[8:9], v[24:25]
	v_dual_mov_b32 v27, v11 :: v_dual_mov_b32 v29, v13
	s_delay_alu instid0(VALU_DEP_3)
	v_dual_mov_b32 v31, v15 :: v_dual_mov_b32 v25, v33
	ds_load_b128 v[12:15], v202 offset:128
	ds_load_b128 v[8:11], v202 offset:144
	ds_store_2addr_b64 v191, v[26:27], v[28:29] offset1:67
	ds_store_2addr_b64 v191, v[30:31], v[24:25] offset0:134 offset1:201
	s_wait_dscnt 0x0
	s_barrier_signal -1
	s_barrier_wait -1
	ds_load_2addr_b64 v[36:39], v182 offset1:1
	ds_load_2addr_b64 v[32:35], v182 offset0:2 offset1:3
	v_add_nc_u64_e32 v[24:25], v[122:123], v[60:61]
	s_wait_dscnt 0x0
	s_barrier_signal -1
	s_barrier_wait -1
	s_cbranch_vccnz .LBB4_137
; %bb.130:                              ;   in Loop: Header=BB4_105 Depth=2
	v_mov_b64_e32 v[158:159], 0
	v_mov_b64_e32 v[160:161], 0
	s_mov_b32 s72, exec_lo
	v_cmpx_gt_i32_e64 s71, v210
	s_cbranch_execz .LBB4_132
; %bb.131:                              ;   in Loop: Header=BB4_105 Depth=2
	global_load_b64 v[160:161], v[24:25], off
.LBB4_132:                              ;   in Loop: Header=BB4_105 Depth=2
	s_wait_xcnt 0x0
	s_or_b32 exec_lo, exec_lo, s72
	s_delay_alu instid0(SALU_CYCLE_1)
	s_mov_b32 s72, exec_lo
	v_cmpx_gt_i32_e64 s71, v211
	s_cbranch_execz .LBB4_134
; %bb.133:                              ;   in Loop: Header=BB4_105 Depth=2
	v_add_nc_u64_e32 v[26:27], v[124:125], v[60:61]
	global_load_b64 v[158:159], v[26:27], off
.LBB4_134:                              ;   in Loop: Header=BB4_105 Depth=2
	s_wait_xcnt 0x0
	s_or_b32 exec_lo, exec_lo, s72
	v_mov_b64_e32 v[162:163], 0
	s_mov_b32 s72, exec_lo
	v_cmpx_gt_i32_e64 s71, v212
	s_cbranch_execz .LBB4_136
; %bb.135:                              ;   in Loop: Header=BB4_105 Depth=2
	v_add_nc_u64_e32 v[26:27], v[126:127], v[60:61]
	global_load_b64 v[162:163], v[26:27], off
.LBB4_136:                              ;   in Loop: Header=BB4_105 Depth=2
	s_wait_xcnt 0x0
	s_or_b32 exec_lo, exec_lo, s72
	v_cmp_gt_i32_e64 s72, s71, v213
	s_branch .LBB4_139
.LBB4_137:                              ;   in Loop: Header=BB4_105 Depth=2
	s_mov_b32 s72, 0
                                        ; implicit-def: $vgpr162_vgpr163
                                        ; implicit-def: $vgpr158_vgpr159
                                        ; implicit-def: $vgpr160_vgpr161
	s_cbranch_execz .LBB4_139
; %bb.138:                              ;   in Loop: Header=BB4_105 Depth=2
	v_add_nc_u64_e32 v[26:27], v[124:125], v[60:61]
	v_add_nc_u64_e32 v[28:29], v[126:127], v[60:61]
	s_or_b32 s72, s72, exec_lo
	s_wait_loadcnt 0x0
	global_load_b64 v[160:161], v[24:25], off
	global_load_b64 v[158:159], v[26:27], off
	;; [unrolled: 1-line block ×3, first 2 shown]
.LBB4_139:                              ;   in Loop: Header=BB4_105 Depth=2
	v_dual_mov_b32 v164, 0 :: v_dual_mov_b32 v166, 0
	s_wait_xcnt 0x0
	s_delay_alu instid0(VALU_DEP_2)
	s_and_saveexec_b32 s73, s72
	s_cbranch_execz .LBB4_141
; %bb.140:                              ;   in Loop: Header=BB4_105 Depth=2
	v_add_nc_u64_e32 v[24:25], v[128:129], v[60:61]
	global_load_b64 v[164:165], v[24:25], off
	s_wait_loadcnt 0x0
	v_mov_b32_e32 v166, v165
.LBB4_141:                              ;   in Loop: Header=BB4_105 Depth=2
	s_wait_xcnt 0x0
	s_or_b32 exec_lo, exec_lo, s73
	ds_load_b64 v[24:25], v197
	v_cmp_ne_u32_e32 vcc_lo, 1, v40
	v_add_nc_u64_e32 v[40:41], v[130:131], v[60:61]
	s_and_b32 vcc_lo, exec_lo, vcc_lo
	s_wait_loadcnt_dscnt 0x0
	v_pk_mul_f32 v[26:27], v[160:161], v[24:25] op_sel:[1,0]
	v_pk_mul_f32 v[28:29], v[158:159], v[24:25] op_sel:[1,0]
	;; [unrolled: 1-line block ×3, first 2 shown]
	v_pk_mul_f32 v[42:43], v[166:167], v[24:25] op_sel_hi:[0,1]
	s_delay_alu instid0(VALU_DEP_4)
	v_pk_fma_f32 v[44:45], v[160:161], v[24:25], v[26:27] op_sel:[0,0,1] op_sel_hi:[1,1,0]
	v_pk_fma_f32 v[26:27], v[160:161], v[24:25], v[26:27] op_sel:[0,0,1] op_sel_hi:[0,1,0] neg_lo:[0,0,1] neg_hi:[0,0,1]
	v_pk_fma_f32 v[46:47], v[158:159], v[24:25], v[28:29] op_sel:[0,0,1] op_sel_hi:[1,1,0]
	v_pk_fma_f32 v[28:29], v[158:159], v[24:25], v[28:29] op_sel:[0,0,1] op_sel_hi:[0,1,0] neg_lo:[0,0,1] neg_hi:[0,0,1]
	;; [unrolled: 2-line block ×3, first 2 shown]
	v_pk_fma_f32 v[50:51], v[164:165], v[24:25], v[42:43] op_sel:[0,0,1] op_sel_hi:[0,1,0] neg_lo:[0,0,1] neg_hi:[0,0,1]
	v_pk_fma_f32 v[42:43], v[164:165], v[24:25], v[42:43] op_sel:[0,0,1] op_sel_hi:[1,1,0]
	v_dual_mov_b32 v45, v27 :: v_dual_mov_b32 v47, v29
	s_delay_alu instid0(VALU_DEP_3)
	v_dual_mov_b32 v49, v31 :: v_dual_mov_b32 v43, v51
	ds_load_b128 v[28:31], v202 offset:256
	ds_load_b128 v[24:27], v202 offset:272
	ds_store_2addr_b64 v191, v[44:45], v[46:47] offset1:67
	ds_store_2addr_b64 v191, v[48:49], v[42:43] offset0:134 offset1:201
	s_wait_dscnt 0x0
	s_barrier_signal -1
	s_barrier_wait -1
	ds_load_2addr_b64 v[52:55], v182 offset1:1
	ds_load_2addr_b64 v[48:51], v182 offset0:2 offset1:3
	s_wait_dscnt 0x0
	s_barrier_signal -1
	s_barrier_wait -1
	s_cbranch_vccnz .LBB4_149
; %bb.142:                              ;   in Loop: Header=BB4_105 Depth=2
	v_mov_b64_e32 v[168:169], 0
	v_mov_b64_e32 v[170:171], 0
	s_mov_b32 s72, exec_lo
	v_cmpx_gt_i32_e64 s71, v214
	s_cbranch_execz .LBB4_144
; %bb.143:                              ;   in Loop: Header=BB4_105 Depth=2
	global_load_b64 v[170:171], v[40:41], off
.LBB4_144:                              ;   in Loop: Header=BB4_105 Depth=2
	s_wait_xcnt 0x0
	s_or_b32 exec_lo, exec_lo, s72
	s_delay_alu instid0(SALU_CYCLE_1)
	s_mov_b32 s72, exec_lo
	v_cmpx_gt_i32_e64 s71, v215
	s_cbranch_execz .LBB4_146
; %bb.145:                              ;   in Loop: Header=BB4_105 Depth=2
	v_add_nc_u64_e32 v[42:43], v[132:133], v[60:61]
	global_load_b64 v[168:169], v[42:43], off
.LBB4_146:                              ;   in Loop: Header=BB4_105 Depth=2
	s_wait_xcnt 0x0
	s_or_b32 exec_lo, exec_lo, s72
	v_mov_b64_e32 v[172:173], 0
	s_mov_b32 s72, exec_lo
	v_cmpx_gt_i32_e64 s71, v216
	s_cbranch_execz .LBB4_148
; %bb.147:                              ;   in Loop: Header=BB4_105 Depth=2
	v_add_nc_u64_e32 v[42:43], v[134:135], v[60:61]
	global_load_b64 v[172:173], v[42:43], off
.LBB4_148:                              ;   in Loop: Header=BB4_105 Depth=2
	s_wait_xcnt 0x0
	s_or_b32 exec_lo, exec_lo, s72
	v_cmp_gt_i32_e64 s72, s71, v217
	s_branch .LBB4_151
.LBB4_149:                              ;   in Loop: Header=BB4_105 Depth=2
	s_mov_b32 s72, 0
                                        ; implicit-def: $vgpr172_vgpr173
                                        ; implicit-def: $vgpr168_vgpr169
                                        ; implicit-def: $vgpr170_vgpr171
	s_cbranch_execz .LBB4_151
; %bb.150:                              ;   in Loop: Header=BB4_105 Depth=2
	v_add_nc_u64_e32 v[42:43], v[132:133], v[60:61]
	v_add_nc_u64_e32 v[44:45], v[134:135], v[60:61]
	s_or_b32 s72, s72, exec_lo
	s_wait_loadcnt 0x0
	global_load_b64 v[170:171], v[40:41], off
	global_load_b64 v[168:169], v[42:43], off
	;; [unrolled: 1-line block ×3, first 2 shown]
.LBB4_151:                              ;   in Loop: Header=BB4_105 Depth=2
	v_dual_mov_b32 v174, 0 :: v_dual_mov_b32 v176, 0
	s_wait_xcnt 0x0
	s_delay_alu instid0(VALU_DEP_2)
	s_and_saveexec_b32 s73, s72
	s_cbranch_execz .LBB4_153
; %bb.152:                              ;   in Loop: Header=BB4_105 Depth=2
	v_add_nc_u64_e32 v[40:41], v[136:137], v[60:61]
	global_load_b64 v[174:175], v[40:41], off
	s_wait_loadcnt 0x0
	v_mov_b32_e32 v176, v175
.LBB4_153:                              ;   in Loop: Header=BB4_105 Depth=2
	s_wait_xcnt 0x0
	s_or_b32 exec_lo, exec_lo, s73
	ds_load_b64 v[44:45], v197
	ds_load_b128 v[40:43], v202 offset:384
	v_pk_add_f32 v[36:37], v[36:37], 0 op_sel_hi:[1,0]
	v_pk_add_f32 v[20:21], v[20:21], 0 op_sel_hi:[1,0]
	;; [unrolled: 1-line block ×3, first 2 shown]
	v_cmp_gt_i32_e32 vcc_lo, s71, v178
	s_delay_alu instid0(VALU_DEP_4) | instskip(NEXT) | instid1(VALU_DEP_4)
	v_pk_add_f32 v[36:37], v[36:37], v[38:39]
	v_pk_add_f32 v[20:21], v[20:21], v[22:23]
	s_delay_alu instid0(VALU_DEP_4) | instskip(SKIP_1) | instid1(VALU_DEP_3)
	v_pk_add_f32 v[52:53], v[52:53], v[54:55]
	s_or_b32 s63, s63, vcc_lo
	v_pk_add_f32 v[32:33], v[36:37], v[32:33]
	s_delay_alu instid0(VALU_DEP_3) | instskip(NEXT) | instid1(VALU_DEP_3)
	v_pk_add_f32 v[16:17], v[20:21], v[16:17]
	v_pk_add_f32 v[38:39], v[52:53], v[48:49]
	s_and_b32 s71, s19, s63
	s_delay_alu instid0(VALU_DEP_3) | instskip(NEXT) | instid1(VALU_DEP_3)
	v_pk_add_f32 v[32:33], v[32:33], v[34:35]
	v_pk_add_f32 v[16:17], v[16:17], v[18:19]
	s_wait_loadcnt_dscnt 0x1
	v_pk_mul_f32 v[46:47], v[170:171], v[44:45] op_sel:[1,0]
	v_pk_mul_f32 v[218:219], v[168:169], v[44:45] op_sel:[1,0]
	;; [unrolled: 1-line block ×3, first 2 shown]
	v_pk_mul_f32 v[222:223], v[176:177], v[44:45] op_sel_hi:[0,1]
	s_delay_alu instid0(VALU_DEP_4)
	v_pk_fma_f32 v[224:225], v[170:171], v[44:45], v[46:47] op_sel:[0,0,1] op_sel_hi:[1,1,0]
	v_pk_fma_f32 v[46:47], v[170:171], v[44:45], v[46:47] op_sel:[0,0,1] op_sel_hi:[0,1,0] neg_lo:[0,0,1] neg_hi:[0,0,1]
	v_pk_fma_f32 v[226:227], v[168:169], v[44:45], v[218:219] op_sel:[0,0,1] op_sel_hi:[1,1,0]
	v_pk_fma_f32 v[218:219], v[168:169], v[44:45], v[218:219] op_sel:[0,0,1] op_sel_hi:[0,1,0] neg_lo:[0,0,1] neg_hi:[0,0,1]
	;; [unrolled: 2-line block ×3, first 2 shown]
	v_pk_fma_f32 v[230:231], v[174:175], v[44:45], v[222:223] op_sel:[0,0,1] op_sel_hi:[0,1,0] neg_lo:[0,0,1] neg_hi:[0,0,1]
	v_pk_fma_f32 v[222:223], v[174:175], v[44:45], v[222:223] op_sel:[0,0,1] op_sel_hi:[1,1,0]
	v_dual_mov_b32 v225, v47 :: v_dual_mov_b32 v227, v219
	s_delay_alu instid0(VALU_DEP_3)
	v_dual_mov_b32 v229, v221 :: v_dual_mov_b32 v223, v231
	ds_load_b128 v[44:47], v202 offset:400
	ds_store_2addr_b64 v191, v[224:225], v[226:227] offset1:67
	ds_store_2addr_b64 v191, v[228:229], v[222:223] offset0:134 offset1:201
	s_wait_dscnt 0x0
	s_barrier_signal -1
	s_barrier_wait -1
	ds_load_2addr_b64 v[218:221], v182 offset1:1
	ds_load_2addr_b64 v[222:225], v182 offset0:2 offset1:3
	s_wait_dscnt 0x0
	s_barrier_signal -1
	s_barrier_wait -1
	v_pk_add_f32 v[218:219], v[218:219], 0 op_sel_hi:[1,0]
	s_delay_alu instid0(VALU_DEP_1) | instskip(NEXT) | instid1(VALU_DEP_1)
	v_pk_add_f32 v[22:23], v[218:219], v[220:221]
	v_pk_add_f32 v[20:21], v[22:23], v[222:223]
	;; [unrolled: 1-line block ×3, first 2 shown]
	s_delay_alu instid0(VALU_DEP_2)
	v_pk_add_f32 v[18:19], v[20:21], v[224:225]
	ds_store_2addr_b64 v196, v[16:17], v[32:33] offset1:16
	ds_store_2addr_b64 v196, v[22:23], v[18:19] offset0:32 offset1:48
	s_wait_dscnt 0x0
	s_barrier_signal -1
	s_barrier_wait -1
	s_and_saveexec_b32 s63, s71
	s_cbranch_execz .LBB4_155
; %bb.154:                              ;   in Loop: Header=BB4_105 Depth=2
	ds_load_b64 v[36:37], v183
	ds_load_2addr_b64 v[16:19], v183 offset0:1 offset1:2
	ds_load_2addr_b64 v[20:23], v183 offset0:3 offset1:4
	;; [unrolled: 1-line block ×3, first 2 shown]
	s_wait_dscnt 0x2
	v_dual_add_f32 v16, v16, v36 :: v_dual_add_f32 v17, v17, v37
	s_delay_alu instid0(VALU_DEP_1) | instskip(SKIP_3) | instid1(VALU_DEP_1)
	v_dual_add_f32 v36, v18, v16 :: v_dual_add_f32 v37, v19, v17
	ds_load_2addr_b64 v[16:19], v183 offset0:7 offset1:8
	s_wait_dscnt 0x2
	v_dual_add_f32 v20, v36, v20 :: v_dual_add_f32 v21, v37, v21
	v_dual_add_f32 v36, v20, v22 :: v_dual_add_f32 v37, v21, v23
	ds_load_2addr_b64 v[20:23], v183 offset0:9 offset1:10
	s_wait_dscnt 0x2
	v_pk_add_f32 v[32:33], v[36:37], v[32:33]
	s_delay_alu instid0(VALU_DEP_1) | instskip(SKIP_3) | instid1(VALU_DEP_1)
	v_pk_add_f32 v[36:37], v[32:33], v[34:35]
	ds_load_2addr_b64 v[32:35], v183 offset0:11 offset1:12
	s_wait_dscnt 0x2
	v_pk_add_f32 v[16:17], v[36:37], v[16:17]
	v_pk_add_f32 v[16:17], v[16:17], v[18:19]
	s_wait_dscnt 0x1
	s_delay_alu instid0(VALU_DEP_1)
	v_pk_add_f32 v[20:21], v[16:17], v[20:21]
	ds_load_2addr_b64 v[16:19], v183 offset0:13 offset1:14
	v_pk_add_f32 v[20:21], v[20:21], v[22:23]
	ds_load_b64 v[22:23], v184
	s_wait_dscnt 0x2
	v_pk_add_f32 v[20:21], v[20:21], v[32:33]
	s_delay_alu instid0(VALU_DEP_1) | instskip(SKIP_1) | instid1(VALU_DEP_1)
	v_pk_add_f32 v[20:21], v[20:21], v[34:35]
	s_wait_dscnt 0x1
	v_pk_add_f32 v[16:17], v[20:21], v[16:17]
	s_delay_alu instid0(VALU_DEP_1) | instskip(SKIP_2) | instid1(VALU_DEP_2)
	v_pk_add_f32 v[16:17], v[16:17], v[18:19]
	v_add_nc_u32_e32 v18, s62, v178
	s_wait_dscnt 0x0
	v_pk_add_f32 v[16:17], v[16:17], v[22:23]
	global_store_b64 v18, v[16:17], s[60:61] scale_offset
.LBB4_155:                              ;   in Loop: Header=BB4_105 Depth=2
	s_wait_xcnt 0x0
	s_or_b32 exec_lo, exec_lo, s63
	v_dual_mov_b32 v16, v142 :: v_dual_mov_b32 v17, v142
	v_dual_mov_b32 v142, v143 :: v_dual_mov_b32 v18, v140
	;; [unrolled: 1-line block ×4, first 2 shown]
	s_delay_alu instid0(VALU_DEP_3) | instskip(SKIP_1) | instid1(VALU_DEP_4)
	v_pk_mul_f32 v[20:21], v[142:143], v[0:1]
	v_dual_mov_b32 v144, v145 :: v_dual_mov_b32 v147, v146
	v_pk_mul_f32 v[34:35], v[140:141], v[2:3]
	v_dual_mov_b32 v175, v174 :: v_dual_mov_b32 v177, v176
	s_delay_alu instid0(VALU_DEP_4)
	v_pk_fma_f32 v[32:33], v[16:17], v[0:1], v[20:21] op_sel:[0,0,1] op_sel_hi:[1,1,0]
	v_pk_fma_f32 v[0:1], v[16:17], v[0:1], v[20:21] op_sel:[0,0,1] op_sel_hi:[1,1,0] neg_lo:[0,0,1] neg_hi:[0,0,1]
	v_mov_b32_e32 v149, v148
	v_pk_fma_f32 v[16:17], v[18:19], v[2:3], v[34:35] op_sel:[0,0,1] op_sel_hi:[1,1,0]
	v_pk_mul_f32 v[20:21], v[144:145], v[4:5]
	v_mov_b32_e32 v1, v33
	v_pk_fma_f32 v[2:3], v[18:19], v[2:3], v[34:35] op_sel:[0,0,1] op_sel_hi:[1,1,0] neg_lo:[0,0,1] neg_hi:[0,0,1]
	v_pk_mul_f32 v[32:33], v[148:149], v[6:7]
	v_mov_b32_e32 v3, v17
	v_pk_fma_f32 v[16:17], v[22:23], v[4:5], v[20:21] op_sel:[0,0,1] op_sel_hi:[1,1,0]
	v_pk_add_f32 v[0:1], v[104:105], v[0:1]
	v_pk_fma_f32 v[4:5], v[22:23], v[4:5], v[20:21] op_sel:[0,0,1] op_sel_hi:[1,1,0] neg_lo:[0,0,1] neg_hi:[0,0,1]
	v_pk_fma_f32 v[18:19], v[146:147], v[6:7], v[32:33] op_sel:[0,0,1] op_sel_hi:[1,1,0]
	s_delay_alu instid0(VALU_DEP_4) | instskip(NEXT) | instid1(VALU_DEP_4)
	v_dual_mov_b32 v16, v15 :: v_dual_mov_b32 v5, v17
	v_pk_add_f32 v[0:1], v[0:1], v[2:3]
	v_pk_fma_f32 v[2:3], v[146:147], v[6:7], v[32:33] op_sel:[0,0,1] op_sel_hi:[1,1,0] neg_lo:[0,0,1] neg_hi:[0,0,1]
	v_pk_mul_f32 v[6:7], v[152:153], v[12:13] op_sel:[1,1] op_sel_hi:[0,1]
	v_mov_b32_e32 v3, v19
	v_pk_mul_f32 v[16:17], v[150:151], v[16:17] op_sel:[1,0] op_sel_hi:[0,0]
	v_pk_add_f32 v[0:1], v[0:1], v[4:5]
	v_add_nc_u64_e32 v[106:107], s[40:41], v[106:107]
	v_pk_fma_f32 v[4:5], v[152:153], v[12:13], v[6:7] op_sel_hi:[1,0,1]
	v_dual_mov_b32 v157, v58 :: v_dual_mov_b32 v4, v160
	s_delay_alu instid0(VALU_DEP_4) | instskip(SKIP_1) | instid1(VALU_DEP_4)
	v_pk_add_f32 v[0:1], v[0:1], v[2:3]
	v_pk_fma_f32 v[2:3], v[152:153], v[12:13], v[6:7] neg_lo:[0,0,1] neg_hi:[0,0,1]
	v_mov_b32_e32 v3, v5
	v_pk_fma_f32 v[6:7], v[150:151], v[14:15], v[16:17] op_sel_hi:[1,0,1]
	v_pk_fma_f32 v[12:13], v[150:151], v[14:15], v[16:17] neg_lo:[0,0,1] neg_hi:[0,0,1]
	v_dual_mov_b32 v5, v160 :: v_dual_mov_b32 v160, v161
	s_delay_alu instid0(VALU_DEP_4) | instskip(SKIP_3) | instid1(VALU_DEP_3)
	v_pk_add_f32 v[0:1], v[0:1], v[2:3]
	v_pk_mul_f32 v[2:3], v[154:155], v[8:9] op_sel:[1,1] op_sel_hi:[0,1]
	v_dual_mov_b32 v13, v7 :: v_dual_mov_b32 v6, v11
	v_dual_mov_b32 v14, v158 :: v_dual_mov_b32 v165, v164
	v_pk_fma_f32 v[16:17], v[154:155], v[8:9], v[2:3] op_sel_hi:[1,0,1]
	v_pk_fma_f32 v[2:3], v[154:155], v[8:9], v[2:3] neg_lo:[0,0,1] neg_hi:[0,0,1]
	v_mov_b32_e32 v15, v158
	v_pk_add_f32 v[0:1], v[0:1], v[12:13]
	v_pk_mul_f32 v[6:7], v[156:157], v[6:7] op_sel:[1,0] op_sel_hi:[0,0]
	v_dual_mov_b32 v3, v17 :: v_dual_mov_b32 v158, v159
	v_mov_b32_e32 v8, v162
	v_add_nc_u64_e32 v[108:109], s[40:41], v[108:109]
	s_delay_alu instid0(VALU_DEP_4) | instskip(NEXT) | instid1(VALU_DEP_4)
	v_pk_fma_f32 v[12:13], v[156:157], v[10:11], v[6:7] op_sel_hi:[1,0,1]
	v_pk_add_f32 v[0:1], v[0:1], v[2:3]
	v_pk_mul_f32 v[2:3], v[160:161], v[28:29]
	v_pk_fma_f32 v[6:7], v[156:157], v[10:11], v[6:7] neg_lo:[0,0,1] neg_hi:[0,0,1]
	s_delay_alu instid0(VALU_DEP_4) | instskip(SKIP_1) | instid1(VALU_DEP_4)
	v_dual_mov_b32 v9, v162 :: v_dual_mov_b32 v7, v13
	v_mov_b32_e32 v162, v163
	v_pk_fma_f32 v[10:11], v[4:5], v[28:29], v[2:3] op_sel:[0,0,1] op_sel_hi:[1,1,0]
	v_pk_fma_f32 v[2:3], v[4:5], v[28:29], v[2:3] op_sel:[0,0,1] op_sel_hi:[1,1,0] neg_lo:[0,0,1] neg_hi:[0,0,1]
	v_mov_b32_e32 v167, v166
	v_pk_add_f32 v[0:1], v[0:1], v[6:7]
	v_pk_mul_f32 v[6:7], v[158:159], v[30:31]
	v_dual_mov_b32 v3, v11 :: v_dual_mov_b32 v4, v170
	v_mov_b32_e32 v5, v170
	v_add_nc_u64_e32 v[110:111], s[40:41], v[110:111]
	s_delay_alu instid0(VALU_DEP_4) | instskip(NEXT) | instid1(VALU_DEP_4)
	v_pk_fma_f32 v[10:11], v[14:15], v[30:31], v[6:7] op_sel:[0,0,1] op_sel_hi:[1,1,0]
	v_pk_add_f32 v[0:1], v[0:1], v[2:3]
	v_pk_mul_f32 v[2:3], v[162:163], v[24:25]
	v_pk_fma_f32 v[6:7], v[14:15], v[30:31], v[6:7] op_sel:[0,0,1] op_sel_hi:[1,1,0] neg_lo:[0,0,1] neg_hi:[0,0,1]
	s_delay_alu instid0(VALU_DEP_4) | instskip(SKIP_1) | instid1(VALU_DEP_4)
	v_dual_mov_b32 v170, v171 :: v_dual_mov_b32 v7, v11
	v_dual_mov_b32 v10, v168 :: v_dual_mov_b32 v11, v168
	v_pk_fma_f32 v[12:13], v[8:9], v[24:25], v[2:3] op_sel:[0,0,1] op_sel_hi:[1,1,0]
	v_pk_fma_f32 v[2:3], v[8:9], v[24:25], v[2:3] op_sel:[0,0,1] op_sel_hi:[1,1,0] neg_lo:[0,0,1] neg_hi:[0,0,1]
	v_mov_b32_e32 v168, v169
	v_pk_add_f32 v[0:1], v[0:1], v[6:7]
	v_pk_mul_f32 v[6:7], v[166:167], v[26:27]
	v_dual_mov_b32 v3, v13 :: v_dual_mov_b32 v8, v172
	v_mov_b32_e32 v9, v172
	v_add_nc_u64_e32 v[112:113], s[40:41], v[112:113]
	s_delay_alu instid0(VALU_DEP_4) | instskip(NEXT) | instid1(VALU_DEP_4)
	v_pk_fma_f32 v[12:13], v[164:165], v[26:27], v[6:7] op_sel:[0,0,1] op_sel_hi:[1,1,0]
	v_pk_add_f32 v[0:1], v[0:1], v[2:3]
	v_pk_fma_f32 v[2:3], v[164:165], v[26:27], v[6:7] op_sel:[0,0,1] op_sel_hi:[1,1,0] neg_lo:[0,0,1] neg_hi:[0,0,1]
	v_pk_mul_f32 v[6:7], v[170:171], v[40:41]
	s_delay_alu instid0(VALU_DEP_4) | instskip(SKIP_2) | instid1(VALU_DEP_4)
	v_dual_mov_b32 v172, v173 :: v_dual_mov_b32 v3, v13
	v_pk_mul_f32 v[12:13], v[168:169], v[42:43]
	v_add_nc_u64_e32 v[114:115], s[40:41], v[114:115]
	v_pk_fma_f32 v[14:15], v[4:5], v[40:41], v[6:7] op_sel:[0,0,1] op_sel_hi:[1,1,0]
	v_pk_fma_f32 v[4:5], v[4:5], v[40:41], v[6:7] op_sel:[0,0,1] op_sel_hi:[1,1,0] neg_lo:[0,0,1] neg_hi:[0,0,1]
	v_pk_add_f32 v[0:1], v[0:1], v[2:3]
	v_pk_fma_f32 v[2:3], v[10:11], v[42:43], v[12:13] op_sel:[0,0,1] op_sel_hi:[1,1,0]
	v_pk_mul_f32 v[16:17], v[172:173], v[44:45]
	v_mov_b32_e32 v5, v15
	v_pk_fma_f32 v[6:7], v[10:11], v[42:43], v[12:13] op_sel:[0,0,1] op_sel_hi:[1,1,0] neg_lo:[0,0,1] neg_hi:[0,0,1]
	v_pk_mul_f32 v[10:11], v[176:177], v[46:47]
	v_mov_b32_e32 v7, v3
	v_pk_fma_f32 v[2:3], v[8:9], v[44:45], v[16:17] op_sel:[0,0,1] op_sel_hi:[1,1,0]
	v_pk_add_f32 v[0:1], v[0:1], v[4:5]
	v_pk_fma_f32 v[4:5], v[8:9], v[44:45], v[16:17] op_sel:[0,0,1] op_sel_hi:[1,1,0] neg_lo:[0,0,1] neg_hi:[0,0,1]
	v_add_nc_u64_e32 v[116:117], s[40:41], v[116:117]
	v_add_nc_u64_e32 v[118:119], s[40:41], v[118:119]
	v_mov_b32_e32 v5, v3
	v_pk_fma_f32 v[2:3], v[174:175], v[46:47], v[10:11] op_sel:[0,0,1] op_sel_hi:[1,1,0]
	v_pk_add_f32 v[0:1], v[0:1], v[6:7]
	v_pk_fma_f32 v[6:7], v[174:175], v[46:47], v[10:11] op_sel:[0,0,1] op_sel_hi:[1,1,0] neg_lo:[0,0,1] neg_hi:[0,0,1]
	v_add_nc_u64_e32 v[120:121], s[40:41], v[120:121]
	v_add_nc_u64_e32 v[122:123], s[40:41], v[122:123]
	v_mov_b32_e32 v7, v3
	v_pk_add_f32 v[0:1], v[0:1], v[4:5]
	v_add_nc_u64_e32 v[124:125], s[40:41], v[124:125]
	v_add_nc_u64_e32 v[126:127], s[40:41], v[126:127]
	v_add_nc_u64_e32 v[128:129], s[40:41], v[128:129]
	v_add_nc_u64_e32 v[130:131], s[40:41], v[130:131]
	v_add_nc_u64_e32 v[132:133], s[40:41], v[132:133]
	v_add_nc_u64_e32 v[134:135], s[40:41], v[134:135]
	v_add_nc_u64_e32 v[136:137], s[40:41], v[136:137]
	v_pk_add_f32 v[104:105], v[0:1], v[6:7]
	s_add_co_i32 s63, s70, 1
	s_add_co_i32 s70, s70, 2
	;; [unrolled: 1-line block ×3, first 2 shown]
	s_cmp_ge_u32 s70, s24
	s_wait_storecnt 0x0
	s_barrier_signal -1
	s_barrier_wait -1
	s_cbranch_scc1 .LBB4_157
; %bb.156:                              ;   in Loop: Header=BB4_105 Depth=2
	s_mov_b32 s70, s63
	s_delay_alu instid0(SALU_CYCLE_1)
	s_cmp_eq_u32 s66, s70
	s_cselect_b32 s71, s25, 0
	s_and_saveexec_b32 s72, s0
	s_cbranch_execnz .LBB4_101
	s_branch .LBB4_105
.LBB4_157:                              ;   in Loop: Header=BB4_4 Depth=1
	ds_store_b64 v192, v[104:105]
	s_wait_dscnt 0x0
	s_barrier_signal -1
	s_barrier_wait -1
	s_and_saveexec_b32 s62, s67
	s_cbranch_execz .LBB4_2
; %bb.158:                              ;   in Loop: Header=BB4_4 Depth=1
	ds_load_2addr_b64 v[0:3], v60 offset1:67
	ds_load_2addr_b64 v[4:7], v60 offset0:134 offset1:201
	s_wait_dscnt 0x1
	v_pk_add_f32 v[0:1], v[2:3], v[0:1]
	v_lshl_add_u64 v[2:3], v[62:63], 3, s[60:61]
	s_wait_dscnt 0x0
	s_delay_alu instid0(VALU_DEP_2) | instskip(NEXT) | instid1(VALU_DEP_1)
	v_pk_add_f32 v[0:1], v[4:5], v[0:1]
	v_pk_add_f32 v[0:1], v[0:1], v[6:7]
	global_store_b64 v[2:3], v[0:1], off
	s_branch .LBB4_2
.LBB4_159:                              ;   in Loop: Header=BB4_4 Depth=1
	ds_load_b64 v[4:5], v189
	s_mov_b32 s60, exec_lo
	s_wait_dscnt 0x0
	v_xor_b32_e32 v2, 0x80000000, v5
	ds_store_b32 v198, v4
	s_or_saveexec_b32 s61, s61
	v_mov_b32_e32 v3, v198
	s_xor_b32 exec_lo, exec_lo, s61
	s_cbranch_execz .LBB4_31
.LBB4_160:                              ;   in Loop: Header=BB4_4 Depth=1
	v_dual_mov_b32 v2, 0 :: v_dual_mov_b32 v3, v179
	s_and_not1_b32 s60, s60, exec_lo
	s_and_b32 s62, s15, exec_lo
	s_delay_alu instid0(SALU_CYCLE_1)
	s_or_b32 s60, s60, s62
	s_or_b32 exec_lo, exec_lo, s61
	s_and_saveexec_b32 s61, s60
	s_cbranch_execnz .LBB4_32
	s_branch .LBB4_33
.LBB4_161:                              ;   in Loop: Header=BB4_4 Depth=1
	ds_load_b64 v[4:5], v189
	s_mov_b32 s60, exec_lo
	s_wait_dscnt 0x0
	v_xor_b32_e32 v2, 0x80000000, v5
	ds_store_b32 v198, v4
	s_or_saveexec_b32 s61, s61
	v_mov_b32_e32 v3, v198
	s_xor_b32 exec_lo, exec_lo, s61
	s_cbranch_execz .LBB4_67
.LBB4_162:                              ;   in Loop: Header=BB4_4 Depth=1
	v_dual_mov_b32 v2, 0 :: v_dual_mov_b32 v3, v179
	s_and_not1_b32 s60, s60, exec_lo
	s_and_b32 s62, s15, exec_lo
	s_delay_alu instid0(SALU_CYCLE_1)
	s_or_b32 s60, s60, s62
	s_or_b32 exec_lo, exec_lo, s61
	s_and_saveexec_b32 s61, s60
	s_cbranch_execnz .LBB4_68
	s_branch .LBB4_69
.LBB4_163:
	s_sendmsg sendmsg(MSG_DEALLOC_VGPRS)
	s_endpgm
	.section	.rodata,"a",@progbits
	.p2align	6, 0x0
	.amdhsa_kernel _ZL26rocblas_hemvn_kernel_upperILb1ELi64ELi4ELi33ELi32ELi16El19rocblas_complex_numIfEPKS1_PS1_EviT6_lT7_lT5_lS6_lS7_lS5_lT8_i
		.amdhsa_group_segment_fixed_size 9600
		.amdhsa_private_segment_fixed_size 0
		.amdhsa_kernarg_size 376
		.amdhsa_user_sgpr_count 2
		.amdhsa_user_sgpr_dispatch_ptr 0
		.amdhsa_user_sgpr_queue_ptr 0
		.amdhsa_user_sgpr_kernarg_segment_ptr 1
		.amdhsa_user_sgpr_dispatch_id 0
		.amdhsa_user_sgpr_kernarg_preload_length 0
		.amdhsa_user_sgpr_kernarg_preload_offset 0
		.amdhsa_user_sgpr_private_segment_size 0
		.amdhsa_wavefront_size32 1
		.amdhsa_uses_dynamic_stack 0
		.amdhsa_enable_private_segment 0
		.amdhsa_system_sgpr_workgroup_id_x 1
		.amdhsa_system_sgpr_workgroup_id_y 0
		.amdhsa_system_sgpr_workgroup_id_z 1
		.amdhsa_system_sgpr_workgroup_info 0
		.amdhsa_system_vgpr_workitem_id 1
		.amdhsa_next_free_vgpr 232
		.amdhsa_next_free_sgpr 76
		.amdhsa_named_barrier_count 0
		.amdhsa_reserve_vcc 1
		.amdhsa_float_round_mode_32 0
		.amdhsa_float_round_mode_16_64 0
		.amdhsa_float_denorm_mode_32 3
		.amdhsa_float_denorm_mode_16_64 3
		.amdhsa_fp16_overflow 0
		.amdhsa_memory_ordered 1
		.amdhsa_forward_progress 1
		.amdhsa_inst_pref_size 72
		.amdhsa_round_robin_scheduling 0
		.amdhsa_exception_fp_ieee_invalid_op 0
		.amdhsa_exception_fp_denorm_src 0
		.amdhsa_exception_fp_ieee_div_zero 0
		.amdhsa_exception_fp_ieee_overflow 0
		.amdhsa_exception_fp_ieee_underflow 0
		.amdhsa_exception_fp_ieee_inexact 0
		.amdhsa_exception_int_div_zero 0
	.end_amdhsa_kernel
	.section	.text._ZL26rocblas_hemvn_kernel_upperILb1ELi64ELi4ELi33ELi32ELi16El19rocblas_complex_numIfEPKS1_PS1_EviT6_lT7_lT5_lS6_lS7_lS5_lT8_i,"axG",@progbits,_ZL26rocblas_hemvn_kernel_upperILb1ELi64ELi4ELi33ELi32ELi16El19rocblas_complex_numIfEPKS1_PS1_EviT6_lT7_lT5_lS6_lS7_lS5_lT8_i,comdat
.Lfunc_end4:
	.size	_ZL26rocblas_hemvn_kernel_upperILb1ELi64ELi4ELi33ELi32ELi16El19rocblas_complex_numIfEPKS1_PS1_EviT6_lT7_lT5_lS6_lS7_lS5_lT8_i, .Lfunc_end4-_ZL26rocblas_hemvn_kernel_upperILb1ELi64ELi4ELi33ELi32ELi16El19rocblas_complex_numIfEPKS1_PS1_EviT6_lT7_lT5_lS6_lS7_lS5_lT8_i
                                        ; -- End function
	.set _ZL26rocblas_hemvn_kernel_upperILb1ELi64ELi4ELi33ELi32ELi16El19rocblas_complex_numIfEPKS1_PS1_EviT6_lT7_lT5_lS6_lS7_lS5_lT8_i.num_vgpr, 232
	.set _ZL26rocblas_hemvn_kernel_upperILb1ELi64ELi4ELi33ELi32ELi16El19rocblas_complex_numIfEPKS1_PS1_EviT6_lT7_lT5_lS6_lS7_lS5_lT8_i.num_agpr, 0
	.set _ZL26rocblas_hemvn_kernel_upperILb1ELi64ELi4ELi33ELi32ELi16El19rocblas_complex_numIfEPKS1_PS1_EviT6_lT7_lT5_lS6_lS7_lS5_lT8_i.numbered_sgpr, 76
	.set _ZL26rocblas_hemvn_kernel_upperILb1ELi64ELi4ELi33ELi32ELi16El19rocblas_complex_numIfEPKS1_PS1_EviT6_lT7_lT5_lS6_lS7_lS5_lT8_i.num_named_barrier, 0
	.set _ZL26rocblas_hemvn_kernel_upperILb1ELi64ELi4ELi33ELi32ELi16El19rocblas_complex_numIfEPKS1_PS1_EviT6_lT7_lT5_lS6_lS7_lS5_lT8_i.private_seg_size, 0
	.set _ZL26rocblas_hemvn_kernel_upperILb1ELi64ELi4ELi33ELi32ELi16El19rocblas_complex_numIfEPKS1_PS1_EviT6_lT7_lT5_lS6_lS7_lS5_lT8_i.uses_vcc, 1
	.set _ZL26rocblas_hemvn_kernel_upperILb1ELi64ELi4ELi33ELi32ELi16El19rocblas_complex_numIfEPKS1_PS1_EviT6_lT7_lT5_lS6_lS7_lS5_lT8_i.uses_flat_scratch, 0
	.set _ZL26rocblas_hemvn_kernel_upperILb1ELi64ELi4ELi33ELi32ELi16El19rocblas_complex_numIfEPKS1_PS1_EviT6_lT7_lT5_lS6_lS7_lS5_lT8_i.has_dyn_sized_stack, 0
	.set _ZL26rocblas_hemvn_kernel_upperILb1ELi64ELi4ELi33ELi32ELi16El19rocblas_complex_numIfEPKS1_PS1_EviT6_lT7_lT5_lS6_lS7_lS5_lT8_i.has_recursion, 0
	.set _ZL26rocblas_hemvn_kernel_upperILb1ELi64ELi4ELi33ELi32ELi16El19rocblas_complex_numIfEPKS1_PS1_EviT6_lT7_lT5_lS6_lS7_lS5_lT8_i.has_indirect_call, 0
	.section	.AMDGPU.csdata,"",@progbits
; Kernel info:
; codeLenInByte = 9152
; TotalNumSgprs: 78
; NumVgprs: 232
; ScratchSize: 0
; MemoryBound: 1
; FloatMode: 240
; IeeeMode: 1
; LDSByteSize: 9600 bytes/workgroup (compile time only)
; SGPRBlocks: 0
; VGPRBlocks: 14
; NumSGPRsForWavesPerEU: 78
; NumVGPRsForWavesPerEU: 232
; NamedBarCnt: 0
; Occupancy: 4
; WaveLimiterHint : 1
; COMPUTE_PGM_RSRC2:SCRATCH_EN: 0
; COMPUTE_PGM_RSRC2:USER_SGPR: 2
; COMPUTE_PGM_RSRC2:TRAP_HANDLER: 0
; COMPUTE_PGM_RSRC2:TGID_X_EN: 1
; COMPUTE_PGM_RSRC2:TGID_Y_EN: 0
; COMPUTE_PGM_RSRC2:TGID_Z_EN: 1
; COMPUTE_PGM_RSRC2:TIDIG_COMP_CNT: 1
	.section	.text._ZL36rocblas_hemvn_kernel_upper_block_sumILi64El19rocblas_complex_numIfEPS1_S1_EviT1_lS3_lT2_lT0_lPT3_i,"axG",@progbits,_ZL36rocblas_hemvn_kernel_upper_block_sumILi64El19rocblas_complex_numIfEPS1_S1_EviT1_lS3_lT2_lT0_lPT3_i,comdat
	.globl	_ZL36rocblas_hemvn_kernel_upper_block_sumILi64El19rocblas_complex_numIfEPS1_S1_EviT1_lS3_lT2_lT0_lPT3_i ; -- Begin function _ZL36rocblas_hemvn_kernel_upper_block_sumILi64El19rocblas_complex_numIfEPS1_S1_EviT1_lS3_lT2_lT0_lPT3_i
	.p2align	8
	.type	_ZL36rocblas_hemvn_kernel_upper_block_sumILi64El19rocblas_complex_numIfEPS1_S1_EviT1_lS3_lT2_lT0_lPT3_i,@function
_ZL36rocblas_hemvn_kernel_upper_block_sumILi64El19rocblas_complex_numIfEPS1_S1_EviT1_lS3_lT2_lT0_lPT3_i: ; @_ZL36rocblas_hemvn_kernel_upper_block_sumILi64El19rocblas_complex_numIfEPS1_S1_EviT1_lS3_lT2_lT0_lPT3_i
; %bb.0:
	s_load_b32 s3, s[0:1], 0x50
	s_bfe_u32 s2, ttmp6, 0x40014
	s_lshr_b32 s4, ttmp7, 16
	s_add_co_i32 s2, s2, 1
	s_bfe_u32 s6, ttmp6, 0x40008
	s_mul_i32 s5, s4, s2
	s_getreg_b32 s2, hwreg(HW_REG_IB_STS2, 6, 4)
	s_add_co_i32 s6, s6, s5
	s_cmp_eq_u32 s2, 0
	s_mov_b32 s13, 0
	s_cselect_b32 s12, s4, s6
	s_wait_kmcnt 0x0
	s_cmp_ge_u32 s12, s3
	s_cbranch_scc1 .LBB5_21
; %bb.1:
	s_clause 0x3
	s_load_b64 s[14:15], s[0:1], 0x4
	s_load_b256 s[4:11], s[0:1], 0x30
	s_load_b64 s[16:17], s[0:1], 0x18
	s_load_b32 s20, s[0:1], 0x0
	s_wait_kmcnt 0x0
	s_or_b32 s18, s14, s15
	s_lshl_b64 s[4:5], s[4:5], 3
	s_bitset0_b32 s18, 31
	s_delay_alu instid0(SALU_CYCLE_1)
	s_cmp_eq_u32 s18, 0
	s_cselect_b32 s22, -1, 0
	s_cmp_lg_u32 s18, 0
	s_cselect_b32 s25, -1, 0
	s_cmp_neq_f32 s16, 1.0
	s_cselect_b32 s26, -1, 0
	s_cmp_neq_f32 s17, 0
	s_cselect_b32 s27, -1, 0
	s_bfe_u32 s18, ttmp6, 0x4000c
	s_and_b32 s19, ttmp6, 15
	s_add_co_i32 s18, s18, 1
	s_delay_alu instid0(SALU_CYCLE_1) | instskip(NEXT) | instid1(SALU_CYCLE_1)
	s_mul_i32 s18, ttmp9, s18
	s_add_co_i32 s19, s19, s18
	s_cmp_eq_u32 s2, 0
	s_cselect_b32 s28, ttmp9, s19
	s_load_b64 s[18:19], s[0:1], 0x28
	v_lshl_or_b32 v2, s28, 6, v0
	s_cmp_neq_f32 s16, 0
	s_wait_xcnt 0x0
	s_add_nc_u64 s[0:1], s[0:1], 0x58
	s_delay_alu instid0(VALU_DEP_1) | instskip(SKIP_1) | instid1(VALU_DEP_2)
	v_ashrrev_i32_e32 v3, 31, v2
	v_cmp_gt_i32_e64 s2, s20, v2
	v_mul_u64_e32 v[0:1], s[6:7], v[2:3]
	s_cselect_b32 s6, -1, 0
	s_ashr_i32 s21, s20, 31
	s_or_b32 s6, s6, s27
	v_lshl_add_u64 v[2:3], v[2:3], 3, s[10:11]
	s_xor_b32 s23, s6, -1
	s_cmp_gt_i32 s28, -1
	v_cndmask_b32_e64 v10, 0, 1, s6
	s_cselect_b32 s24, -1, 0
	s_wait_kmcnt 0x0
	s_add_nc_u64 s[4:5], s[18:19], s[4:5]
	s_or_b32 s19, s26, s27
	s_mov_b32 s6, s15
	s_mov_b32 s7, s14
	;; [unrolled: 1-line block ×3, first 2 shown]
	s_or_b32 s25, s19, s25
	s_mov_b32 s19, s16
	s_add_co_i32 s26, s28, 1
	s_lshl_b64 s[10:11], s[20:21], 3
	s_branch .LBB5_5
.LBB5_2:                                ;   in Loop: Header=BB5_5 Depth=1
	global_store_b64 v[6:7], v[8:9], off
.LBB5_3:                                ;   in Loop: Header=BB5_5 Depth=1
	s_wait_xcnt 0x0
	s_or_b32 exec_lo, exec_lo, s27
.LBB5_4:                                ;   in Loop: Header=BB5_5 Depth=1
	s_add_co_i32 s12, s12, 0x10000
	s_delay_alu instid0(SALU_CYCLE_1)
	s_cmp_lt_u32 s12, s3
	s_cbranch_scc0 .LBB5_21
.LBB5_5:                                ; =>This Loop Header: Depth=1
                                        ;     Child Loop BB5_16 Depth 2
	s_and_not1_b32 vcc_lo, exec_lo, s25
	s_cbranch_vccnz .LBB5_4
; %bb.6:                                ;   in Loop: Header=BB5_5 Depth=1
	s_mul_u64 s[20:21], s[8:9], s[12:13]
	s_and_not1_b32 vcc_lo, exec_lo, s22
	s_lshl_b64 s[20:21], s[20:21], 3
	s_mov_b32 s27, -1
	s_add_nc_u64 s[20:21], s[4:5], s[20:21]
	s_cbranch_vccnz .LBB5_12
; %bb.7:                                ;   in Loop: Header=BB5_5 Depth=1
	s_and_saveexec_b32 s27, s2
	s_cbranch_execz .LBB5_11
; %bb.8:                                ;   in Loop: Header=BB5_5 Depth=1
	v_cmp_ne_u32_e32 vcc_lo, 1, v10
	v_dual_mov_b32 v4, 0 :: v_dual_mov_b32 v5, 0
	s_cbranch_vccnz .LBB5_10
; %bb.9:                                ;   in Loop: Header=BB5_5 Depth=1
	v_lshl_add_u64 v[4:5], v[0:1], 3, s[20:21]
	v_mov_b64_e32 v[6:7], s[18:19]
	v_mov_b64_e32 v[8:9], s[16:17]
	global_load_b64 v[4:5], v[4:5], off
	s_wait_loadcnt 0x0
	v_pk_mul_f32 v[6:7], v[4:5], v[6:7] op_sel:[1,0]
	s_delay_alu instid0(VALU_DEP_1) | instskip(SKIP_2) | instid1(VALU_DEP_2)
	v_pk_fma_f32 v[12:13], v[4:5], v[8:9], v[6:7] op_sel_hi:[0,1,1]
	s_wait_xcnt 0x0
	v_pk_fma_f32 v[4:5], v[4:5], v[8:9], v[6:7] neg_lo:[0,0,1] neg_hi:[0,0,1]
	v_mov_b32_e32 v5, v13
.LBB5_10:                               ;   in Loop: Header=BB5_5 Depth=1
	v_lshl_add_u64 v[6:7], v[0:1], 3, s[20:21]
	global_store_b64 v[6:7], v[4:5], off
.LBB5_11:                               ;   in Loop: Header=BB5_5 Depth=1
	s_wait_xcnt 0x0
	s_or_b32 exec_lo, exec_lo, s27
	s_mov_b32 s27, 0
.LBB5_12:                               ;   in Loop: Header=BB5_5 Depth=1
	s_delay_alu instid0(SALU_CYCLE_1)
	s_and_not1_b32 vcc_lo, exec_lo, s27
	s_cbranch_vccnz .LBB5_4
; %bb.13:                               ;   in Loop: Header=BB5_5 Depth=1
	s_and_saveexec_b32 s27, s2
	s_cbranch_execz .LBB5_3
; %bb.14:                               ;   in Loop: Header=BB5_5 Depth=1
	v_mov_b32_e32 v5, 0
	s_and_not1_b32 vcc_lo, exec_lo, s24
	s_delay_alu instid0(VALU_DEP_1)
	v_mov_b32_e32 v4, v5
	s_cbranch_vccnz .LBB5_17
; %bb.15:                               ;   in Loop: Header=BB5_5 Depth=1
	s_load_b32 s28, s[0:1], 0x0
	s_mov_b32 s29, s13
	v_mov_b32_e32 v4, 0
	s_delay_alu instid0(VALU_DEP_1) | instskip(SKIP_2) | instid1(SALU_CYCLE_1)
	v_mov_b32_e32 v5, v4
	s_wait_kmcnt 0x0
	s_mul_u64 s[28:29], s[10:11], s[28:29]
	v_mad_nc_u64_u32 v[6:7], s28, s12, v[2:3]
	s_mov_b32 s28, s26
	s_delay_alu instid0(VALU_DEP_1)
	v_mad_u32 v7, s29, s12, v7
.LBB5_16:                               ;   Parent Loop BB5_5 Depth=1
                                        ; =>  This Inner Loop Header: Depth=2
	global_load_b64 v[8:9], v[6:7], off
	s_wait_xcnt 0x0
	v_add_nc_u64_e32 v[6:7], s[10:11], v[6:7]
	s_add_co_i32 s28, s28, -1
	s_delay_alu instid0(SALU_CYCLE_1)
	s_cmp_eq_u32 s28, 0
	s_wait_loadcnt 0x0
	v_pk_add_f32 v[4:5], v[4:5], v[8:9]
	s_cbranch_scc0 .LBB5_16
.LBB5_17:                               ;   in Loop: Header=BB5_5 Depth=1
	s_and_b32 vcc_lo, exec_lo, s23
	s_mov_b32 s28, -1
                                        ; implicit-def: $vgpr9
	s_cbranch_vccz .LBB5_19
; %bb.18:                               ;   in Loop: Header=BB5_5 Depth=1
	v_mov_b64_e32 v[6:7], s[6:7]
	v_mov_b64_e32 v[8:9], s[14:15]
	s_mov_b32 s28, 0
	s_delay_alu instid0(VALU_DEP_2) | instskip(NEXT) | instid1(VALU_DEP_2)
	v_pk_mul_f32 v[6:7], v[4:5], v[6:7] op_sel:[1,0]
	v_pk_mul_f32 v[12:13], v[4:5], v[8:9] op_sel_hi:[0,1]
	s_delay_alu instid0(VALU_DEP_2) | instskip(NEXT) | instid1(VALU_DEP_2)
	v_pk_fma_f32 v[8:9], v[4:5], v[8:9], v[6:7] op_sel_hi:[0,1,1]
	v_sub_f32_e32 v8, v12, v6
.LBB5_19:                               ;   in Loop: Header=BB5_5 Depth=1
	v_lshl_add_u64 v[6:7], v[0:1], 3, s[20:21]
	s_and_not1_b32 vcc_lo, exec_lo, s28
	s_cbranch_vccnz .LBB5_2
; %bb.20:                               ;   in Loop: Header=BB5_5 Depth=1
	global_load_b64 v[8:9], v[6:7], off
	v_mov_b64_e32 v[12:13], s[18:19]
	v_mov_b64_e32 v[14:15], s[6:7]
	;; [unrolled: 1-line block ×4, first 2 shown]
	s_delay_alu instid0(VALU_DEP_3) | instskip(NEXT) | instid1(VALU_DEP_1)
	v_pk_mul_f32 v[14:15], v[4:5], v[14:15] op_sel:[1,0]
	v_pk_fma_f32 v[22:23], v[4:5], v[18:19], v[14:15] op_sel_hi:[0,1,1]
	v_pk_fma_f32 v[4:5], v[4:5], v[18:19], v[14:15] neg_lo:[0,0,1] neg_hi:[0,0,1]
	s_delay_alu instid0(VALU_DEP_2) | instskip(SKIP_2) | instid1(VALU_DEP_1)
	v_mov_b32_e32 v5, v23
	s_wait_loadcnt 0x0
	v_pk_mul_f32 v[12:13], v[8:9], v[12:13] op_sel:[1,0]
	v_pk_fma_f32 v[20:21], v[8:9], v[16:17], v[12:13] op_sel_hi:[0,1,1]
	v_pk_fma_f32 v[8:9], v[8:9], v[16:17], v[12:13] neg_lo:[0,0,1] neg_hi:[0,0,1]
	s_delay_alu instid0(VALU_DEP_2) | instskip(NEXT) | instid1(VALU_DEP_1)
	v_mov_b32_e32 v9, v21
	v_pk_add_f32 v[8:9], v[4:5], v[8:9]
	s_branch .LBB5_2
.LBB5_21:
	s_endpgm
	.section	.rodata,"a",@progbits
	.p2align	6, 0x0
	.amdhsa_kernel _ZL36rocblas_hemvn_kernel_upper_block_sumILi64El19rocblas_complex_numIfEPS1_S1_EviT1_lS3_lT2_lT0_lPT3_i
		.amdhsa_group_segment_fixed_size 0
		.amdhsa_private_segment_fixed_size 0
		.amdhsa_kernarg_size 344
		.amdhsa_user_sgpr_count 2
		.amdhsa_user_sgpr_dispatch_ptr 0
		.amdhsa_user_sgpr_queue_ptr 0
		.amdhsa_user_sgpr_kernarg_segment_ptr 1
		.amdhsa_user_sgpr_dispatch_id 0
		.amdhsa_user_sgpr_kernarg_preload_length 0
		.amdhsa_user_sgpr_kernarg_preload_offset 0
		.amdhsa_user_sgpr_private_segment_size 0
		.amdhsa_wavefront_size32 1
		.amdhsa_uses_dynamic_stack 0
		.amdhsa_enable_private_segment 0
		.amdhsa_system_sgpr_workgroup_id_x 1
		.amdhsa_system_sgpr_workgroup_id_y 0
		.amdhsa_system_sgpr_workgroup_id_z 1
		.amdhsa_system_sgpr_workgroup_info 0
		.amdhsa_system_vgpr_workitem_id 0
		.amdhsa_next_free_vgpr 24
		.amdhsa_next_free_sgpr 30
		.amdhsa_named_barrier_count 0
		.amdhsa_reserve_vcc 1
		.amdhsa_float_round_mode_32 0
		.amdhsa_float_round_mode_16_64 0
		.amdhsa_float_denorm_mode_32 3
		.amdhsa_float_denorm_mode_16_64 3
		.amdhsa_fp16_overflow 0
		.amdhsa_memory_ordered 1
		.amdhsa_forward_progress 1
		.amdhsa_inst_pref_size 7
		.amdhsa_round_robin_scheduling 0
		.amdhsa_exception_fp_ieee_invalid_op 0
		.amdhsa_exception_fp_denorm_src 0
		.amdhsa_exception_fp_ieee_div_zero 0
		.amdhsa_exception_fp_ieee_overflow 0
		.amdhsa_exception_fp_ieee_underflow 0
		.amdhsa_exception_fp_ieee_inexact 0
		.amdhsa_exception_int_div_zero 0
	.end_amdhsa_kernel
	.section	.text._ZL36rocblas_hemvn_kernel_upper_block_sumILi64El19rocblas_complex_numIfEPS1_S1_EviT1_lS3_lT2_lT0_lPT3_i,"axG",@progbits,_ZL36rocblas_hemvn_kernel_upper_block_sumILi64El19rocblas_complex_numIfEPS1_S1_EviT1_lS3_lT2_lT0_lPT3_i,comdat
.Lfunc_end5:
	.size	_ZL36rocblas_hemvn_kernel_upper_block_sumILi64El19rocblas_complex_numIfEPS1_S1_EviT1_lS3_lT2_lT0_lPT3_i, .Lfunc_end5-_ZL36rocblas_hemvn_kernel_upper_block_sumILi64El19rocblas_complex_numIfEPS1_S1_EviT1_lS3_lT2_lT0_lPT3_i
                                        ; -- End function
	.set _ZL36rocblas_hemvn_kernel_upper_block_sumILi64El19rocblas_complex_numIfEPS1_S1_EviT1_lS3_lT2_lT0_lPT3_i.num_vgpr, 24
	.set _ZL36rocblas_hemvn_kernel_upper_block_sumILi64El19rocblas_complex_numIfEPS1_S1_EviT1_lS3_lT2_lT0_lPT3_i.num_agpr, 0
	.set _ZL36rocblas_hemvn_kernel_upper_block_sumILi64El19rocblas_complex_numIfEPS1_S1_EviT1_lS3_lT2_lT0_lPT3_i.numbered_sgpr, 30
	.set _ZL36rocblas_hemvn_kernel_upper_block_sumILi64El19rocblas_complex_numIfEPS1_S1_EviT1_lS3_lT2_lT0_lPT3_i.num_named_barrier, 0
	.set _ZL36rocblas_hemvn_kernel_upper_block_sumILi64El19rocblas_complex_numIfEPS1_S1_EviT1_lS3_lT2_lT0_lPT3_i.private_seg_size, 0
	.set _ZL36rocblas_hemvn_kernel_upper_block_sumILi64El19rocblas_complex_numIfEPS1_S1_EviT1_lS3_lT2_lT0_lPT3_i.uses_vcc, 1
	.set _ZL36rocblas_hemvn_kernel_upper_block_sumILi64El19rocblas_complex_numIfEPS1_S1_EviT1_lS3_lT2_lT0_lPT3_i.uses_flat_scratch, 0
	.set _ZL36rocblas_hemvn_kernel_upper_block_sumILi64El19rocblas_complex_numIfEPS1_S1_EviT1_lS3_lT2_lT0_lPT3_i.has_dyn_sized_stack, 0
	.set _ZL36rocblas_hemvn_kernel_upper_block_sumILi64El19rocblas_complex_numIfEPS1_S1_EviT1_lS3_lT2_lT0_lPT3_i.has_recursion, 0
	.set _ZL36rocblas_hemvn_kernel_upper_block_sumILi64El19rocblas_complex_numIfEPS1_S1_EviT1_lS3_lT2_lT0_lPT3_i.has_indirect_call, 0
	.section	.AMDGPU.csdata,"",@progbits
; Kernel info:
; codeLenInByte = 860
; TotalNumSgprs: 32
; NumVgprs: 24
; ScratchSize: 0
; MemoryBound: 0
; FloatMode: 240
; IeeeMode: 1
; LDSByteSize: 0 bytes/workgroup (compile time only)
; SGPRBlocks: 0
; VGPRBlocks: 1
; NumSGPRsForWavesPerEU: 32
; NumVGPRsForWavesPerEU: 24
; NamedBarCnt: 0
; Occupancy: 16
; WaveLimiterHint : 0
; COMPUTE_PGM_RSRC2:SCRATCH_EN: 0
; COMPUTE_PGM_RSRC2:USER_SGPR: 2
; COMPUTE_PGM_RSRC2:TRAP_HANDLER: 0
; COMPUTE_PGM_RSRC2:TGID_X_EN: 1
; COMPUTE_PGM_RSRC2:TGID_Y_EN: 0
; COMPUTE_PGM_RSRC2:TGID_Z_EN: 1
; COMPUTE_PGM_RSRC2:TIDIG_COMP_CNT: 0
	.section	.text._ZL26rocblas_hemvn_kernel_upperILb1ELi64ELi4ELi33ELi32ELi16Ei19rocblas_complex_numIfEPKS1_PS1_EviT6_lT7_lT5_lS6_lS7_lS5_lT8_i,"axG",@progbits,_ZL26rocblas_hemvn_kernel_upperILb1ELi64ELi4ELi33ELi32ELi16Ei19rocblas_complex_numIfEPKS1_PS1_EviT6_lT7_lT5_lS6_lS7_lS5_lT8_i,comdat
	.globl	_ZL26rocblas_hemvn_kernel_upperILb1ELi64ELi4ELi33ELi32ELi16Ei19rocblas_complex_numIfEPKS1_PS1_EviT6_lT7_lT5_lS6_lS7_lS5_lT8_i ; -- Begin function _ZL26rocblas_hemvn_kernel_upperILb1ELi64ELi4ELi33ELi32ELi16Ei19rocblas_complex_numIfEPKS1_PS1_EviT6_lT7_lT5_lS6_lS7_lS5_lT8_i
	.p2align	8
	.type	_ZL26rocblas_hemvn_kernel_upperILb1ELi64ELi4ELi33ELi32ELi16Ei19rocblas_complex_numIfEPKS1_PS1_EviT6_lT7_lT5_lS6_lS7_lS5_lT8_i,@function
_ZL26rocblas_hemvn_kernel_upperILb1ELi64ELi4ELi33ELi32ELi16Ei19rocblas_complex_numIfEPKS1_PS1_EviT6_lT7_lT5_lS6_lS7_lS5_lT8_i: ; @_ZL26rocblas_hemvn_kernel_upperILb1ELi64ELi4ELi33ELi32ELi16Ei19rocblas_complex_numIfEPKS1_PS1_EviT6_lT7_lT5_lS6_lS7_lS5_lT8_i
; %bb.0:
	s_clause 0x1
	s_load_b64 s[2:3], s[0:1], 0x84
	s_load_b32 s33, s[0:1], 0x70
	s_bfe_u32 s4, ttmp6, 0x40014
	s_lshr_b32 s5, ttmp7, 16
	s_add_co_i32 s4, s4, 1
	s_bfe_u32 s6, ttmp6, 0x40008
	s_mul_i32 s4, s5, s4
	s_getreg_b32 s10, hwreg(HW_REG_IB_STS2, 6, 4)
	s_add_co_i32 s6, s6, s4
	s_mov_b32 s35, 0
	s_wait_kmcnt 0x0
	s_lshr_b32 s4, s2, 16
	s_and_b32 s2, s2, 0xffff
	s_and_b32 s3, s3, 0xffff
	s_mul_i32 s2, s4, s2
	s_cmp_eq_u32 s10, 0
	s_mul_i32 s2, s2, s3
	s_cselect_b32 s34, s5, s6
	s_cmp_lg_u32 s2, 0x100
	s_cselect_b32 s2, -1, 0
	s_cmp_ge_u32 s34, s33
	s_cselect_b32 s3, -1, 0
	s_delay_alu instid0(SALU_CYCLE_1) | instskip(NEXT) | instid1(SALU_CYCLE_1)
	s_or_b32 s2, s2, s3
	s_and_b32 vcc_lo, exec_lo, s2
	s_cbranch_vccnz .LBB6_163
; %bb.1:
	s_clause 0x7
	s_load_b32 s2, s[0:1], 0x0
	s_load_b32 s56, s[0:1], 0x28
	s_load_b64 s[12:13], s[0:1], 0x4
	s_load_b96 s[20:22], s[0:1], 0x40
	s_load_b128 s[4:7], s[0:1], 0x18
	s_load_b128 s[24:27], s[0:1], 0x30
	;; [unrolled: 1-line block ×3, first 2 shown]
	s_load_b64 s[8:9], s[0:1], 0x68
	s_add_nc_u64 s[14:15], s[0:1], 0x78
	s_wait_xcnt 0x0
	s_bfe_u32 s0, ttmp6, 0x4000c
	s_and_b32 s1, ttmp6, 15
	s_add_co_i32 s0, s0, 1
	v_and_b32_e32 v194, 0x3ff, v0
	s_mul_i32 s0, ttmp9, s0
	v_bfe_u32 v1, v0, 10, 10
	s_add_co_i32 s1, s1, s0
	s_load_b32 s36, s[14:15], 0x0
	s_mov_b32 s37, s35
	v_mov_b64_e32 v[110:111], 0
	v_lshl_add_u32 v6, v1, 6, v194
	v_and_b32_e32 v56, 31, v0
	s_wait_kmcnt 0x0
	s_ashr_i32 s3, s2, 31
	s_ashr_i32 s57, s56, 31
	s_cmp_eq_u32 s10, 0
	v_lshrrev_b32_e32 v7, 5, v6
	s_cselect_b32 s38, ttmp9, s1
	s_or_b32 s0, s12, s13
	s_lshl_b64 s[10:11], s[20:21], 3
	s_bitset0_b32 s0, 31
	s_lshl_b64 s[6:7], s[6:7], 3
	s_cmp_lg_u32 s0, 0
	v_mad_u32 v2, s56, v7, v56
	s_cselect_b32 s64, -1, 0
	s_cmp_neq_f32 s30, 1.0
	v_dual_mov_b32 v63, 0 :: v_dual_lshlrev_b32 v196, 3, v56
	v_lshlrev_b32_e32 v9, 2, v7
	s_cselect_b32 s23, -1, 0
	s_cmp_neq_f32 s31, 0
	v_and_b32_e32 v11, 0x7fe0, v6
	v_lshl_or_b32 v10, v56, 8, v196
	v_lshlrev_b32_e32 v195, 3, v194
	s_cselect_b32 s52, -1, 0
	s_lshl_b32 s50, s38, 6
	s_lshr_b32 s1, s3, 26
	v_add_nc_u32_e32 v58, s50, v194
	s_add_co_i32 s1, s2, s1
	s_add_co_i32 s12, s36, -1
	s_and_not1_b32 s1, s1, 63
	s_add_nc_u64 s[10:11], s[26:27], s[10:11]
	v_mul_lo_u32 v4, s22, v58
	s_sub_co_i32 s65, s2, s1
	s_cmp_eq_u32 s38, s12
	v_ashrrev_i32_e32 v3, 31, v2
	s_cselect_b32 s26, s65, 0
	v_dual_add_nc_u32 v198, v10, v11 :: v_dual_bitop2_b32 v10, 2, v9 bitop3:0x54
	s_cmp_lg_u32 s26, 0
	s_add_nc_u64 s[4:5], s[4:5], s[6:7]
	s_cselect_b32 s66, -1, 0
	s_cmp_eq_u32 s26, 0
	s_delay_alu instid0(VALU_DEP_3)
	v_ashrrev_i32_e32 v5, 31, v4
	v_lshlrev_b64_e32 v[2:3], 3, v[2:3]
	s_cselect_b32 s1, -1, 0
	s_ashr_i32 s51, s50, 31
	s_ashr_i32 s39, s38, 31
	s_lshl_b64 s[6:7], s[50:51], 3
	v_lshl_add_u64 v[60:61], v[4:5], 3, s[10:11]
	v_cmp_le_u32_e64 s10, v10, v56
	v_cmp_eq_u32_e64 s11, v10, v56
	v_dual_lshlrev_b32 v10, 3, v7 :: v_dual_bitop2_b32 v12, 1, v9 bitop3:0x54
	s_add_nc_u64 s[4:5], s[4:5], s[6:7]
	s_mul_u64 s[6:7], s[2:3], s[38:39]
	v_add_nc_u64_e32 v[4:5], s[4:5], v[2:3]
	s_mul_u64 s[30:31], s[36:37], s[2:3]
	s_lshl_b64 s[2:3], s[6:7], 3
	v_cmp_le_u32_e64 s6, v9, v56
	s_add_nc_u64 s[40:41], s[8:9], s[2:3]
	v_cmp_eq_u32_e64 s7, v9, v56
	v_cmp_ge_u32_e64 s8, v9, v56
	v_mul_u32_u24_e32 v14, 0x108, v12
	v_cmp_eq_u32_e64 s9, v12, v56
	v_mul_u32_u24_e32 v12, 33, v56
	v_or_b32_e32 v9, 3, v9
	s_mul_i32 s4, s56, s50
	v_mov_b32_e32 v57, v63
	s_ashr_i32 s5, s4, 31
	v_lshlrev_b32_e32 v199, 3, v12
	v_lshl_add_u64 v[64:65], s[4:5], 3, v[4:5]
	v_add_nc_u32_e32 v4, 8, v7
	v_cmp_le_u32_e64 s12, v9, v56
	v_cmp_eq_u32_e64 s13, v9, v56
	v_dual_lshlrev_b32 v202, 2, v1 :: v_dual_bitop2_b32 v9, 32, v56 bitop3:0x54
	s_sub_co_i32 s19, s26, 32
	v_cmp_gt_i32_e64 s3, s26, v4
	v_cmp_gt_i32_e64 s17, s19, v4
	;; [unrolled: 1-line block ×3, first 2 shown]
	v_mad_u32 v4, s56, v202, v194
	v_mul_u32_u24_e32 v197, 0x108, v7
	v_dual_add_nc_u32 v5, 16, v7 :: v_dual_add_nc_u32 v8, 24, v7
	v_mul_u32_u24_e32 v13, 0x420, v7
	v_cmp_gt_i32_e64 s16, s19, v7
	v_cmp_eq_u32_e64 s20, 1, v7
	v_mul_i32_i24_e32 v203, 0xffffffe8, v7
	v_lshrrev_b32_e32 v7, 4, v6
	v_cmp_gt_i32_e32 vcc_lo, s26, v194
	v_cmp_gt_i32_e64 s4, s26, v5
	v_cmp_gt_i32_e64 s5, s26, v8
	;; [unrolled: 1-line block ×5, first 2 shown]
	v_and_b32_e32 v8, 15, v0
	v_dual_ashrrev_i32 v5, 31, v4 :: v_dual_lshlrev_b32 v9, 5, v7
	v_dual_ashrrev_i32 v59, 31, v58 :: v_dual_bitop2_b32 v0, 48, v0 bitop3:0x40
	s_or_b32 s53, s1, vcc_lo
	s_lshl_b32 s42, s56, 3
	s_lshl_b32 s44, s56, 4
	s_mul_i32 s46, s56, 24
	s_lshl_b32 s48, s56, 5
	s_mul_i32 s50, s22, s50
	s_add_co_i32 s60, s38, 1
	v_mad_u32_u24 v206, 0x218, v8, v9
	v_mul_i32_i24_e32 v7, 0xffffffe8, v7
	v_lshlrev_b32_e32 v0, 3, v0
	s_xor_b32 s67, s53, -1
	s_ashr_i32 s27, s26, 31
	s_ashr_i32 s43, s42, 31
	;; [unrolled: 1-line block ×6, first 2 shown]
	s_cmp_lt_u32 s60, s36
	v_sub_nc_u64_e32 v[66:67], 0, v[2:3]
	v_add_nc_u64_e32 v[2:3], s[48:49], v[4:5]
	s_cselect_b32 s37, -1, 0
	s_lshl_b32 s54, s56, 1
	v_cmp_eq_u32_e64 s0, 0, v1
	v_lshl_add_u32 v204, v1, 5, 0x2180
	v_mad_u32_u24 v205, 0x860, v1, v195
	v_mad_u32_u24 v209, 0x218, v1, v195
	v_add_nc_u32_e32 v211, v206, v7
	v_mad_u32_u24 v207, 0x218, v8, v0
	v_lshlrev_b64_e32 v[0:1], 3, v[4:5]
	s_mul_i32 s58, s56, 3
	s_ashr_i32 s55, s54, 31
	s_or_b32 s23, s23, s52
	s_lshl_b32 s68, s22, 6
	s_ashr_i32 s59, s58, 31
	s_or_b32 s70, s23, s64
	s_mul_i32 s71, s22, s60
	s_lshl_b64 s[22:23], s[48:49], 3
	s_lshl_b64 s[76:77], s[54:55], 3
	;; [unrolled: 1-line block ×3, first 2 shown]
	s_add_nc_u64 s[54:55], s[22:23], s[76:77]
	s_lshl_b64 s[58:59], s[58:59], 3
	v_lshlrev_b64_e32 v[2:3], 3, v[2:3]
	s_add_nc_u64 s[74:75], s[60:61], s[22:23]
	v_add_nc_u64_e32 v[74:75], s[54:55], v[0:1]
	s_add_nc_u64 s[54:55], s[22:23], s[58:59]
	s_lshl_b64 s[78:79], s[44:45], 3
	v_add_nc_u64_e32 v[72:73], s[74:75], v[0:1]
	v_add_nc_u64_e32 v[76:77], s[54:55], v[0:1]
	s_add_nc_u64 s[54:55], s[22:23], s[78:79]
	s_add_nc_u64 s[74:75], s[74:75], s[78:79]
	v_mad_nc_i64_i32 v[98:99], s44, 24, v[2:3]
	v_add_nc_u64_e32 v[80:81], s[74:75], v[0:1]
	s_add_nc_u64 s[74:75], s[54:55], s[76:77]
	s_lshl_b64 s[62:63], s[56:57], 4
	v_add_nc_u64_e32 v[82:83], s[74:75], v[0:1]
	s_lshl_b64 s[74:75], s[44:45], 4
	s_add_nc_u64 s[72:73], s[62:63], s[22:23]
	v_add_nc_u64_e32 v[68:69], s[22:23], v[0:1]
	v_add_nc_u64_e32 v[78:79], s[54:55], v[0:1]
	s_add_nc_u64 s[54:55], s[54:55], s[58:59]
	s_add_nc_u64 s[22:23], s[74:75], s[22:23]
	v_add_nc_u64_e32 v[86:87], s[54:55], v[0:1]
	s_add_nc_u64 s[54:55], s[22:23], s[60:61]
	v_add_nc_u64_e32 v[70:71], s[72:73], v[0:1]
	;; [unrolled: 2-line block ×3, first 2 shown]
	v_add_nc_u64_e32 v[90:91], s[54:55], v[0:1]
	s_add_nc_u64 s[54:55], s[22:23], s[76:77]
	s_add_nc_u64 s[72:73], s[72:73], s[74:75]
	;; [unrolled: 1-line block ×3, first 2 shown]
	s_mul_u64 s[74:75], s[44:45], 24
	v_add_nc_u32_e32 v200, 0x2380, v11
	v_or_b32_e32 v11, 0x78, v195
	v_add_nc_u64_e32 v[96:97], s[22:23], v[0:1]
	s_add_nc_u64 s[22:23], s[74:75], s[62:63]
	v_add_nc_u64_e32 v[84:85], s[78:79], v[0:1]
	v_add_nc_u64_e32 v[92:93], s[54:55], v[0:1]
	;; [unrolled: 1-line block ×4, first 2 shown]
	v_sub_nc_u64_e32 v[102:103], 0, v[56:57]
	v_add_nc_u64_e32 v[104:105], s[60:61], v[98:99]
	v_add_nc_u64_e32 v[106:107], s[76:77], v[98:99]
	;; [unrolled: 1-line block ×3, first 2 shown]
	v_cmp_gt_i32_e64 s1, s26, v56
	v_add_nc_u32_e32 v201, v199, v10
	v_cmp_gt_u32_e64 s14, 32, v6
	v_cmp_gt_u32_e64 s21, 64, v6
	v_mad_u32_u24 v208, 0x218, v8, v11
	v_add_nc_u32_e32 v210, 0x2380, v10
	v_dual_add_nc_u32 v212, v196, v13 :: v_dual_add_nc_u32 v213, v196, v14
	v_add_nc_u32_e32 v214, 0x2380, v195
	v_mad_u32_u24 v215, 0x108, v56, v196
	v_dual_add_nc_u32 v216, 8, v198 :: v_dual_add_nc_u32 v217, 16, v198
	v_add_nc_u32_e32 v218, 24, v198
	v_add_nc_u32_e32 v219, 0x2180, v195
	v_dual_add_nc_u32 v223, 16, v202 :: v_dual_bitop2_b32 v220, 1, v202 bitop3:0x54
	v_dual_add_nc_u32 v224, 17, v202 :: v_dual_bitop2_b32 v221, 2, v202 bitop3:0x54
	;; [unrolled: 1-line block ×3, first 2 shown]
	v_dual_add_nc_u32 v226, 19, v202 :: v_dual_add_nc_u32 v227, 32, v202
	v_dual_add_nc_u32 v228, 33, v202 :: v_dual_add_nc_u32 v229, 34, v202
	;; [unrolled: 1-line block ×4, first 2 shown]
	v_add_nc_u32_e32 v57, 51, v202
	v_add_nc_u32_e32 v234, 64, v58
	s_sub_nc_u64 s[50:51], 0, s[50:51]
	s_add_co_i32 s39, s36, -2
	s_and_b32 s69, s0, s53
	s_sub_nc_u64 s[52:53], 0, s[26:27]
	s_mov_b64 s[22:23], 0xffffffffffffff00
	s_mov_b64 s[54:55], 0xfffffffffffffef8
	s_lshl_b64 s[56:57], s[56:57], 6
	s_lshl_b32 s71, s71, 6
	s_lshl_b64 s[58:59], s[44:45], 5
	s_branch .LBB6_4
.LBB6_2:                                ;   in Loop: Header=BB6_4 Depth=1
	s_wait_xcnt 0x0
	s_or_b32 exec_lo, exec_lo, s62
.LBB6_3:                                ;   in Loop: Header=BB6_4 Depth=1
	s_add_co_i32 s34, s34, 0x10000
	s_delay_alu instid0(SALU_CYCLE_1)
	s_cmp_lt_u32 s34, s33
	s_cbranch_scc0 .LBB6_163
.LBB6_4:                                ; =>This Loop Header: Depth=1
                                        ;     Child Loop BB6_105 Depth 2
	s_and_not1_b32 vcc_lo, exec_lo, s70
	s_cbranch_vccnz .LBB6_3
; %bb.5:                                ;   in Loop: Header=BB6_4 Depth=1
	s_and_not1_b32 vcc_lo, exec_lo, s64
	s_cbranch_vccnz .LBB6_3
; %bb.6:                                ;   in Loop: Header=BB6_4 Depth=1
	s_mul_u64 s[60:61], s[28:29], s[34:35]
	s_delay_alu instid0(SALU_CYCLE_1)
	v_lshl_add_u64 v[12:13], s[60:61], 3, v[60:61]
	s_and_saveexec_b32 s60, s0
	s_cbranch_execz .LBB6_11
; %bb.7:                                ;   in Loop: Header=BB6_4 Depth=1
	s_and_saveexec_b32 s61, s67
	s_delay_alu instid0(SALU_CYCLE_1)
	s_xor_b32 s61, exec_lo, s61
; %bb.8:                                ;   in Loop: Header=BB6_4 Depth=1
	ds_store_b64 v214, v[110:111]
; %bb.9:                                ;   in Loop: Header=BB6_4 Depth=1
	s_and_not1_saveexec_b32 s61, s61
	s_cbranch_execz .LBB6_11
; %bb.10:                               ;   in Loop: Header=BB6_4 Depth=1
	global_load_b64 v[0:1], v[12:13], off
	s_wait_loadcnt 0x0
	ds_store_b64 v214, v[0:1]
.LBB6_11:                               ;   in Loop: Header=BB6_4 Depth=1
	s_wait_xcnt 0x0
	s_or_b32 exec_lo, exec_lo, s60
	s_mul_u64 s[60:61], s[24:25], s[34:35]
	s_and_b32 vcc_lo, exec_lo, s66
	v_lshl_add_u64 v[2:3], s[60:61], 3, v[64:65]
	s_mov_b32 s60, -1
                                        ; implicit-def: $vgpr0_vgpr1
	s_cbranch_vccz .LBB6_21
; %bb.12:                               ;   in Loop: Header=BB6_4 Depth=1
	s_delay_alu instid0(VALU_DEP_1) | instskip(SKIP_2) | instid1(VALU_DEP_3)
	v_lshl_add_u64 v[0:1], v[102:103], 3, v[2:3]
	v_dual_mov_b32 v6, 0 :: v_dual_mov_b32 v4, 0
	v_mov_b32_e32 v5, 0
	v_lshl_add_u64 v[0:1], s[26:27], 3, v[0:1]
	s_delay_alu instid0(VALU_DEP_1) | instskip(NEXT) | instid1(VALU_DEP_1)
	v_add_nc_u64_e32 v[0:1], -8, v[0:1]
	v_dual_cndmask_b32 v1, v1, v3, s1 :: v_dual_cndmask_b32 v0, v0, v2, s1
	s_and_saveexec_b32 s60, s2
	s_cbranch_execz .LBB6_14
; %bb.13:                               ;   in Loop: Header=BB6_4 Depth=1
	global_load_b64 v[4:5], v[0:1], off
.LBB6_14:                               ;   in Loop: Header=BB6_4 Depth=1
	s_wait_xcnt 0x0
	s_or_b32 exec_lo, exec_lo, s60
	v_dual_mov_b32 v7, 0 :: v_dual_add_nc_u32 v10, v196, v197
	s_wait_loadcnt 0x0
	ds_store_b64 v10, v[4:5]
	s_and_saveexec_b32 s60, s3
	s_cbranch_execz .LBB6_16
; %bb.15:                               ;   in Loop: Header=BB6_4 Depth=1
	v_lshl_add_u64 v[4:5], s[42:43], 3, v[0:1]
	global_load_b64 v[6:7], v[4:5], off
.LBB6_16:                               ;   in Loop: Header=BB6_4 Depth=1
	s_wait_xcnt 0x0
	s_or_b32 exec_lo, exec_lo, s60
	v_dual_mov_b32 v4, 0 :: v_dual_mov_b32 v8, 0
	v_mov_b32_e32 v9, 0
	s_wait_loadcnt 0x0
	ds_store_b64 v10, v[6:7] offset:2112
	s_and_saveexec_b32 s60, s4
	s_cbranch_execz .LBB6_18
; %bb.17:                               ;   in Loop: Header=BB6_4 Depth=1
	v_lshl_add_u64 v[6:7], s[44:45], 3, v[0:1]
	global_load_b64 v[8:9], v[6:7], off
.LBB6_18:                               ;   in Loop: Header=BB6_4 Depth=1
	s_wait_xcnt 0x0
	s_or_b32 exec_lo, exec_lo, s60
	v_mov_b32_e32 v5, 0
	s_wait_loadcnt 0x0
	ds_store_b64 v10, v[8:9] offset:4224
	s_and_saveexec_b32 s60, s5
	s_cbranch_execz .LBB6_20
; %bb.19:                               ;   in Loop: Header=BB6_4 Depth=1
	v_lshl_add_u64 v[4:5], s[46:47], 3, v[0:1]
	global_load_b64 v[4:5], v[4:5], off
.LBB6_20:                               ;   in Loop: Header=BB6_4 Depth=1
	s_wait_xcnt 0x0
	s_or_b32 exec_lo, exec_lo, s60
	v_lshlrev_b32_e32 v62, 3, v56
	s_mov_b32 s60, 0
	s_wait_loadcnt 0x0
	ds_store_b64 v10, v[4:5] offset:6336
	v_add_nc_u64_e32 v[0:1], v[0:1], v[62:63]
	s_delay_alu instid0(VALU_DEP_1) | instskip(NEXT) | instid1(VALU_DEP_1)
	v_lshl_add_u64 v[0:1], s[52:53], 3, v[0:1]
	v_add_nc_u64_e32 v[0:1], 8, v[0:1]
	s_delay_alu instid0(VALU_DEP_1)
	v_dual_cndmask_b32 v1, v1, v3, s1 :: v_dual_cndmask_b32 v0, v0, v2, s1
.LBB6_21:                               ;   in Loop: Header=BB6_4 Depth=1
	v_add_nc_u32_e32 v16, v196, v197
	s_and_b32 vcc_lo, exec_lo, s60
	s_cbranch_vccz .LBB6_23
; %bb.22:                               ;   in Loop: Header=BB6_4 Depth=1
	v_lshl_add_u64 v[0:1], s[42:43], 3, v[2:3]
	s_delay_alu instid0(VALU_DEP_1) | instskip(NEXT) | instid1(VALU_DEP_1)
	v_add_nc_u64_e32 v[4:5], s[56:57], v[0:1]
	v_add_nc_u64_e32 v[6:7], s[56:57], v[4:5]
	s_clause 0x3
	global_load_b64 v[8:9], v[2:3], off
	global_load_b64 v[10:11], v[0:1], off
	;; [unrolled: 1-line block ×4, first 2 shown]
	s_wait_xcnt 0x2
	v_mov_b64_e32 v[0:1], v[2:3]
	s_wait_loadcnt 0x3
	ds_store_b64 v16, v[8:9]
	s_wait_loadcnt 0x2
	ds_store_b64 v16, v[10:11] offset:2112
	s_wait_loadcnt 0x1
	ds_store_b64 v16, v[4:5] offset:4224
	;; [unrolled: 2-line block ×3, first 2 shown]
.LBB6_23:                               ;   in Loop: Header=BB6_4 Depth=1
	s_mov_b32 s60, 0
	s_wait_dscnt 0x0
	s_barrier_signal -1
	s_barrier_wait -1
	s_wait_xcnt 0x0
	s_and_saveexec_b32 s61, s6
	s_delay_alu instid0(SALU_CYCLE_1)
	s_xor_b32 s61, exec_lo, s61
; %bb.24:                               ;   in Loop: Header=BB6_4 Depth=1
	s_and_b32 s60, s7, exec_lo
; %bb.25:                               ;   in Loop: Header=BB6_4 Depth=1
	s_or_saveexec_b32 s61, s61
	v_dual_mov_b32 v2, 0 :: v_dual_mov_b32 v3, v215
	s_xor_b32 exec_lo, exec_lo, s61
	s_cbranch_execz .LBB6_27
; %bb.26:                               ;   in Loop: Header=BB6_4 Depth=1
	ds_load_b64 v[4:5], v212
	v_mov_b32_e32 v3, v198
	s_or_b32 s60, s60, exec_lo
	s_wait_dscnt 0x0
	v_xor_b32_e32 v2, 0x80000000, v5
	ds_store_b32 v198, v4
.LBB6_27:                               ;   in Loop: Header=BB6_4 Depth=1
	s_or_b32 exec_lo, exec_lo, s61
	s_and_saveexec_b32 s61, s60
; %bb.28:                               ;   in Loop: Header=BB6_4 Depth=1
	ds_store_b32 v3, v2 offset:4
; %bb.29:                               ;   in Loop: Header=BB6_4 Depth=1
	s_or_b32 exec_lo, exec_lo, s61
	s_mov_b32 s60, 0
                                        ; implicit-def: $vgpr2
	s_and_saveexec_b32 s61, s8
	s_delay_alu instid0(SALU_CYCLE_1)
	s_xor_b32 s61, exec_lo, s61
	s_cbranch_execnz .LBB6_159
; %bb.30:                               ;   in Loop: Header=BB6_4 Depth=1
	s_or_saveexec_b32 s61, s61
	v_mov_b32_e32 v3, v216
	s_xor_b32 exec_lo, exec_lo, s61
	s_cbranch_execnz .LBB6_160
.LBB6_31:                               ;   in Loop: Header=BB6_4 Depth=1
	s_or_b32 exec_lo, exec_lo, s61
	s_and_saveexec_b32 s61, s60
.LBB6_32:                               ;   in Loop: Header=BB6_4 Depth=1
	ds_store_b32 v3, v2 offset:4
.LBB6_33:                               ;   in Loop: Header=BB6_4 Depth=1
	s_or_b32 exec_lo, exec_lo, s61
	s_mov_b32 s60, 0
	s_and_saveexec_b32 s61, s10
	s_delay_alu instid0(SALU_CYCLE_1)
	s_xor_b32 s61, exec_lo, s61
; %bb.34:                               ;   in Loop: Header=BB6_4 Depth=1
	s_and_b32 s60, s11, exec_lo
; %bb.35:                               ;   in Loop: Header=BB6_4 Depth=1
	s_or_saveexec_b32 s61, s61
	v_dual_mov_b32 v2, 0 :: v_dual_mov_b32 v3, v215
	s_xor_b32 exec_lo, exec_lo, s61
	s_cbranch_execz .LBB6_37
; %bb.36:                               ;   in Loop: Header=BB6_4 Depth=1
	ds_load_b64 v[4:5], v213 offset:264
	v_mov_b32_e32 v3, v217
	s_or_b32 s60, s60, exec_lo
	s_wait_dscnt 0x0
	v_xor_b32_e32 v2, 0x80000000, v5
	ds_store_b32 v217, v4
.LBB6_37:                               ;   in Loop: Header=BB6_4 Depth=1
	s_or_b32 exec_lo, exec_lo, s61
	s_and_saveexec_b32 s61, s60
; %bb.38:                               ;   in Loop: Header=BB6_4 Depth=1
	ds_store_b32 v3, v2 offset:4
; %bb.39:                               ;   in Loop: Header=BB6_4 Depth=1
	s_or_b32 exec_lo, exec_lo, s61
	s_mov_b32 s60, 0
	s_and_saveexec_b32 s61, s12
	s_delay_alu instid0(SALU_CYCLE_1)
	s_xor_b32 s61, exec_lo, s61
; %bb.40:                               ;   in Loop: Header=BB6_4 Depth=1
	s_and_b32 s60, s13, exec_lo
; %bb.41:                               ;   in Loop: Header=BB6_4 Depth=1
	s_or_saveexec_b32 s61, s61
	v_dual_mov_b32 v2, 0 :: v_dual_mov_b32 v3, v215
	s_xor_b32 exec_lo, exec_lo, s61
	s_cbranch_execz .LBB6_43
; %bb.42:                               ;   in Loop: Header=BB6_4 Depth=1
	ds_load_b64 v[4:5], v213 offset:528
	v_mov_b32_e32 v3, v218
	s_or_b32 s60, s60, exec_lo
	s_wait_dscnt 0x0
	v_xor_b32_e32 v2, 0x80000000, v5
	ds_store_b32 v218, v4
.LBB6_43:                               ;   in Loop: Header=BB6_4 Depth=1
	s_or_b32 exec_lo, exec_lo, s61
	s_and_saveexec_b32 s61, s60
; %bb.44:                               ;   in Loop: Header=BB6_4 Depth=1
	ds_store_b32 v3, v2 offset:4
; %bb.45:                               ;   in Loop: Header=BB6_4 Depth=1
	s_or_b32 exec_lo, exec_lo, s61
	s_wait_dscnt 0x0
	s_barrier_signal -1
	s_barrier_wait -1
	ds_load_b64 v[10:11], v212
	ds_load_b128 v[2:5], v200
	ds_load_2addr_b64 v[6:9], v213 offset1:33
	ds_load_b128 v[18:21], v200 offset:16
	ds_load_b64 v[14:15], v213 offset:528
	v_mov_b64_e32 v[112:113], 0
	s_wait_dscnt 0x0
	s_barrier_signal -1
	s_barrier_wait -1
	v_pk_mul_f32 v[22:23], v[2:3], v[10:11] op_sel:[1,1] op_sel_hi:[0,1]
	v_dual_mov_b32 v24, v5 :: v_dual_mov_b32 v25, v4
	v_pk_mul_f32 v[26:27], v[18:19], v[8:9] op_sel:[1,1] op_sel_hi:[0,1]
	v_dual_mov_b32 v30, v21 :: v_dual_mov_b32 v31, v20
	s_delay_alu instid0(VALU_DEP_4) | instskip(NEXT) | instid1(VALU_DEP_4)
	v_pk_fma_f32 v[28:29], v[2:3], v[10:11], v[22:23] op_sel_hi:[1,0,1]
	v_pk_mul_f32 v[24:25], v[24:25], v[6:7] op_sel:[0,1]
	v_pk_fma_f32 v[2:3], v[2:3], v[10:11], v[22:23] neg_lo:[0,0,1] neg_hi:[0,0,1]
	v_pk_fma_f32 v[22:23], v[18:19], v[8:9], v[26:27] op_sel_hi:[1,0,1]
	s_delay_alu instid0(VALU_DEP_3)
	v_pk_fma_f32 v[10:11], v[4:5], v[6:7], v[24:25] op_sel_hi:[1,0,1]
	v_mov_b32_e32 v3, v29
	v_pk_fma_f32 v[4:5], v[4:5], v[6:7], v[24:25] neg_lo:[0,0,1] neg_hi:[0,0,1]
	v_pk_mul_f32 v[28:29], v[30:31], v[14:15] op_sel:[0,1]
	v_pk_fma_f32 v[6:7], v[18:19], v[8:9], v[26:27] neg_lo:[0,0,1] neg_hi:[0,0,1]
	v_mov_b32_e32 v5, v11
	v_pk_add_f32 v[2:3], v[2:3], 0 op_sel_hi:[1,0]
	s_delay_alu instid0(VALU_DEP_4) | instskip(SKIP_1) | instid1(VALU_DEP_3)
	v_pk_fma_f32 v[8:9], v[20:21], v[14:15], v[28:29] op_sel_hi:[1,0,1]
	v_mov_b32_e32 v7, v23
	v_pk_add_f32 v[2:3], v[2:3], v[4:5]
	v_pk_fma_f32 v[4:5], v[20:21], v[14:15], v[28:29] neg_lo:[0,0,1] neg_hi:[0,0,1]
	s_delay_alu instid0(VALU_DEP_4) | instskip(NEXT) | instid1(VALU_DEP_3)
	v_mov_b32_e32 v5, v9
	v_pk_add_f32 v[2:3], v[2:3], v[6:7]
	s_delay_alu instid0(VALU_DEP_1)
	v_pk_add_f32 v[2:3], v[2:3], v[4:5]
	ds_store_b64 v201, v[2:3]
	s_wait_dscnt 0x0
	s_barrier_signal -1
	s_barrier_wait -1
	s_and_saveexec_b32 s60, s14
	s_cbranch_execz .LBB6_47
; %bb.46:                               ;   in Loop: Header=BB6_4 Depth=1
	ds_load_2addr_b64 v[2:5], v199 offset1:7
	ds_load_2addr_b64 v[6:9], v199 offset0:1 offset1:2
	ds_load_2addr_b64 v[18:21], v199 offset0:3 offset1:4
	;; [unrolled: 1-line block ×3, first 2 shown]
	s_wait_dscnt 0x2
	v_dual_add_f32 v2, v6, v2 :: v_dual_add_f32 v3, v7, v3
	s_delay_alu instid0(VALU_DEP_1) | instskip(SKIP_1) | instid1(VALU_DEP_1)
	v_dual_add_f32 v2, v8, v2 :: v_dual_add_f32 v3, v9, v3
	s_wait_dscnt 0x1
	v_dual_add_f32 v2, v2, v18 :: v_dual_add_f32 v3, v3, v19
	s_delay_alu instid0(VALU_DEP_1) | instskip(SKIP_1) | instid1(VALU_DEP_1)
	v_dual_add_f32 v2, v2, v20 :: v_dual_add_f32 v3, v3, v21
	s_wait_dscnt 0x0
	v_dual_add_f32 v2, v2, v22 :: v_dual_add_f32 v3, v3, v23
	s_delay_alu instid0(VALU_DEP_1) | instskip(NEXT) | instid1(VALU_DEP_1)
	v_dual_add_f32 v2, v2, v24 :: v_dual_add_f32 v3, v3, v25
	v_pk_add_f32 v[112:113], v[2:3], v[4:5]
.LBB6_47:                               ;   in Loop: Header=BB6_4 Depth=1
	s_or_b32 exec_lo, exec_lo, s60
	v_lshl_add_u64 v[4:5], s[48:49], 3, v[0:1]
	s_and_b32 vcc_lo, exec_lo, s66
	s_mov_b32 s60, -1
	s_barrier_signal -1
	s_delay_alu instid0(VALU_DEP_1)
	v_add_nc_u64_e32 v[2:3], 0x100, v[4:5]
	s_barrier_wait -1
                                        ; implicit-def: $vgpr0_vgpr1
	s_cbranch_vccz .LBB6_57
; %bb.48:                               ;   in Loop: Header=BB6_4 Depth=1
	v_lshl_add_u64 v[0:1], v[102:103], 3, v[4:5]
	v_dual_mov_b32 v8, 0 :: v_dual_mov_b32 v6, 0
	v_mov_b32_e32 v7, 0
	s_delay_alu instid0(VALU_DEP_3) | instskip(NEXT) | instid1(VALU_DEP_1)
	v_lshl_add_u64 v[0:1], s[26:27], 3, v[0:1]
	v_add_nc_u64_e32 v[0:1], -8, v[0:1]
	s_delay_alu instid0(VALU_DEP_1)
	v_dual_cndmask_b32 v1, v1, v3, s15 :: v_dual_cndmask_b32 v0, v0, v2, s15
	s_and_saveexec_b32 s60, s16
	s_cbranch_execz .LBB6_50
; %bb.49:                               ;   in Loop: Header=BB6_4 Depth=1
	global_load_b64 v[6:7], v[0:1], off
.LBB6_50:                               ;   in Loop: Header=BB6_4 Depth=1
	s_wait_xcnt 0x0
	s_or_b32 exec_lo, exec_lo, s60
	v_mov_b32_e32 v9, 0
	s_wait_loadcnt 0x0
	ds_store_b64 v16, v[6:7]
	s_and_saveexec_b32 s60, s17
	s_cbranch_execz .LBB6_52
; %bb.51:                               ;   in Loop: Header=BB6_4 Depth=1
	v_lshl_add_u64 v[6:7], s[42:43], 3, v[0:1]
	global_load_b64 v[8:9], v[6:7], off
.LBB6_52:                               ;   in Loop: Header=BB6_4 Depth=1
	s_wait_xcnt 0x0
	s_or_b32 exec_lo, exec_lo, s60
	v_dual_mov_b32 v6, 0 :: v_dual_mov_b32 v10, 0
	v_mov_b32_e32 v11, 0
	s_wait_loadcnt 0x0
	ds_store_b64 v16, v[8:9] offset:2112
	s_and_saveexec_b32 s60, s18
	s_cbranch_execz .LBB6_54
; %bb.53:                               ;   in Loop: Header=BB6_4 Depth=1
	v_lshl_add_u64 v[8:9], s[44:45], 3, v[0:1]
	global_load_b64 v[10:11], v[8:9], off
.LBB6_54:                               ;   in Loop: Header=BB6_4 Depth=1
	s_wait_xcnt 0x0
	s_or_b32 exec_lo, exec_lo, s60
	v_mov_b32_e32 v7, 0
	s_wait_loadcnt 0x0
	ds_store_b64 v16, v[10:11] offset:4224
	s_and_saveexec_b32 s60, s19
	s_cbranch_execz .LBB6_56
; %bb.55:                               ;   in Loop: Header=BB6_4 Depth=1
	v_lshl_add_u64 v[6:7], s[46:47], 3, v[0:1]
	global_load_b64 v[6:7], v[6:7], off
.LBB6_56:                               ;   in Loop: Header=BB6_4 Depth=1
	s_wait_xcnt 0x0
	s_or_b32 exec_lo, exec_lo, s60
	v_lshlrev_b32_e32 v62, 3, v56
	s_mov_b32 s60, 0
	s_wait_loadcnt 0x0
	ds_store_b64 v16, v[6:7] offset:6336
	v_add_nc_u64_e32 v[0:1], v[0:1], v[62:63]
	s_delay_alu instid0(VALU_DEP_1) | instskip(NEXT) | instid1(VALU_DEP_1)
	v_lshl_add_u64 v[0:1], s[52:53], 3, v[0:1]
	v_add_nc_u64_e32 v[0:1], 0x108, v[0:1]
	s_delay_alu instid0(VALU_DEP_1)
	v_dual_cndmask_b32 v1, v1, v3, s15 :: v_dual_cndmask_b32 v0, v0, v2, s15
.LBB6_57:                               ;   in Loop: Header=BB6_4 Depth=1
	s_and_b32 vcc_lo, exec_lo, s60
	s_cbranch_vccz .LBB6_59
; %bb.58:                               ;   in Loop: Header=BB6_4 Depth=1
	v_lshl_add_u64 v[0:1], s[42:43], 3, v[4:5]
	s_delay_alu instid0(VALU_DEP_1) | instskip(NEXT) | instid1(VALU_DEP_1)
	v_add_nc_u64_e32 v[6:7], s[56:57], v[0:1]
	v_add_nc_u64_e32 v[8:9], s[56:57], v[6:7]
	s_clause 0x3
	global_load_b64 v[4:5], v[4:5], off offset:256
	global_load_b64 v[10:11], v[0:1], off offset:256
	;; [unrolled: 1-line block ×4, first 2 shown]
	s_wait_xcnt 0x2
	v_mov_b64_e32 v[0:1], v[2:3]
	s_wait_loadcnt 0x3
	ds_store_b64 v16, v[4:5]
	s_wait_loadcnt 0x2
	ds_store_b64 v16, v[10:11] offset:2112
	s_wait_loadcnt 0x1
	ds_store_b64 v16, v[6:7] offset:4224
	s_wait_loadcnt 0x0
	ds_store_b64 v16, v[8:9] offset:6336
.LBB6_59:                               ;   in Loop: Header=BB6_4 Depth=1
	s_mov_b32 s60, 0
	s_wait_dscnt 0x0
	s_barrier_signal -1
	s_barrier_wait -1
	s_wait_xcnt 0x0
	s_and_saveexec_b32 s61, s6
	s_delay_alu instid0(SALU_CYCLE_1)
	s_xor_b32 s61, exec_lo, s61
; %bb.60:                               ;   in Loop: Header=BB6_4 Depth=1
	s_and_b32 s60, s7, exec_lo
; %bb.61:                               ;   in Loop: Header=BB6_4 Depth=1
	s_or_saveexec_b32 s61, s61
	v_dual_mov_b32 v2, 0 :: v_dual_mov_b32 v3, v215
	s_xor_b32 exec_lo, exec_lo, s61
	s_cbranch_execz .LBB6_63
; %bb.62:                               ;   in Loop: Header=BB6_4 Depth=1
	ds_load_b64 v[4:5], v212
	v_mov_b32_e32 v3, v198
	s_or_b32 s60, s60, exec_lo
	s_wait_dscnt 0x0
	v_xor_b32_e32 v2, 0x80000000, v5
	ds_store_b32 v198, v4
.LBB6_63:                               ;   in Loop: Header=BB6_4 Depth=1
	s_or_b32 exec_lo, exec_lo, s61
	s_and_saveexec_b32 s61, s60
; %bb.64:                               ;   in Loop: Header=BB6_4 Depth=1
	ds_store_b32 v3, v2 offset:4
; %bb.65:                               ;   in Loop: Header=BB6_4 Depth=1
	s_or_b32 exec_lo, exec_lo, s61
	s_mov_b32 s60, 0
                                        ; implicit-def: $vgpr2
	s_and_saveexec_b32 s61, s8
	s_delay_alu instid0(SALU_CYCLE_1)
	s_xor_b32 s61, exec_lo, s61
	s_cbranch_execnz .LBB6_161
; %bb.66:                               ;   in Loop: Header=BB6_4 Depth=1
	s_or_saveexec_b32 s61, s61
	v_mov_b32_e32 v3, v216
	s_xor_b32 exec_lo, exec_lo, s61
	s_cbranch_execnz .LBB6_162
.LBB6_67:                               ;   in Loop: Header=BB6_4 Depth=1
	s_or_b32 exec_lo, exec_lo, s61
	s_and_saveexec_b32 s61, s60
.LBB6_68:                               ;   in Loop: Header=BB6_4 Depth=1
	ds_store_b32 v3, v2 offset:4
.LBB6_69:                               ;   in Loop: Header=BB6_4 Depth=1
	s_or_b32 exec_lo, exec_lo, s61
	s_mov_b32 s60, 0
	s_and_saveexec_b32 s61, s10
	s_delay_alu instid0(SALU_CYCLE_1)
	s_xor_b32 s61, exec_lo, s61
; %bb.70:                               ;   in Loop: Header=BB6_4 Depth=1
	s_and_b32 s60, s11, exec_lo
; %bb.71:                               ;   in Loop: Header=BB6_4 Depth=1
	s_or_saveexec_b32 s61, s61
	v_dual_mov_b32 v2, 0 :: v_dual_mov_b32 v3, v215
	s_xor_b32 exec_lo, exec_lo, s61
	s_cbranch_execz .LBB6_73
; %bb.72:                               ;   in Loop: Header=BB6_4 Depth=1
	ds_load_b64 v[4:5], v213 offset:264
	v_mov_b32_e32 v3, v217
	s_or_b32 s60, s60, exec_lo
	s_wait_dscnt 0x0
	v_xor_b32_e32 v2, 0x80000000, v5
	ds_store_b32 v217, v4
.LBB6_73:                               ;   in Loop: Header=BB6_4 Depth=1
	s_or_b32 exec_lo, exec_lo, s61
	s_and_saveexec_b32 s61, s60
; %bb.74:                               ;   in Loop: Header=BB6_4 Depth=1
	ds_store_b32 v3, v2 offset:4
; %bb.75:                               ;   in Loop: Header=BB6_4 Depth=1
	s_or_b32 exec_lo, exec_lo, s61
	s_mov_b32 s60, 0
	s_and_saveexec_b32 s61, s12
	s_delay_alu instid0(SALU_CYCLE_1)
	s_xor_b32 s61, exec_lo, s61
; %bb.76:                               ;   in Loop: Header=BB6_4 Depth=1
	s_and_b32 s60, s13, exec_lo
; %bb.77:                               ;   in Loop: Header=BB6_4 Depth=1
	s_or_saveexec_b32 s61, s61
	v_dual_mov_b32 v2, 0 :: v_dual_mov_b32 v3, v215
	s_xor_b32 exec_lo, exec_lo, s61
	s_cbranch_execz .LBB6_79
; %bb.78:                               ;   in Loop: Header=BB6_4 Depth=1
	ds_load_b64 v[4:5], v213 offset:528
	v_mov_b32_e32 v3, v218
	s_or_b32 s60, s60, exec_lo
	s_wait_dscnt 0x0
	v_xor_b32_e32 v2, 0x80000000, v5
	ds_store_b32 v218, v4
.LBB6_79:                               ;   in Loop: Header=BB6_4 Depth=1
	s_or_b32 exec_lo, exec_lo, s61
	s_and_saveexec_b32 s61, s60
; %bb.80:                               ;   in Loop: Header=BB6_4 Depth=1
	ds_store_b32 v3, v2 offset:4
; %bb.81:                               ;   in Loop: Header=BB6_4 Depth=1
	s_or_b32 exec_lo, exec_lo, s61
	s_wait_dscnt 0x0
	s_barrier_signal -1
	s_barrier_wait -1
	ds_load_b64 v[10:11], v212
	ds_load_b128 v[2:5], v200 offset:256
	ds_load_2addr_b64 v[6:9], v213 offset1:33
	ds_load_b128 v[18:21], v200 offset:272
	ds_load_b64 v[14:15], v213 offset:528
	s_wait_dscnt 0x0
	s_barrier_signal -1
	s_barrier_wait -1
	v_pk_mul_f32 v[22:23], v[2:3], v[10:11] op_sel:[1,1] op_sel_hi:[0,1]
	v_dual_mov_b32 v24, v5 :: v_dual_mov_b32 v25, v4
	v_pk_mul_f32 v[26:27], v[18:19], v[8:9] op_sel:[1,1] op_sel_hi:[0,1]
	v_dual_mov_b32 v30, v21 :: v_dual_mov_b32 v31, v20
	s_delay_alu instid0(VALU_DEP_4) | instskip(NEXT) | instid1(VALU_DEP_4)
	v_pk_fma_f32 v[28:29], v[2:3], v[10:11], v[22:23] op_sel_hi:[1,0,1]
	v_pk_mul_f32 v[24:25], v[24:25], v[6:7] op_sel:[0,1]
	v_pk_fma_f32 v[2:3], v[2:3], v[10:11], v[22:23] neg_lo:[0,0,1] neg_hi:[0,0,1]
	v_pk_fma_f32 v[22:23], v[18:19], v[8:9], v[26:27] op_sel_hi:[1,0,1]
	s_delay_alu instid0(VALU_DEP_3)
	v_pk_fma_f32 v[10:11], v[4:5], v[6:7], v[24:25] op_sel_hi:[1,0,1]
	v_mov_b32_e32 v3, v29
	v_pk_fma_f32 v[4:5], v[4:5], v[6:7], v[24:25] neg_lo:[0,0,1] neg_hi:[0,0,1]
	v_pk_mul_f32 v[28:29], v[30:31], v[14:15] op_sel:[0,1]
	v_pk_fma_f32 v[6:7], v[18:19], v[8:9], v[26:27] neg_lo:[0,0,1] neg_hi:[0,0,1]
	v_mov_b32_e32 v5, v11
	v_pk_add_f32 v[2:3], v[2:3], 0 op_sel_hi:[1,0]
	s_delay_alu instid0(VALU_DEP_4) | instskip(SKIP_1) | instid1(VALU_DEP_3)
	v_pk_fma_f32 v[8:9], v[20:21], v[14:15], v[28:29] op_sel_hi:[1,0,1]
	v_mov_b32_e32 v7, v23
	v_pk_add_f32 v[2:3], v[2:3], v[4:5]
	v_pk_fma_f32 v[4:5], v[20:21], v[14:15], v[28:29] neg_lo:[0,0,1] neg_hi:[0,0,1]
	s_delay_alu instid0(VALU_DEP_4) | instskip(NEXT) | instid1(VALU_DEP_3)
	v_mov_b32_e32 v5, v9
	v_pk_add_f32 v[2:3], v[2:3], v[6:7]
	s_delay_alu instid0(VALU_DEP_1)
	v_pk_add_f32 v[2:3], v[2:3], v[4:5]
	ds_store_b64 v201, v[2:3]
	s_wait_dscnt 0x0
	s_barrier_signal -1
	s_barrier_wait -1
	s_and_saveexec_b32 s60, s20
	s_cbranch_execz .LBB6_83
; %bb.82:                               ;   in Loop: Header=BB6_4 Depth=1
	ds_load_2addr_b64 v[2:5], v199 offset1:7
	ds_load_2addr_b64 v[6:9], v199 offset0:1 offset1:2
	ds_load_2addr_b64 v[18:21], v199 offset0:3 offset1:4
	;; [unrolled: 1-line block ×3, first 2 shown]
	s_wait_dscnt 0x2
	v_dual_add_f32 v2, v6, v2 :: v_dual_add_f32 v3, v7, v3
	s_delay_alu instid0(VALU_DEP_1) | instskip(SKIP_1) | instid1(VALU_DEP_1)
	v_dual_add_f32 v2, v8, v2 :: v_dual_add_f32 v3, v9, v3
	s_wait_dscnt 0x1
	v_dual_add_f32 v2, v2, v18 :: v_dual_add_f32 v3, v3, v19
	s_delay_alu instid0(VALU_DEP_1) | instskip(SKIP_1) | instid1(VALU_DEP_1)
	v_dual_add_f32 v2, v2, v20 :: v_dual_add_f32 v3, v3, v21
	s_wait_dscnt 0x0
	v_dual_add_f32 v2, v2, v22 :: v_dual_add_f32 v3, v3, v23
	s_delay_alu instid0(VALU_DEP_1) | instskip(NEXT) | instid1(VALU_DEP_1)
	v_pk_add_f32 v[2:3], v[2:3], v[24:25]
	v_pk_add_f32 v[112:113], v[2:3], v[4:5]
.LBB6_83:                               ;   in Loop: Header=BB6_4 Depth=1
	s_or_b32 exec_lo, exec_lo, s60
	v_add_nc_u64_e32 v[2:3], s[22:23], v[0:1]
	s_and_b32 vcc_lo, exec_lo, s66
	s_mov_b32 s60, -1
	s_barrier_signal -1
	s_barrier_wait -1
                                        ; implicit-def: $vgpr14_vgpr15
	s_cbranch_vccz .LBB6_93
; %bb.84:                               ;   in Loop: Header=BB6_4 Depth=1
	v_lshl_add_u64 v[4:5], v[102:103], 3, v[0:1]
	v_dual_mov_b32 v8, 0 :: v_dual_mov_b32 v6, 0
	v_mov_b32_e32 v7, 0
	s_delay_alu instid0(VALU_DEP_3) | instskip(NEXT) | instid1(VALU_DEP_1)
	v_lshl_add_u64 v[4:5], s[26:27], 3, v[4:5]
	v_add_nc_u64_e32 v[4:5], s[54:55], v[4:5]
	s_delay_alu instid0(VALU_DEP_1)
	v_dual_cndmask_b32 v5, v5, v3, s1 :: v_dual_cndmask_b32 v4, v4, v2, s1
	s_and_saveexec_b32 s60, s16
	s_cbranch_execz .LBB6_86
; %bb.85:                               ;   in Loop: Header=BB6_4 Depth=1
	global_load_b64 v[6:7], v[4:5], off
.LBB6_86:                               ;   in Loop: Header=BB6_4 Depth=1
	s_wait_xcnt 0x0
	s_or_b32 exec_lo, exec_lo, s60
	v_mov_b32_e32 v9, 0
	s_wait_loadcnt 0x0
	ds_store_b64 v16, v[6:7]
	s_and_saveexec_b32 s60, s17
	s_cbranch_execz .LBB6_88
; %bb.87:                               ;   in Loop: Header=BB6_4 Depth=1
	v_lshl_add_u64 v[6:7], s[42:43], 3, v[4:5]
	global_load_b64 v[8:9], v[6:7], off
.LBB6_88:                               ;   in Loop: Header=BB6_4 Depth=1
	s_wait_xcnt 0x0
	s_or_b32 exec_lo, exec_lo, s60
	v_dual_mov_b32 v6, 0 :: v_dual_mov_b32 v10, 0
	v_mov_b32_e32 v11, 0
	s_wait_loadcnt 0x0
	ds_store_b64 v16, v[8:9] offset:2112
	s_and_saveexec_b32 s60, s18
	s_cbranch_execz .LBB6_90
; %bb.89:                               ;   in Loop: Header=BB6_4 Depth=1
	v_lshl_add_u64 v[8:9], s[44:45], 3, v[4:5]
	global_load_b64 v[10:11], v[8:9], off
.LBB6_90:                               ;   in Loop: Header=BB6_4 Depth=1
	s_wait_xcnt 0x0
	s_or_b32 exec_lo, exec_lo, s60
	v_mov_b32_e32 v7, 0
	s_wait_loadcnt 0x0
	ds_store_b64 v16, v[10:11] offset:4224
	s_and_saveexec_b32 s60, s19
	s_cbranch_execz .LBB6_92
; %bb.91:                               ;   in Loop: Header=BB6_4 Depth=1
	v_lshl_add_u64 v[6:7], s[46:47], 3, v[4:5]
	global_load_b64 v[6:7], v[6:7], off
.LBB6_92:                               ;   in Loop: Header=BB6_4 Depth=1
	s_wait_xcnt 0x0
	s_or_b32 exec_lo, exec_lo, s60
	v_lshlrev_b32_e32 v62, 3, v56
	s_mov_b32 s60, 0
	s_wait_loadcnt 0x0
	ds_store_b64 v16, v[6:7] offset:6336
	v_add_nc_u64_e32 v[4:5], v[4:5], v[62:63]
	s_delay_alu instid0(VALU_DEP_1) | instskip(NEXT) | instid1(VALU_DEP_1)
	v_lshl_add_u64 v[4:5], s[52:53], 3, v[4:5]
	v_add_nc_u64_e32 v[4:5], 8, v[4:5]
	s_delay_alu instid0(VALU_DEP_1)
	v_dual_cndmask_b32 v15, v5, v3, s1 :: v_dual_cndmask_b32 v14, v4, v2, s1
.LBB6_93:                               ;   in Loop: Header=BB6_4 Depth=1
	s_and_b32 vcc_lo, exec_lo, s60
	s_cbranch_vccz .LBB6_95
; %bb.94:                               ;   in Loop: Header=BB6_4 Depth=1
	v_lshl_add_u64 v[4:5], s[42:43], 3, v[0:1]
	v_mov_b64_e32 v[14:15], v[2:3]
	s_delay_alu instid0(VALU_DEP_2) | instskip(NEXT) | instid1(VALU_DEP_1)
	v_add_nc_u64_e32 v[6:7], s[56:57], v[4:5]
	v_add_nc_u64_e32 v[8:9], s[56:57], v[6:7]
	s_clause 0x3
	global_load_b64 v[0:1], v[0:1], off offset:-256
	global_load_b64 v[4:5], v[4:5], off offset:-256
	;; [unrolled: 1-line block ×4, first 2 shown]
	s_wait_loadcnt 0x3
	ds_store_b64 v16, v[0:1]
	s_wait_loadcnt 0x2
	ds_store_b64 v16, v[4:5] offset:2112
	s_wait_loadcnt 0x1
	ds_store_b64 v16, v[6:7] offset:4224
	;; [unrolled: 2-line block ×3, first 2 shown]
.LBB6_95:                               ;   in Loop: Header=BB6_4 Depth=1
	s_wait_xcnt 0x3
	v_dual_add_nc_u32 v0, v198, v203 :: v_dual_add_nc_u32 v1, v200, v203
	s_wait_dscnt 0x0
	s_barrier_signal -1
	s_barrier_wait -1
	s_wait_xcnt 0x2
	ds_load_b64 v[4:5], v0
	s_wait_xcnt 0x1
	ds_load_b64 v[6:7], v1
	ds_load_2addr_b64 v[20:23], v201 offset0:8 offset1:16
	ds_load_2addr_b64 v[24:27], v210 offset0:8 offset1:16
	ds_load_b64 v[28:29], v201 offset:192
	ds_load_b64 v[30:31], v210 offset:192
	ds_load_2addr_b64 v[0:3], v213 offset1:33
	ds_load_b64 v[18:19], v212
	ds_load_b64 v[16:17], v213 offset:528
	s_wait_dscnt 0x7
	s_wait_xcnt 0x0
	v_pk_mul_f32 v[8:9], v[4:5], v[6:7] op_sel:[1,1] op_sel_hi:[1,0]
	s_wait_dscnt 0x5
	v_pk_mul_f32 v[10:11], v[20:21], v[24:25] op_sel:[1,1] op_sel_hi:[1,0]
	v_pk_mul_f32 v[34:35], v[22:23], v[26:27] op_sel:[1,1] op_sel_hi:[1,0]
	s_delay_alu instid0(VALU_DEP_3) | instskip(SKIP_1) | instid1(VALU_DEP_4)
	v_pk_fma_f32 v[32:33], v[4:5], v[6:7], v[8:9] op_sel_hi:[0,1,1] neg_lo:[0,0,1] neg_hi:[0,0,1]
	v_pk_fma_f32 v[4:5], v[4:5], v[6:7], v[8:9]
	v_pk_fma_f32 v[36:37], v[20:21], v[24:25], v[10:11] op_sel_hi:[0,1,1] neg_lo:[0,0,1] neg_hi:[0,0,1]
	v_pk_fma_f32 v[20:21], v[20:21], v[24:25], v[10:11]
	v_pk_fma_f32 v[24:25], v[22:23], v[26:27], v[34:35] op_sel_hi:[0,1,1] neg_lo:[0,0,1] neg_hi:[0,0,1]
	v_mov_b32_e32 v5, v33
	s_wait_dscnt 0x3
	v_pk_mul_f32 v[32:33], v[28:29], v[30:31] op_sel:[1,1] op_sel_hi:[1,0]
	v_mov_b32_e32 v21, v37
	v_pk_fma_f32 v[22:23], v[22:23], v[26:27], v[34:35]
	v_mov_b32_e32 v23, v25
	v_pk_add_f32 v[36:37], v[4:5], 0 op_sel_hi:[1,0]
	ds_load_b128 v[8:11], v200 offset:256
	ds_load_b128 v[4:7], v200 offset:272
	v_pk_fma_f32 v[24:25], v[28:29], v[30:31], v[32:33] op_sel_hi:[0,1,1] neg_lo:[0,0,1] neg_hi:[0,0,1]
	v_pk_fma_f32 v[26:27], v[28:29], v[30:31], v[32:33]
	s_wait_dscnt 0x0
	v_pk_add_f32 v[20:21], v[36:37], v[20:21]
	s_barrier_signal -1
	v_mov_b32_e32 v27, v25
	s_barrier_wait -1
	s_delay_alu instid0(VALU_DEP_2) | instskip(NEXT) | instid1(VALU_DEP_1)
	v_pk_add_f32 v[20:21], v[20:21], v[22:23]
	v_pk_add_f32 v[20:21], v[20:21], v[26:27]
	ds_store_b64 v201, v[20:21]
	s_wait_dscnt 0x0
	s_barrier_signal -1
	s_barrier_wait -1
	s_and_saveexec_b32 s60, s20
	s_cbranch_execz .LBB6_97
; %bb.96:                               ;   in Loop: Header=BB6_4 Depth=1
	ds_load_2addr_b64 v[20:23], v199 offset1:1
	ds_load_2addr_b64 v[24:27], v199 offset0:2 offset1:3
	ds_load_2addr_b64 v[28:31], v199 offset0:4 offset1:5
	s_wait_dscnt 0x2
	v_pk_add_f32 v[20:21], v[112:113], v[20:21]
	s_delay_alu instid0(VALU_DEP_1) | instskip(SKIP_1) | instid1(VALU_DEP_1)
	v_pk_add_f32 v[20:21], v[20:21], v[22:23]
	s_wait_dscnt 0x1
	v_pk_add_f32 v[24:25], v[20:21], v[24:25]
	ds_load_2addr_b64 v[20:23], v199 offset0:6 offset1:7
	v_pk_add_f32 v[24:25], v[24:25], v[26:27]
	s_wait_dscnt 0x1
	s_delay_alu instid0(VALU_DEP_1) | instskip(NEXT) | instid1(VALU_DEP_1)
	v_pk_add_f32 v[24:25], v[24:25], v[28:29]
	v_pk_add_f32 v[24:25], v[24:25], v[30:31]
	s_wait_dscnt 0x0
	s_delay_alu instid0(VALU_DEP_1) | instskip(NEXT) | instid1(VALU_DEP_1)
	v_pk_add_f32 v[20:21], v[24:25], v[20:21]
	v_pk_add_f32 v[112:113], v[20:21], v[22:23]
.LBB6_97:                               ;   in Loop: Header=BB6_4 Depth=1
	s_or_b32 exec_lo, exec_lo, s60
	v_pk_mul_f32 v[20:21], v[8:9], v[18:19] op_sel:[1,1] op_sel_hi:[0,1]
	v_dual_mov_b32 v22, v11 :: v_dual_mov_b32 v23, v10
	v_pk_mul_f32 v[24:25], v[4:5], v[2:3] op_sel:[1,1] op_sel_hi:[0,1]
	v_dual_mov_b32 v28, v7 :: v_dual_mov_b32 v29, v6
	s_delay_alu instid0(VALU_DEP_4) | instskip(NEXT) | instid1(VALU_DEP_4)
	v_pk_fma_f32 v[26:27], v[8:9], v[18:19], v[20:21] op_sel_hi:[1,0,1]
	v_pk_mul_f32 v[22:23], v[22:23], v[0:1] op_sel:[0,1]
	v_pk_fma_f32 v[8:9], v[8:9], v[18:19], v[20:21] neg_lo:[0,0,1] neg_hi:[0,0,1]
	v_pk_fma_f32 v[20:21], v[4:5], v[2:3], v[24:25] op_sel_hi:[1,0,1]
	v_pk_fma_f32 v[2:3], v[4:5], v[2:3], v[24:25] neg_lo:[0,0,1] neg_hi:[0,0,1]
	s_delay_alu instid0(VALU_DEP_4)
	v_pk_fma_f32 v[18:19], v[10:11], v[0:1], v[22:23] op_sel_hi:[1,0,1]
	v_mov_b32_e32 v9, v27
	v_pk_fma_f32 v[0:1], v[10:11], v[0:1], v[22:23] neg_lo:[0,0,1] neg_hi:[0,0,1]
	v_pk_mul_f32 v[26:27], v[28:29], v[16:17] op_sel:[0,1]
	s_barrier_signal -1
	v_mov_b32_e32 v1, v19
	v_pk_add_f32 v[8:9], v[8:9], 0 op_sel_hi:[1,0]
	s_barrier_wait -1
	v_pk_fma_f32 v[4:5], v[6:7], v[16:17], v[26:27] op_sel_hi:[1,0,1]
	v_mov_b32_e32 v3, v21
	v_pk_fma_f32 v[6:7], v[6:7], v[16:17], v[26:27] neg_lo:[0,0,1] neg_hi:[0,0,1]
	v_pk_add_f32 v[0:1], v[8:9], v[0:1]
	s_delay_alu instid0(VALU_DEP_4) | instskip(NEXT) | instid1(VALU_DEP_2)
	v_mov_b32_e32 v7, v5
	v_pk_add_f32 v[0:1], v[0:1], v[2:3]
	s_delay_alu instid0(VALU_DEP_1)
	v_pk_add_f32 v[0:1], v[0:1], v[6:7]
	ds_store_b64 v201, v[0:1]
	s_wait_dscnt 0x0
	s_barrier_signal -1
	s_barrier_wait -1
	s_and_saveexec_b32 s60, s14
	s_cbranch_execz .LBB6_99
; %bb.98:                               ;   in Loop: Header=BB6_4 Depth=1
	ds_load_2addr_b64 v[0:3], v199 offset1:1
	ds_load_2addr_b64 v[4:7], v199 offset0:2 offset1:3
	ds_load_2addr_b64 v[8:11], v199 offset0:4 offset1:5
	s_wait_dscnt 0x2
	v_pk_add_f32 v[0:1], v[112:113], v[0:1]
	s_delay_alu instid0(VALU_DEP_1) | instskip(SKIP_1) | instid1(VALU_DEP_1)
	v_pk_add_f32 v[0:1], v[0:1], v[2:3]
	s_wait_dscnt 0x1
	v_pk_add_f32 v[4:5], v[0:1], v[4:5]
	ds_load_2addr_b64 v[0:3], v199 offset0:6 offset1:7
	v_pk_add_f32 v[4:5], v[4:5], v[6:7]
	s_wait_dscnt 0x1
	s_delay_alu instid0(VALU_DEP_1) | instskip(NEXT) | instid1(VALU_DEP_1)
	v_pk_add_f32 v[4:5], v[4:5], v[8:9]
	v_pk_add_f32 v[4:5], v[4:5], v[10:11]
	s_wait_dscnt 0x0
	s_delay_alu instid0(VALU_DEP_1) | instskip(NEXT) | instid1(VALU_DEP_1)
	v_pk_add_f32 v[0:1], v[4:5], v[0:1]
	v_pk_add_f32 v[112:113], v[0:1], v[2:3]
.LBB6_99:                               ;   in Loop: Header=BB6_4 Depth=1
	s_or_b32 exec_lo, exec_lo, s60
	s_mul_u64 s[60:61], s[30:31], s[34:35]
	s_and_not1_b32 vcc_lo, exec_lo, s37
	s_lshl_b64 s[60:61], s[60:61], 3
	s_delay_alu instid0(SALU_CYCLE_1)
	s_add_nc_u64 s[60:61], s[40:41], s[60:61]
	s_barrier_signal -1
	s_barrier_wait -1
	s_cbranch_vccnz .LBB6_157
; %bb.100:                              ;   in Loop: Header=BB6_4 Depth=1
	v_add_nc_u64_e32 v[114:115], v[14:15], v[68:69]
	v_add_nc_u64_e32 v[116:117], v[14:15], v[70:71]
	;; [unrolled: 1-line block ×20, first 2 shown]
	v_lshl_add_u64 v[154:155], s[50:51], 3, v[12:13]
	v_mov_b32_e32 v235, v234
	s_mov_b32 s62, s71
	s_mov_b32 s72, s38
	s_delay_alu instid0(SALU_CYCLE_1)
	s_cmp_eq_u32 s39, s72
	s_cselect_b32 s73, s65, 0
	s_and_saveexec_b32 s74, s0
	s_cbranch_execz .LBB6_105
.LBB6_101:                              ;   in Loop: Header=BB6_4 Depth=1
	v_cmp_le_i32_e32 vcc_lo, s73, v194
	s_cmp_lg_u32 s73, 0
	s_cselect_b32 s63, -1, 0
	s_delay_alu instid0(SALU_CYCLE_1) | instskip(NEXT) | instid1(SALU_CYCLE_1)
	s_and_b32 s63, s63, vcc_lo
	s_and_saveexec_b32 s75, s63
	s_delay_alu instid0(SALU_CYCLE_1)
	s_xor_b32 s63, exec_lo, s75
; %bb.102:                              ;   in Loop: Header=BB6_4 Depth=1
	ds_store_b64 v219, v[110:111]
; %bb.103:                              ;   in Loop: Header=BB6_4 Depth=1
	s_and_not1_saveexec_b32 s63, s63
	s_cbranch_execz .LBB6_105
; %bb.104:                              ;   in Loop: Header=BB6_4 Depth=1
	s_ashr_i32 s63, s62, 31
	s_delay_alu instid0(SALU_CYCLE_1)
	v_lshl_add_u64 v[0:1], s[62:63], 3, v[154:155]
	global_load_b64 v[0:1], v[0:1], off
	s_wait_loadcnt 0x0
	ds_store_b64 v219, v[0:1]
.LBB6_105:                              ;   Parent Loop BB6_4 Depth=1
                                        ; =>  This Inner Loop Header: Depth=2
	s_wait_xcnt 0x0
	s_or_b32 exec_lo, exec_lo, s74
	s_cmp_eq_u32 s73, 0
	v_add_nc_u64_e32 v[0:1], v[114:115], v[66:67]
	s_cselect_b32 s63, -1, 0
	s_cmp_lg_u32 s73, 0
	s_wait_dscnt 0x0
	s_cselect_b32 s74, -1, 0
	s_barrier_signal -1
	s_and_b32 vcc_lo, exec_lo, s74
	s_barrier_wait -1
	s_cbranch_vccz .LBB6_113
; %bb.106:                              ;   in Loop: Header=BB6_105 Depth=2
	v_mov_b64_e32 v[156:157], 0
	v_mov_b64_e32 v[158:159], 0
	s_mov_b32 s75, exec_lo
	v_cmpx_gt_i32_e64 s73, v202
	s_cbranch_execz .LBB6_108
; %bb.107:                              ;   in Loop: Header=BB6_105 Depth=2
	global_load_b64 v[158:159], v[0:1], off
.LBB6_108:                              ;   in Loop: Header=BB6_105 Depth=2
	s_wait_xcnt 0x0
	s_or_b32 exec_lo, exec_lo, s75
	s_delay_alu instid0(SALU_CYCLE_1)
	s_mov_b32 s75, exec_lo
	v_cmpx_gt_i32_e64 s73, v220
	s_cbranch_execz .LBB6_110
; %bb.109:                              ;   in Loop: Header=BB6_105 Depth=2
	v_add_nc_u64_e32 v[2:3], v[118:119], v[66:67]
	global_load_b64 v[156:157], v[2:3], off
.LBB6_110:                              ;   in Loop: Header=BB6_105 Depth=2
	s_wait_xcnt 0x0
	s_or_b32 exec_lo, exec_lo, s75
	v_mov_b64_e32 v[160:161], 0
	s_mov_b32 s75, exec_lo
	v_cmpx_gt_i32_e64 s73, v221
	s_cbranch_execz .LBB6_112
; %bb.111:                              ;   in Loop: Header=BB6_105 Depth=2
	v_add_nc_u64_e32 v[2:3], v[120:121], v[66:67]
	global_load_b64 v[160:161], v[2:3], off
.LBB6_112:                              ;   in Loop: Header=BB6_105 Depth=2
	s_wait_xcnt 0x0
	s_or_b32 exec_lo, exec_lo, s75
	v_cmp_gt_i32_e64 s75, s73, v222
	s_branch .LBB6_115
.LBB6_113:                              ;   in Loop: Header=BB6_105 Depth=2
	s_mov_b32 s75, 0
                                        ; implicit-def: $vgpr160_vgpr161
                                        ; implicit-def: $vgpr156_vgpr157
                                        ; implicit-def: $vgpr158_vgpr159
	s_cbranch_execz .LBB6_115
; %bb.114:                              ;   in Loop: Header=BB6_105 Depth=2
	v_add_nc_u64_e32 v[2:3], v[118:119], v[66:67]
	v_add_nc_u64_e32 v[4:5], v[116:117], v[66:67]
	s_or_b32 s75, s75, exec_lo
	s_wait_loadcnt 0x0
	global_load_b64 v[158:159], v[0:1], off
	global_load_b64 v[156:157], v[2:3], off
	;; [unrolled: 1-line block ×3, first 2 shown]
.LBB6_115:                              ;   in Loop: Header=BB6_105 Depth=2
	v_dual_mov_b32 v162, 0 :: v_dual_mov_b32 v164, 0
	s_wait_xcnt 0x0
	s_delay_alu instid0(VALU_DEP_2)
	s_and_saveexec_b32 s76, s75
	s_cbranch_execz .LBB6_117
; %bb.116:                              ;   in Loop: Header=BB6_105 Depth=2
	v_add_nc_u64_e32 v[0:1], v[122:123], v[66:67]
	global_load_b64 v[162:163], v[0:1], off
	s_wait_loadcnt 0x0
	v_mov_b32_e32 v164, v163
.LBB6_117:                              ;   in Loop: Header=BB6_105 Depth=2
	s_wait_xcnt 0x0
	s_or_b32 exec_lo, exec_lo, s76
	ds_load_b64 v[4:5], v214
	ds_load_b128 v[0:3], v204
	v_cndmask_b32_e64 v40, 0, 1, s74
	s_and_not1_b32 vcc_lo, exec_lo, s74
	s_wait_loadcnt_dscnt 0x1
	v_pk_mul_f32 v[6:7], v[158:159], v[4:5] op_sel:[1,0]
	v_pk_mul_f32 v[8:9], v[156:157], v[4:5] op_sel:[1,0]
	;; [unrolled: 1-line block ×3, first 2 shown]
	v_pk_mul_f32 v[12:13], v[164:165], v[4:5] op_sel_hi:[0,1]
	s_delay_alu instid0(VALU_DEP_4)
	v_pk_fma_f32 v[14:15], v[158:159], v[4:5], v[6:7] op_sel:[0,0,1] op_sel_hi:[1,1,0]
	v_pk_fma_f32 v[6:7], v[158:159], v[4:5], v[6:7] op_sel:[0,0,1] op_sel_hi:[0,1,0] neg_lo:[0,0,1] neg_hi:[0,0,1]
	v_pk_fma_f32 v[16:17], v[156:157], v[4:5], v[8:9] op_sel:[0,0,1] op_sel_hi:[1,1,0]
	v_pk_fma_f32 v[8:9], v[156:157], v[4:5], v[8:9] op_sel:[0,0,1] op_sel_hi:[0,1,0] neg_lo:[0,0,1] neg_hi:[0,0,1]
	;; [unrolled: 2-line block ×3, first 2 shown]
	v_pk_fma_f32 v[20:21], v[162:163], v[4:5], v[12:13] op_sel:[0,0,1] op_sel_hi:[0,1,0] neg_lo:[0,0,1] neg_hi:[0,0,1]
	v_pk_fma_f32 v[12:13], v[162:163], v[4:5], v[12:13] op_sel:[0,0,1] op_sel_hi:[1,1,0]
	v_dual_mov_b32 v15, v7 :: v_dual_mov_b32 v17, v9
	s_delay_alu instid0(VALU_DEP_3)
	v_dual_mov_b32 v19, v11 :: v_dual_mov_b32 v13, v21
	ds_load_b128 v[4:7], v204 offset:16
	ds_store_2addr_b64 v205, v[14:15], v[16:17] offset1:67
	ds_store_2addr_b64 v205, v[18:19], v[12:13] offset0:134 offset1:201
	s_wait_dscnt 0x0
	s_barrier_signal -1
	s_barrier_wait -1
	ds_load_2addr_b64 v[20:23], v206 offset1:1
	ds_load_2addr_b64 v[16:19], v206 offset0:2 offset1:3
	v_add_nc_u64_e32 v[8:9], v[124:125], v[66:67]
	s_wait_dscnt 0x0
	s_barrier_signal -1
	s_barrier_wait -1
	s_cbranch_vccnz .LBB6_125
; %bb.118:                              ;   in Loop: Header=BB6_105 Depth=2
	v_mov_b64_e32 v[166:167], 0
	v_mov_b64_e32 v[168:169], 0
	s_mov_b32 s74, exec_lo
	v_cmpx_gt_i32_e64 s73, v223
	s_cbranch_execz .LBB6_120
; %bb.119:                              ;   in Loop: Header=BB6_105 Depth=2
	global_load_b64 v[168:169], v[8:9], off
.LBB6_120:                              ;   in Loop: Header=BB6_105 Depth=2
	s_wait_xcnt 0x0
	s_or_b32 exec_lo, exec_lo, s74
	s_delay_alu instid0(SALU_CYCLE_1)
	s_mov_b32 s74, exec_lo
	v_cmpx_gt_i32_e64 s73, v224
	s_cbranch_execz .LBB6_122
; %bb.121:                              ;   in Loop: Header=BB6_105 Depth=2
	v_add_nc_u64_e32 v[10:11], v[126:127], v[66:67]
	global_load_b64 v[166:167], v[10:11], off
.LBB6_122:                              ;   in Loop: Header=BB6_105 Depth=2
	s_wait_xcnt 0x0
	s_or_b32 exec_lo, exec_lo, s74
	v_mov_b64_e32 v[170:171], 0
	s_mov_b32 s74, exec_lo
	v_cmpx_gt_i32_e64 s73, v225
	s_cbranch_execz .LBB6_124
; %bb.123:                              ;   in Loop: Header=BB6_105 Depth=2
	v_add_nc_u64_e32 v[10:11], v[128:129], v[66:67]
	global_load_b64 v[170:171], v[10:11], off
.LBB6_124:                              ;   in Loop: Header=BB6_105 Depth=2
	s_wait_xcnt 0x0
	s_or_b32 exec_lo, exec_lo, s74
	v_cmp_gt_i32_e64 s74, s73, v226
	s_branch .LBB6_127
.LBB6_125:                              ;   in Loop: Header=BB6_105 Depth=2
	s_mov_b32 s74, 0
                                        ; implicit-def: $vgpr170_vgpr171
                                        ; implicit-def: $vgpr166_vgpr167
                                        ; implicit-def: $vgpr168_vgpr169
	s_cbranch_execz .LBB6_127
; %bb.126:                              ;   in Loop: Header=BB6_105 Depth=2
	v_add_nc_u64_e32 v[10:11], v[126:127], v[66:67]
	v_add_nc_u64_e32 v[12:13], v[130:131], v[66:67]
	s_or_b32 s74, s74, exec_lo
	s_wait_loadcnt 0x0
	global_load_b64 v[168:169], v[8:9], off
	global_load_b64 v[166:167], v[10:11], off
	;; [unrolled: 1-line block ×3, first 2 shown]
.LBB6_127:                              ;   in Loop: Header=BB6_105 Depth=2
	v_dual_mov_b32 v172, 0 :: v_dual_mov_b32 v62, 0
	s_wait_xcnt 0x0
	s_delay_alu instid0(VALU_DEP_2)
	s_and_saveexec_b32 s75, s74
	s_cbranch_execz .LBB6_129
; %bb.128:                              ;   in Loop: Header=BB6_105 Depth=2
	v_add_nc_u64_e32 v[8:9], v[132:133], v[66:67]
	global_load_b64 v[172:173], v[8:9], off
	s_wait_loadcnt 0x0
	v_mov_b32_e32 v62, v173
.LBB6_129:                              ;   in Loop: Header=BB6_105 Depth=2
	s_wait_xcnt 0x0
	s_or_b32 exec_lo, exec_lo, s75
	ds_load_b64 v[8:9], v214
	v_cmp_ne_u32_e32 vcc_lo, 1, v40
	s_and_b32 vcc_lo, exec_lo, vcc_lo
	s_wait_loadcnt_dscnt 0x0
	v_pk_mul_f32 v[10:11], v[168:169], v[8:9] op_sel:[1,1] op_sel_hi:[1,0]
	v_pk_mul_f32 v[12:13], v[166:167], v[8:9] op_sel:[1,1] op_sel_hi:[1,0]
	v_pk_mul_f32 v[14:15], v[170:171], v[8:9] op_sel:[1,1] op_sel_hi:[1,0]
	v_pk_mul_f32 v[24:25], v[62:63], v[8:9] op_sel:[0,1] op_sel_hi:[0,0]
	s_delay_alu instid0(VALU_DEP_4)
	v_pk_fma_f32 v[26:27], v[168:169], v[8:9], v[10:11]
	v_pk_fma_f32 v[10:11], v[168:169], v[8:9], v[10:11] op_sel_hi:[0,1,1] neg_lo:[0,0,1] neg_hi:[0,0,1]
	v_pk_fma_f32 v[28:29], v[166:167], v[8:9], v[12:13]
	v_pk_fma_f32 v[12:13], v[166:167], v[8:9], v[12:13] op_sel_hi:[0,1,1] neg_lo:[0,0,1] neg_hi:[0,0,1]
	;; [unrolled: 2-line block ×3, first 2 shown]
	v_pk_fma_f32 v[32:33], v[172:173], v[8:9], v[24:25] op_sel_hi:[0,1,1] neg_lo:[0,0,1] neg_hi:[0,0,1]
	v_pk_fma_f32 v[24:25], v[172:173], v[8:9], v[24:25]
	v_dual_mov_b32 v27, v11 :: v_dual_mov_b32 v29, v13
	s_delay_alu instid0(VALU_DEP_3)
	v_dual_mov_b32 v31, v15 :: v_dual_mov_b32 v25, v33
	ds_load_b128 v[12:15], v204 offset:128
	ds_load_b128 v[8:11], v204 offset:144
	ds_store_2addr_b64 v205, v[26:27], v[28:29] offset1:67
	ds_store_2addr_b64 v205, v[30:31], v[24:25] offset0:134 offset1:201
	s_wait_dscnt 0x0
	s_barrier_signal -1
	s_barrier_wait -1
	ds_load_2addr_b64 v[36:39], v206 offset1:1
	ds_load_2addr_b64 v[32:35], v206 offset0:2 offset1:3
	v_add_nc_u64_e32 v[24:25], v[134:135], v[66:67]
	s_wait_dscnt 0x0
	s_barrier_signal -1
	s_barrier_wait -1
	s_cbranch_vccnz .LBB6_137
; %bb.130:                              ;   in Loop: Header=BB6_105 Depth=2
	v_mov_b64_e32 v[174:175], 0
	v_mov_b64_e32 v[176:177], 0
	s_mov_b32 s74, exec_lo
	v_cmpx_gt_i32_e64 s73, v227
	s_cbranch_execz .LBB6_132
; %bb.131:                              ;   in Loop: Header=BB6_105 Depth=2
	global_load_b64 v[176:177], v[24:25], off
.LBB6_132:                              ;   in Loop: Header=BB6_105 Depth=2
	s_wait_xcnt 0x0
	s_or_b32 exec_lo, exec_lo, s74
	s_delay_alu instid0(SALU_CYCLE_1)
	s_mov_b32 s74, exec_lo
	v_cmpx_gt_i32_e64 s73, v228
	s_cbranch_execz .LBB6_134
; %bb.133:                              ;   in Loop: Header=BB6_105 Depth=2
	v_add_nc_u64_e32 v[26:27], v[136:137], v[66:67]
	global_load_b64 v[174:175], v[26:27], off
.LBB6_134:                              ;   in Loop: Header=BB6_105 Depth=2
	s_wait_xcnt 0x0
	s_or_b32 exec_lo, exec_lo, s74
	v_mov_b64_e32 v[178:179], 0
	s_mov_b32 s74, exec_lo
	v_cmpx_gt_i32_e64 s73, v229
	s_cbranch_execz .LBB6_136
; %bb.135:                              ;   in Loop: Header=BB6_105 Depth=2
	v_add_nc_u64_e32 v[26:27], v[138:139], v[66:67]
	global_load_b64 v[178:179], v[26:27], off
.LBB6_136:                              ;   in Loop: Header=BB6_105 Depth=2
	s_wait_xcnt 0x0
	s_or_b32 exec_lo, exec_lo, s74
	v_cmp_gt_i32_e64 s74, s73, v230
	s_branch .LBB6_139
.LBB6_137:                              ;   in Loop: Header=BB6_105 Depth=2
	s_mov_b32 s74, 0
                                        ; implicit-def: $vgpr178_vgpr179
                                        ; implicit-def: $vgpr174_vgpr175
                                        ; implicit-def: $vgpr176_vgpr177
	s_cbranch_execz .LBB6_139
; %bb.138:                              ;   in Loop: Header=BB6_105 Depth=2
	v_add_nc_u64_e32 v[26:27], v[136:137], v[66:67]
	v_add_nc_u64_e32 v[28:29], v[140:141], v[66:67]
	s_or_b32 s74, s74, exec_lo
	s_wait_loadcnt 0x0
	global_load_b64 v[176:177], v[24:25], off
	global_load_b64 v[174:175], v[26:27], off
	;; [unrolled: 1-line block ×3, first 2 shown]
.LBB6_139:                              ;   in Loop: Header=BB6_105 Depth=2
	v_dual_mov_b32 v180, 0 :: v_dual_mov_b32 v182, 0
	s_wait_xcnt 0x0
	s_delay_alu instid0(VALU_DEP_2)
	s_and_saveexec_b32 s75, s74
	s_cbranch_execz .LBB6_141
; %bb.140:                              ;   in Loop: Header=BB6_105 Depth=2
	v_add_nc_u64_e32 v[24:25], v[142:143], v[66:67]
	global_load_b64 v[180:181], v[24:25], off
	s_wait_loadcnt 0x0
	v_mov_b32_e32 v182, v181
.LBB6_141:                              ;   in Loop: Header=BB6_105 Depth=2
	s_wait_xcnt 0x0
	s_or_b32 exec_lo, exec_lo, s75
	ds_load_b64 v[24:25], v214
	ds_load_b128 v[28:31], v204 offset:256
	v_cmp_ne_u32_e32 vcc_lo, 1, v40
	v_add_nc_u64_e32 v[40:41], v[144:145], v[66:67]
	s_and_b32 vcc_lo, exec_lo, vcc_lo
	s_wait_loadcnt_dscnt 0x1
	v_pk_mul_f32 v[26:27], v[176:177], v[24:25] op_sel:[1,0]
	v_pk_mul_f32 v[42:43], v[174:175], v[24:25] op_sel:[1,0]
	;; [unrolled: 1-line block ×3, first 2 shown]
	v_pk_mul_f32 v[46:47], v[182:183], v[24:25] op_sel_hi:[0,1]
	s_delay_alu instid0(VALU_DEP_4)
	v_pk_fma_f32 v[48:49], v[176:177], v[24:25], v[26:27] op_sel:[0,0,1] op_sel_hi:[1,1,0]
	v_pk_fma_f32 v[26:27], v[176:177], v[24:25], v[26:27] op_sel:[0,0,1] op_sel_hi:[0,1,0] neg_lo:[0,0,1] neg_hi:[0,0,1]
	v_pk_fma_f32 v[50:51], v[174:175], v[24:25], v[42:43] op_sel:[0,0,1] op_sel_hi:[1,1,0]
	v_pk_fma_f32 v[42:43], v[174:175], v[24:25], v[42:43] op_sel:[0,0,1] op_sel_hi:[0,1,0] neg_lo:[0,0,1] neg_hi:[0,0,1]
	v_pk_fma_f32 v[52:53], v[178:179], v[24:25], v[44:45] op_sel:[0,0,1] op_sel_hi:[1,1,0]
	v_pk_fma_f32 v[44:45], v[178:179], v[24:25], v[44:45] op_sel:[0,0,1] op_sel_hi:[0,1,0] neg_lo:[0,0,1] neg_hi:[0,0,1]
	v_pk_fma_f32 v[54:55], v[180:181], v[24:25], v[46:47] op_sel:[0,0,1] op_sel_hi:[0,1,0] neg_lo:[0,0,1] neg_hi:[0,0,1]
	v_pk_fma_f32 v[46:47], v[180:181], v[24:25], v[46:47] op_sel:[0,0,1] op_sel_hi:[1,1,0]
	v_dual_mov_b32 v49, v27 :: v_dual_mov_b32 v51, v43
	s_delay_alu instid0(VALU_DEP_3)
	v_dual_mov_b32 v53, v45 :: v_dual_mov_b32 v47, v55
	ds_load_b128 v[24:27], v204 offset:272
	ds_store_2addr_b64 v205, v[48:49], v[50:51] offset1:67
	ds_store_2addr_b64 v205, v[52:53], v[46:47] offset0:134 offset1:201
	s_wait_dscnt 0x0
	s_barrier_signal -1
	s_barrier_wait -1
	ds_load_2addr_b64 v[52:55], v206 offset1:1
	ds_load_2addr_b64 v[48:51], v206 offset0:2 offset1:3
	s_wait_dscnt 0x0
	s_barrier_signal -1
	s_barrier_wait -1
	s_cbranch_vccnz .LBB6_149
; %bb.142:                              ;   in Loop: Header=BB6_105 Depth=2
	v_mov_b64_e32 v[184:185], 0
	v_mov_b64_e32 v[186:187], 0
	s_mov_b32 s74, exec_lo
	v_cmpx_gt_i32_e64 s73, v231
	s_cbranch_execz .LBB6_144
; %bb.143:                              ;   in Loop: Header=BB6_105 Depth=2
	global_load_b64 v[186:187], v[40:41], off
.LBB6_144:                              ;   in Loop: Header=BB6_105 Depth=2
	s_wait_xcnt 0x0
	s_or_b32 exec_lo, exec_lo, s74
	s_delay_alu instid0(SALU_CYCLE_1)
	s_mov_b32 s74, exec_lo
	v_cmpx_gt_i32_e64 s73, v232
	s_cbranch_execz .LBB6_146
; %bb.145:                              ;   in Loop: Header=BB6_105 Depth=2
	v_add_nc_u64_e32 v[42:43], v[146:147], v[66:67]
	global_load_b64 v[184:185], v[42:43], off
.LBB6_146:                              ;   in Loop: Header=BB6_105 Depth=2
	s_wait_xcnt 0x0
	s_or_b32 exec_lo, exec_lo, s74
	v_mov_b64_e32 v[188:189], 0
	s_mov_b32 s74, exec_lo
	v_cmpx_gt_i32_e64 s73, v233
	s_cbranch_execz .LBB6_148
; %bb.147:                              ;   in Loop: Header=BB6_105 Depth=2
	v_add_nc_u64_e32 v[42:43], v[148:149], v[66:67]
	global_load_b64 v[188:189], v[42:43], off
.LBB6_148:                              ;   in Loop: Header=BB6_105 Depth=2
	s_wait_xcnt 0x0
	s_or_b32 exec_lo, exec_lo, s74
	v_cmp_gt_i32_e64 s74, s73, v57
	s_branch .LBB6_151
.LBB6_149:                              ;   in Loop: Header=BB6_105 Depth=2
	s_mov_b32 s74, 0
                                        ; implicit-def: $vgpr188_vgpr189
                                        ; implicit-def: $vgpr184_vgpr185
                                        ; implicit-def: $vgpr186_vgpr187
	s_cbranch_execz .LBB6_151
; %bb.150:                              ;   in Loop: Header=BB6_105 Depth=2
	v_add_nc_u64_e32 v[42:43], v[146:147], v[66:67]
	v_add_nc_u64_e32 v[44:45], v[150:151], v[66:67]
	s_or_b32 s74, s74, exec_lo
	s_wait_loadcnt 0x0
	global_load_b64 v[186:187], v[40:41], off
	global_load_b64 v[184:185], v[42:43], off
	;; [unrolled: 1-line block ×3, first 2 shown]
.LBB6_151:                              ;   in Loop: Header=BB6_105 Depth=2
	v_dual_mov_b32 v190, 0 :: v_dual_mov_b32 v192, 0
	s_wait_xcnt 0x0
	s_delay_alu instid0(VALU_DEP_2)
	s_and_saveexec_b32 s75, s74
	s_cbranch_execz .LBB6_153
; %bb.152:                              ;   in Loop: Header=BB6_105 Depth=2
	v_add_nc_u64_e32 v[40:41], v[152:153], v[66:67]
	global_load_b64 v[190:191], v[40:41], off
	s_wait_loadcnt 0x0
	v_mov_b32_e32 v192, v191
.LBB6_153:                              ;   in Loop: Header=BB6_105 Depth=2
	s_wait_xcnt 0x0
	s_or_b32 exec_lo, exec_lo, s75
	ds_load_b64 v[44:45], v214
	ds_load_b128 v[40:43], v204 offset:384
	v_pk_add_f32 v[36:37], v[36:37], 0 op_sel_hi:[1,0]
	v_pk_add_f32 v[20:21], v[20:21], 0 op_sel_hi:[1,0]
	;; [unrolled: 1-line block ×3, first 2 shown]
	v_cmp_gt_i32_e32 vcc_lo, s73, v194
	s_delay_alu instid0(VALU_DEP_4) | instskip(NEXT) | instid1(VALU_DEP_4)
	v_pk_add_f32 v[36:37], v[36:37], v[38:39]
	v_pk_add_f32 v[20:21], v[20:21], v[22:23]
	s_delay_alu instid0(VALU_DEP_4) | instskip(SKIP_1) | instid1(VALU_DEP_3)
	v_pk_add_f32 v[52:53], v[52:53], v[54:55]
	s_or_b32 s63, s63, vcc_lo
	v_pk_add_f32 v[32:33], v[36:37], v[32:33]
	s_delay_alu instid0(VALU_DEP_3) | instskip(NEXT) | instid1(VALU_DEP_3)
	v_pk_add_f32 v[16:17], v[20:21], v[16:17]
	v_pk_add_f32 v[38:39], v[52:53], v[48:49]
	s_and_b32 s73, s21, s63
	s_delay_alu instid0(VALU_DEP_3) | instskip(NEXT) | instid1(VALU_DEP_3)
	v_pk_add_f32 v[32:33], v[32:33], v[34:35]
	v_pk_add_f32 v[16:17], v[16:17], v[18:19]
	s_wait_loadcnt_dscnt 0x1
	v_pk_mul_f32 v[46:47], v[186:187], v[44:45] op_sel:[1,0]
	v_pk_mul_f32 v[236:237], v[184:185], v[44:45] op_sel:[1,0]
	;; [unrolled: 1-line block ×3, first 2 shown]
	v_pk_mul_f32 v[240:241], v[192:193], v[44:45] op_sel_hi:[0,1]
	s_delay_alu instid0(VALU_DEP_4)
	v_pk_fma_f32 v[242:243], v[186:187], v[44:45], v[46:47] op_sel:[0,0,1] op_sel_hi:[1,1,0]
	v_pk_fma_f32 v[46:47], v[186:187], v[44:45], v[46:47] op_sel:[0,0,1] op_sel_hi:[0,1,0] neg_lo:[0,0,1] neg_hi:[0,0,1]
	v_pk_fma_f32 v[244:245], v[184:185], v[44:45], v[236:237] op_sel:[0,0,1] op_sel_hi:[1,1,0]
	v_pk_fma_f32 v[236:237], v[184:185], v[44:45], v[236:237] op_sel:[0,0,1] op_sel_hi:[0,1,0] neg_lo:[0,0,1] neg_hi:[0,0,1]
	;; [unrolled: 2-line block ×3, first 2 shown]
	v_pk_fma_f32 v[248:249], v[190:191], v[44:45], v[240:241] op_sel:[0,0,1] op_sel_hi:[0,1,0] neg_lo:[0,0,1] neg_hi:[0,0,1]
	v_pk_fma_f32 v[240:241], v[190:191], v[44:45], v[240:241] op_sel:[0,0,1] op_sel_hi:[1,1,0]
	v_dual_mov_b32 v243, v47 :: v_dual_mov_b32 v245, v237
	s_delay_alu instid0(VALU_DEP_3)
	v_dual_mov_b32 v247, v239 :: v_dual_mov_b32 v241, v249
	ds_load_b128 v[44:47], v204 offset:400
	ds_store_2addr_b64 v205, v[242:243], v[244:245] offset1:67
	ds_store_2addr_b64 v205, v[246:247], v[240:241] offset0:134 offset1:201
	s_wait_dscnt 0x0
	s_barrier_signal -1
	s_barrier_wait -1
	ds_load_2addr_b64 v[236:239], v206 offset1:1
	ds_load_2addr_b64 v[240:243], v206 offset0:2 offset1:3
	s_wait_dscnt 0x0
	s_barrier_signal -1
	s_barrier_wait -1
	v_pk_add_f32 v[236:237], v[236:237], 0 op_sel_hi:[1,0]
	s_delay_alu instid0(VALU_DEP_1) | instskip(NEXT) | instid1(VALU_DEP_1)
	v_pk_add_f32 v[22:23], v[236:237], v[238:239]
	v_pk_add_f32 v[20:21], v[22:23], v[240:241]
	;; [unrolled: 1-line block ×3, first 2 shown]
	s_delay_alu instid0(VALU_DEP_2)
	v_pk_add_f32 v[18:19], v[20:21], v[242:243]
	ds_store_2addr_b64 v211, v[16:17], v[32:33] offset1:16
	ds_store_2addr_b64 v211, v[22:23], v[18:19] offset0:32 offset1:48
	s_wait_dscnt 0x0
	s_barrier_signal -1
	s_barrier_wait -1
	s_and_saveexec_b32 s63, s73
	s_cbranch_execz .LBB6_155
; %bb.154:                              ;   in Loop: Header=BB6_105 Depth=2
	ds_load_b64 v[36:37], v207
	ds_load_2addr_b64 v[16:19], v207 offset0:1 offset1:2
	ds_load_2addr_b64 v[20:23], v207 offset0:3 offset1:4
	;; [unrolled: 1-line block ×3, first 2 shown]
	s_wait_dscnt 0x2
	v_dual_add_f32 v16, v16, v36 :: v_dual_add_f32 v17, v17, v37
	s_delay_alu instid0(VALU_DEP_1) | instskip(SKIP_3) | instid1(VALU_DEP_1)
	v_dual_add_f32 v36, v18, v16 :: v_dual_add_f32 v37, v19, v17
	ds_load_2addr_b64 v[16:19], v207 offset0:7 offset1:8
	s_wait_dscnt 0x2
	v_dual_add_f32 v20, v36, v20 :: v_dual_add_f32 v21, v37, v21
	v_dual_add_f32 v36, v20, v22 :: v_dual_add_f32 v37, v21, v23
	ds_load_2addr_b64 v[20:23], v207 offset0:9 offset1:10
	s_wait_dscnt 0x2
	v_pk_add_f32 v[32:33], v[36:37], v[32:33]
	s_delay_alu instid0(VALU_DEP_1) | instskip(SKIP_3) | instid1(VALU_DEP_1)
	v_pk_add_f32 v[36:37], v[32:33], v[34:35]
	ds_load_2addr_b64 v[32:35], v207 offset0:11 offset1:12
	s_wait_dscnt 0x2
	v_pk_add_f32 v[16:17], v[36:37], v[16:17]
	v_pk_add_f32 v[16:17], v[16:17], v[18:19]
	s_wait_dscnt 0x1
	s_delay_alu instid0(VALU_DEP_1)
	v_pk_add_f32 v[20:21], v[16:17], v[20:21]
	ds_load_2addr_b64 v[16:19], v207 offset0:13 offset1:14
	v_pk_add_f32 v[20:21], v[20:21], v[22:23]
	ds_load_b64 v[22:23], v208
	s_wait_dscnt 0x2
	v_pk_add_f32 v[20:21], v[20:21], v[32:33]
	s_delay_alu instid0(VALU_DEP_1) | instskip(SKIP_1) | instid1(VALU_DEP_1)
	v_pk_add_f32 v[20:21], v[20:21], v[34:35]
	s_wait_dscnt 0x1
	v_pk_add_f32 v[16:17], v[20:21], v[16:17]
	s_delay_alu instid0(VALU_DEP_1) | instskip(SKIP_1) | instid1(VALU_DEP_1)
	v_pk_add_f32 v[16:17], v[16:17], v[18:19]
	s_wait_dscnt 0x0
	v_pk_add_f32 v[16:17], v[16:17], v[22:23]
	global_store_b64 v235, v[16:17], s[60:61] scale_offset
.LBB6_155:                              ;   in Loop: Header=BB6_105 Depth=2
	s_wait_xcnt 0x0
	s_or_b32 exec_lo, exec_lo, s63
	v_dual_mov_b32 v16, v158 :: v_dual_mov_b32 v17, v158
	v_dual_mov_b32 v158, v159 :: v_dual_mov_b32 v18, v156
	;; [unrolled: 1-line block ×4, first 2 shown]
	s_delay_alu instid0(VALU_DEP_3) | instskip(SKIP_1) | instid1(VALU_DEP_4)
	v_pk_mul_f32 v[20:21], v[158:159], v[0:1]
	v_dual_mov_b32 v160, v161 :: v_dual_mov_b32 v163, v162
	v_pk_mul_f32 v[34:35], v[156:157], v[2:3]
	v_dual_mov_b32 v191, v190 :: v_dual_mov_b32 v193, v192
	s_delay_alu instid0(VALU_DEP_4)
	v_pk_fma_f32 v[32:33], v[16:17], v[0:1], v[20:21] op_sel:[0,0,1] op_sel_hi:[1,1,0]
	v_pk_fma_f32 v[0:1], v[16:17], v[0:1], v[20:21] op_sel:[0,0,1] op_sel_hi:[1,1,0] neg_lo:[0,0,1] neg_hi:[0,0,1]
	v_mov_b32_e32 v165, v164
	v_pk_fma_f32 v[16:17], v[18:19], v[2:3], v[34:35] op_sel:[0,0,1] op_sel_hi:[1,1,0]
	v_pk_mul_f32 v[20:21], v[160:161], v[4:5]
	v_mov_b32_e32 v1, v33
	v_pk_fma_f32 v[2:3], v[18:19], v[2:3], v[34:35] op_sel:[0,0,1] op_sel_hi:[1,1,0] neg_lo:[0,0,1] neg_hi:[0,0,1]
	v_pk_mul_f32 v[32:33], v[164:165], v[6:7]
	v_mov_b32_e32 v3, v17
	v_pk_fma_f32 v[16:17], v[22:23], v[4:5], v[20:21] op_sel:[0,0,1] op_sel_hi:[1,1,0]
	v_pk_add_f32 v[0:1], v[112:113], v[0:1]
	v_pk_fma_f32 v[4:5], v[22:23], v[4:5], v[20:21] op_sel:[0,0,1] op_sel_hi:[1,1,0] neg_lo:[0,0,1] neg_hi:[0,0,1]
	v_pk_fma_f32 v[18:19], v[162:163], v[6:7], v[32:33] op_sel:[0,0,1] op_sel_hi:[1,1,0]
	s_delay_alu instid0(VALU_DEP_4) | instskip(NEXT) | instid1(VALU_DEP_4)
	v_dual_mov_b32 v16, v15 :: v_dual_mov_b32 v5, v17
	v_pk_add_f32 v[0:1], v[0:1], v[2:3]
	v_pk_fma_f32 v[2:3], v[162:163], v[6:7], v[32:33] op_sel:[0,0,1] op_sel_hi:[1,1,0] neg_lo:[0,0,1] neg_hi:[0,0,1]
	v_pk_mul_f32 v[6:7], v[168:169], v[12:13] op_sel:[1,1] op_sel_hi:[0,1]
	v_mov_b32_e32 v3, v19
	v_pk_mul_f32 v[16:17], v[166:167], v[16:17] op_sel:[1,0] op_sel_hi:[0,0]
	v_pk_add_f32 v[0:1], v[0:1], v[4:5]
	v_add_nc_u64_e32 v[114:115], s[58:59], v[114:115]
	v_pk_fma_f32 v[4:5], v[168:169], v[12:13], v[6:7] op_sel_hi:[1,0,1]
	v_dual_mov_b32 v173, v62 :: v_dual_mov_b32 v4, v176
	s_delay_alu instid0(VALU_DEP_4) | instskip(SKIP_1) | instid1(VALU_DEP_4)
	v_pk_add_f32 v[0:1], v[0:1], v[2:3]
	v_pk_fma_f32 v[2:3], v[168:169], v[12:13], v[6:7] neg_lo:[0,0,1] neg_hi:[0,0,1]
	v_mov_b32_e32 v3, v5
	v_pk_fma_f32 v[6:7], v[166:167], v[14:15], v[16:17] op_sel_hi:[1,0,1]
	v_pk_fma_f32 v[12:13], v[166:167], v[14:15], v[16:17] neg_lo:[0,0,1] neg_hi:[0,0,1]
	v_dual_mov_b32 v5, v176 :: v_dual_mov_b32 v176, v177
	s_delay_alu instid0(VALU_DEP_4) | instskip(SKIP_3) | instid1(VALU_DEP_3)
	v_pk_add_f32 v[0:1], v[0:1], v[2:3]
	v_pk_mul_f32 v[2:3], v[170:171], v[8:9] op_sel:[1,1] op_sel_hi:[0,1]
	v_dual_mov_b32 v13, v7 :: v_dual_mov_b32 v6, v11
	v_dual_mov_b32 v14, v174 :: v_dual_mov_b32 v181, v180
	v_pk_fma_f32 v[16:17], v[170:171], v[8:9], v[2:3] op_sel_hi:[1,0,1]
	v_pk_fma_f32 v[2:3], v[170:171], v[8:9], v[2:3] neg_lo:[0,0,1] neg_hi:[0,0,1]
	v_mov_b32_e32 v15, v174
	v_pk_add_f32 v[0:1], v[0:1], v[12:13]
	v_pk_mul_f32 v[6:7], v[172:173], v[6:7] op_sel:[1,0] op_sel_hi:[0,0]
	v_dual_mov_b32 v3, v17 :: v_dual_mov_b32 v174, v175
	v_mov_b32_e32 v8, v178
	v_add_nc_u64_e32 v[116:117], s[58:59], v[116:117]
	s_delay_alu instid0(VALU_DEP_4) | instskip(NEXT) | instid1(VALU_DEP_4)
	v_pk_fma_f32 v[12:13], v[172:173], v[10:11], v[6:7] op_sel_hi:[1,0,1]
	v_pk_add_f32 v[0:1], v[0:1], v[2:3]
	v_pk_mul_f32 v[2:3], v[176:177], v[28:29]
	v_pk_fma_f32 v[6:7], v[172:173], v[10:11], v[6:7] neg_lo:[0,0,1] neg_hi:[0,0,1]
	s_delay_alu instid0(VALU_DEP_4) | instskip(SKIP_1) | instid1(VALU_DEP_4)
	v_dual_mov_b32 v9, v178 :: v_dual_mov_b32 v7, v13
	v_mov_b32_e32 v178, v179
	v_pk_fma_f32 v[10:11], v[4:5], v[28:29], v[2:3] op_sel:[0,0,1] op_sel_hi:[1,1,0]
	v_pk_fma_f32 v[2:3], v[4:5], v[28:29], v[2:3] op_sel:[0,0,1] op_sel_hi:[1,1,0] neg_lo:[0,0,1] neg_hi:[0,0,1]
	v_mov_b32_e32 v183, v182
	v_pk_add_f32 v[0:1], v[0:1], v[6:7]
	v_pk_mul_f32 v[6:7], v[174:175], v[30:31]
	v_dual_mov_b32 v3, v11 :: v_dual_mov_b32 v4, v186
	v_mov_b32_e32 v5, v186
	v_add_nc_u64_e32 v[118:119], s[58:59], v[118:119]
	s_delay_alu instid0(VALU_DEP_4) | instskip(NEXT) | instid1(VALU_DEP_4)
	v_pk_fma_f32 v[10:11], v[14:15], v[30:31], v[6:7] op_sel:[0,0,1] op_sel_hi:[1,1,0]
	v_pk_add_f32 v[0:1], v[0:1], v[2:3]
	v_pk_mul_f32 v[2:3], v[178:179], v[24:25]
	v_pk_fma_f32 v[6:7], v[14:15], v[30:31], v[6:7] op_sel:[0,0,1] op_sel_hi:[1,1,0] neg_lo:[0,0,1] neg_hi:[0,0,1]
	s_delay_alu instid0(VALU_DEP_4) | instskip(SKIP_1) | instid1(VALU_DEP_4)
	v_dual_mov_b32 v186, v187 :: v_dual_mov_b32 v7, v11
	v_dual_mov_b32 v10, v184 :: v_dual_mov_b32 v11, v184
	v_pk_fma_f32 v[12:13], v[8:9], v[24:25], v[2:3] op_sel:[0,0,1] op_sel_hi:[1,1,0]
	v_pk_fma_f32 v[2:3], v[8:9], v[24:25], v[2:3] op_sel:[0,0,1] op_sel_hi:[1,1,0] neg_lo:[0,0,1] neg_hi:[0,0,1]
	v_mov_b32_e32 v184, v185
	v_pk_add_f32 v[0:1], v[0:1], v[6:7]
	v_pk_mul_f32 v[6:7], v[182:183], v[26:27]
	v_dual_mov_b32 v3, v13 :: v_dual_mov_b32 v8, v188
	v_mov_b32_e32 v9, v188
	v_add_nc_u64_e32 v[120:121], s[58:59], v[120:121]
	s_delay_alu instid0(VALU_DEP_4) | instskip(NEXT) | instid1(VALU_DEP_4)
	v_pk_fma_f32 v[12:13], v[180:181], v[26:27], v[6:7] op_sel:[0,0,1] op_sel_hi:[1,1,0]
	v_pk_add_f32 v[0:1], v[0:1], v[2:3]
	v_pk_fma_f32 v[2:3], v[180:181], v[26:27], v[6:7] op_sel:[0,0,1] op_sel_hi:[1,1,0] neg_lo:[0,0,1] neg_hi:[0,0,1]
	v_pk_mul_f32 v[6:7], v[186:187], v[40:41]
	s_delay_alu instid0(VALU_DEP_4) | instskip(SKIP_2) | instid1(VALU_DEP_4)
	v_dual_mov_b32 v188, v189 :: v_dual_mov_b32 v3, v13
	v_pk_mul_f32 v[12:13], v[184:185], v[42:43]
	v_add_nc_u64_e32 v[122:123], s[58:59], v[122:123]
	v_pk_fma_f32 v[14:15], v[4:5], v[40:41], v[6:7] op_sel:[0,0,1] op_sel_hi:[1,1,0]
	v_pk_fma_f32 v[4:5], v[4:5], v[40:41], v[6:7] op_sel:[0,0,1] op_sel_hi:[1,1,0] neg_lo:[0,0,1] neg_hi:[0,0,1]
	v_pk_add_f32 v[0:1], v[0:1], v[2:3]
	v_pk_fma_f32 v[2:3], v[10:11], v[42:43], v[12:13] op_sel:[0,0,1] op_sel_hi:[1,1,0]
	v_pk_mul_f32 v[16:17], v[188:189], v[44:45]
	v_mov_b32_e32 v5, v15
	v_pk_fma_f32 v[6:7], v[10:11], v[42:43], v[12:13] op_sel:[0,0,1] op_sel_hi:[1,1,0] neg_lo:[0,0,1] neg_hi:[0,0,1]
	v_pk_mul_f32 v[10:11], v[192:193], v[46:47]
	v_mov_b32_e32 v7, v3
	v_pk_fma_f32 v[2:3], v[8:9], v[44:45], v[16:17] op_sel:[0,0,1] op_sel_hi:[1,1,0]
	v_pk_add_f32 v[0:1], v[0:1], v[4:5]
	v_pk_fma_f32 v[4:5], v[8:9], v[44:45], v[16:17] op_sel:[0,0,1] op_sel_hi:[1,1,0] neg_lo:[0,0,1] neg_hi:[0,0,1]
	v_add_nc_u64_e32 v[124:125], s[58:59], v[124:125]
	v_add_nc_u64_e32 v[126:127], s[58:59], v[126:127]
	v_mov_b32_e32 v5, v3
	v_pk_fma_f32 v[2:3], v[190:191], v[46:47], v[10:11] op_sel:[0,0,1] op_sel_hi:[1,1,0]
	v_pk_add_f32 v[0:1], v[0:1], v[6:7]
	v_pk_fma_f32 v[6:7], v[190:191], v[46:47], v[10:11] op_sel:[0,0,1] op_sel_hi:[1,1,0] neg_lo:[0,0,1] neg_hi:[0,0,1]
	v_add_nc_u64_e32 v[128:129], s[58:59], v[128:129]
	v_add_nc_u64_e32 v[130:131], s[58:59], v[130:131]
	v_mov_b32_e32 v7, v3
	v_pk_add_f32 v[0:1], v[0:1], v[4:5]
	v_add_nc_u64_e32 v[132:133], s[58:59], v[132:133]
	v_add_nc_u64_e32 v[134:135], s[58:59], v[134:135]
	;; [unrolled: 1-line block ×11, first 2 shown]
	v_pk_add_f32 v[112:113], v[0:1], v[6:7]
	v_add_nc_u32_e32 v235, 64, v235
	s_add_co_i32 s63, s72, 1
	s_add_co_i32 s72, s72, 2
	;; [unrolled: 1-line block ×3, first 2 shown]
	s_cmp_ge_u32 s72, s36
	s_wait_storecnt 0x0
	s_barrier_signal -1
	s_barrier_wait -1
	s_cbranch_scc1 .LBB6_157
; %bb.156:                              ;   in Loop: Header=BB6_105 Depth=2
	s_mov_b32 s72, s63
	s_delay_alu instid0(SALU_CYCLE_1)
	s_cmp_eq_u32 s39, s72
	s_cselect_b32 s73, s65, 0
	s_and_saveexec_b32 s74, s0
	s_cbranch_execnz .LBB6_101
	s_branch .LBB6_105
.LBB6_157:                              ;   in Loop: Header=BB6_4 Depth=1
	ds_store_b64 v209, v[112:113]
	s_wait_dscnt 0x0
	s_barrier_signal -1
	s_barrier_wait -1
	s_and_saveexec_b32 s62, s69
	s_cbranch_execz .LBB6_2
; %bb.158:                              ;   in Loop: Header=BB6_4 Depth=1
	ds_load_2addr_b64 v[0:3], v195 offset1:67
	ds_load_2addr_b64 v[4:7], v195 offset0:134 offset1:201
	s_wait_dscnt 0x1
	v_pk_add_f32 v[0:1], v[2:3], v[0:1]
	v_lshl_add_u64 v[2:3], v[58:59], 3, s[60:61]
	s_wait_dscnt 0x0
	s_delay_alu instid0(VALU_DEP_2) | instskip(NEXT) | instid1(VALU_DEP_1)
	v_pk_add_f32 v[0:1], v[4:5], v[0:1]
	v_pk_add_f32 v[0:1], v[0:1], v[6:7]
	global_store_b64 v[2:3], v[0:1], off
	s_branch .LBB6_2
.LBB6_159:                              ;   in Loop: Header=BB6_4 Depth=1
	ds_load_b64 v[4:5], v213
	s_mov_b32 s60, exec_lo
	s_wait_dscnt 0x0
	v_xor_b32_e32 v2, 0x80000000, v5
	ds_store_b32 v216, v4
	s_or_saveexec_b32 s61, s61
	v_mov_b32_e32 v3, v216
	s_xor_b32 exec_lo, exec_lo, s61
	s_cbranch_execz .LBB6_31
.LBB6_160:                              ;   in Loop: Header=BB6_4 Depth=1
	v_dual_mov_b32 v2, 0 :: v_dual_mov_b32 v3, v215
	s_and_not1_b32 s60, s60, exec_lo
	s_and_b32 s62, s9, exec_lo
	s_delay_alu instid0(SALU_CYCLE_1)
	s_or_b32 s60, s60, s62
	s_or_b32 exec_lo, exec_lo, s61
	s_and_saveexec_b32 s61, s60
	s_cbranch_execnz .LBB6_32
	s_branch .LBB6_33
.LBB6_161:                              ;   in Loop: Header=BB6_4 Depth=1
	ds_load_b64 v[4:5], v213
	s_mov_b32 s60, exec_lo
	s_wait_dscnt 0x0
	v_xor_b32_e32 v2, 0x80000000, v5
	ds_store_b32 v216, v4
	s_or_saveexec_b32 s61, s61
	v_mov_b32_e32 v3, v216
	s_xor_b32 exec_lo, exec_lo, s61
	s_cbranch_execz .LBB6_67
.LBB6_162:                              ;   in Loop: Header=BB6_4 Depth=1
	v_dual_mov_b32 v2, 0 :: v_dual_mov_b32 v3, v215
	s_and_not1_b32 s60, s60, exec_lo
	s_and_b32 s62, s9, exec_lo
	s_delay_alu instid0(SALU_CYCLE_1)
	s_or_b32 s60, s60, s62
	s_or_b32 exec_lo, exec_lo, s61
	s_and_saveexec_b32 s61, s60
	s_cbranch_execnz .LBB6_68
	s_branch .LBB6_69
.LBB6_163:
	s_sendmsg sendmsg(MSG_DEALLOC_VGPRS)
	s_endpgm
	.section	.rodata,"a",@progbits
	.p2align	6, 0x0
	.amdhsa_kernel _ZL26rocblas_hemvn_kernel_upperILb1ELi64ELi4ELi33ELi32ELi16Ei19rocblas_complex_numIfEPKS1_PS1_EviT6_lT7_lT5_lS6_lS7_lS5_lT8_i
		.amdhsa_group_segment_fixed_size 9600
		.amdhsa_private_segment_fixed_size 0
		.amdhsa_kernarg_size 376
		.amdhsa_user_sgpr_count 2
		.amdhsa_user_sgpr_dispatch_ptr 0
		.amdhsa_user_sgpr_queue_ptr 0
		.amdhsa_user_sgpr_kernarg_segment_ptr 1
		.amdhsa_user_sgpr_dispatch_id 0
		.amdhsa_user_sgpr_kernarg_preload_length 0
		.amdhsa_user_sgpr_kernarg_preload_offset 0
		.amdhsa_user_sgpr_private_segment_size 0
		.amdhsa_wavefront_size32 1
		.amdhsa_uses_dynamic_stack 0
		.amdhsa_enable_private_segment 0
		.amdhsa_system_sgpr_workgroup_id_x 1
		.amdhsa_system_sgpr_workgroup_id_y 0
		.amdhsa_system_sgpr_workgroup_id_z 1
		.amdhsa_system_sgpr_workgroup_info 0
		.amdhsa_system_vgpr_workitem_id 1
		.amdhsa_next_free_vgpr 250
		.amdhsa_next_free_sgpr 80
		.amdhsa_named_barrier_count 0
		.amdhsa_reserve_vcc 1
		.amdhsa_float_round_mode_32 0
		.amdhsa_float_round_mode_16_64 0
		.amdhsa_float_denorm_mode_32 3
		.amdhsa_float_denorm_mode_16_64 3
		.amdhsa_fp16_overflow 0
		.amdhsa_memory_ordered 1
		.amdhsa_forward_progress 1
		.amdhsa_inst_pref_size 73
		.amdhsa_round_robin_scheduling 0
		.amdhsa_exception_fp_ieee_invalid_op 0
		.amdhsa_exception_fp_denorm_src 0
		.amdhsa_exception_fp_ieee_div_zero 0
		.amdhsa_exception_fp_ieee_overflow 0
		.amdhsa_exception_fp_ieee_underflow 0
		.amdhsa_exception_fp_ieee_inexact 0
		.amdhsa_exception_int_div_zero 0
	.end_amdhsa_kernel
	.section	.text._ZL26rocblas_hemvn_kernel_upperILb1ELi64ELi4ELi33ELi32ELi16Ei19rocblas_complex_numIfEPKS1_PS1_EviT6_lT7_lT5_lS6_lS7_lS5_lT8_i,"axG",@progbits,_ZL26rocblas_hemvn_kernel_upperILb1ELi64ELi4ELi33ELi32ELi16Ei19rocblas_complex_numIfEPKS1_PS1_EviT6_lT7_lT5_lS6_lS7_lS5_lT8_i,comdat
.Lfunc_end6:
	.size	_ZL26rocblas_hemvn_kernel_upperILb1ELi64ELi4ELi33ELi32ELi16Ei19rocblas_complex_numIfEPKS1_PS1_EviT6_lT7_lT5_lS6_lS7_lS5_lT8_i, .Lfunc_end6-_ZL26rocblas_hemvn_kernel_upperILb1ELi64ELi4ELi33ELi32ELi16Ei19rocblas_complex_numIfEPKS1_PS1_EviT6_lT7_lT5_lS6_lS7_lS5_lT8_i
                                        ; -- End function
	.set _ZL26rocblas_hemvn_kernel_upperILb1ELi64ELi4ELi33ELi32ELi16Ei19rocblas_complex_numIfEPKS1_PS1_EviT6_lT7_lT5_lS6_lS7_lS5_lT8_i.num_vgpr, 250
	.set _ZL26rocblas_hemvn_kernel_upperILb1ELi64ELi4ELi33ELi32ELi16Ei19rocblas_complex_numIfEPKS1_PS1_EviT6_lT7_lT5_lS6_lS7_lS5_lT8_i.num_agpr, 0
	.set _ZL26rocblas_hemvn_kernel_upperILb1ELi64ELi4ELi33ELi32ELi16Ei19rocblas_complex_numIfEPKS1_PS1_EviT6_lT7_lT5_lS6_lS7_lS5_lT8_i.numbered_sgpr, 80
	.set _ZL26rocblas_hemvn_kernel_upperILb1ELi64ELi4ELi33ELi32ELi16Ei19rocblas_complex_numIfEPKS1_PS1_EviT6_lT7_lT5_lS6_lS7_lS5_lT8_i.num_named_barrier, 0
	.set _ZL26rocblas_hemvn_kernel_upperILb1ELi64ELi4ELi33ELi32ELi16Ei19rocblas_complex_numIfEPKS1_PS1_EviT6_lT7_lT5_lS6_lS7_lS5_lT8_i.private_seg_size, 0
	.set _ZL26rocblas_hemvn_kernel_upperILb1ELi64ELi4ELi33ELi32ELi16Ei19rocblas_complex_numIfEPKS1_PS1_EviT6_lT7_lT5_lS6_lS7_lS5_lT8_i.uses_vcc, 1
	.set _ZL26rocblas_hemvn_kernel_upperILb1ELi64ELi4ELi33ELi32ELi16Ei19rocblas_complex_numIfEPKS1_PS1_EviT6_lT7_lT5_lS6_lS7_lS5_lT8_i.uses_flat_scratch, 0
	.set _ZL26rocblas_hemvn_kernel_upperILb1ELi64ELi4ELi33ELi32ELi16Ei19rocblas_complex_numIfEPKS1_PS1_EviT6_lT7_lT5_lS6_lS7_lS5_lT8_i.has_dyn_sized_stack, 0
	.set _ZL26rocblas_hemvn_kernel_upperILb1ELi64ELi4ELi33ELi32ELi16Ei19rocblas_complex_numIfEPKS1_PS1_EviT6_lT7_lT5_lS6_lS7_lS5_lT8_i.has_recursion, 0
	.set _ZL26rocblas_hemvn_kernel_upperILb1ELi64ELi4ELi33ELi32ELi16Ei19rocblas_complex_numIfEPKS1_PS1_EviT6_lT7_lT5_lS6_lS7_lS5_lT8_i.has_indirect_call, 0
	.section	.AMDGPU.csdata,"",@progbits
; Kernel info:
; codeLenInByte = 9232
; TotalNumSgprs: 82
; NumVgprs: 250
; ScratchSize: 0
; MemoryBound: 1
; FloatMode: 240
; IeeeMode: 1
; LDSByteSize: 9600 bytes/workgroup (compile time only)
; SGPRBlocks: 0
; VGPRBlocks: 15
; NumSGPRsForWavesPerEU: 82
; NumVGPRsForWavesPerEU: 250
; NamedBarCnt: 0
; Occupancy: 4
; WaveLimiterHint : 1
; COMPUTE_PGM_RSRC2:SCRATCH_EN: 0
; COMPUTE_PGM_RSRC2:USER_SGPR: 2
; COMPUTE_PGM_RSRC2:TRAP_HANDLER: 0
; COMPUTE_PGM_RSRC2:TGID_X_EN: 1
; COMPUTE_PGM_RSRC2:TGID_Y_EN: 0
; COMPUTE_PGM_RSRC2:TGID_Z_EN: 1
; COMPUTE_PGM_RSRC2:TIDIG_COMP_CNT: 1
	.section	.text._ZL36rocblas_hemvn_kernel_upper_block_sumILi64Ei19rocblas_complex_numIfEPS1_S1_EviT1_lS3_lT2_lT0_lPT3_i,"axG",@progbits,_ZL36rocblas_hemvn_kernel_upper_block_sumILi64Ei19rocblas_complex_numIfEPS1_S1_EviT1_lS3_lT2_lT0_lPT3_i,comdat
	.globl	_ZL36rocblas_hemvn_kernel_upper_block_sumILi64Ei19rocblas_complex_numIfEPS1_S1_EviT1_lS3_lT2_lT0_lPT3_i ; -- Begin function _ZL36rocblas_hemvn_kernel_upper_block_sumILi64Ei19rocblas_complex_numIfEPS1_S1_EviT1_lS3_lT2_lT0_lPT3_i
	.p2align	8
	.type	_ZL36rocblas_hemvn_kernel_upper_block_sumILi64Ei19rocblas_complex_numIfEPS1_S1_EviT1_lS3_lT2_lT0_lPT3_i,@function
_ZL36rocblas_hemvn_kernel_upper_block_sumILi64Ei19rocblas_complex_numIfEPS1_S1_EviT1_lS3_lT2_lT0_lPT3_i: ; @_ZL36rocblas_hemvn_kernel_upper_block_sumILi64Ei19rocblas_complex_numIfEPS1_S1_EviT1_lS3_lT2_lT0_lPT3_i
; %bb.0:
	s_load_b32 s22, s[0:1], 0x50
	s_bfe_u32 s2, ttmp6, 0x40014
	s_lshr_b32 s3, ttmp7, 16
	s_add_co_i32 s2, s2, 1
	s_bfe_u32 s4, ttmp6, 0x40008
	s_mul_i32 s2, s3, s2
	s_getreg_b32 s18, hwreg(HW_REG_IB_STS2, 6, 4)
	s_add_co_i32 s4, s4, s2
	s_cmp_eq_u32 s18, 0
	s_cselect_b32 s2, s3, s4
	s_mov_b32 s3, 0
	s_wait_kmcnt 0x0
	s_cmp_ge_u32 s2, s22
	s_cbranch_scc1 .LBB7_21
; %bb.1:
	s_clause 0x3
	s_load_b64 s[12:13], s[0:1], 0x4
	s_load_b128 s[8:11], s[0:1], 0x28
	s_load_b64 s[14:15], s[0:1], 0x18
	s_load_b32 s19, s[0:1], 0x38
	s_wait_kmcnt 0x0
	s_or_b32 s4, s12, s13
	s_lshl_b64 s[20:21], s[10:11], 3
	s_bitset0_b32 s4, 31
	s_add_nc_u64 s[10:11], s[0:1], 0x58
	s_cmp_eq_u32 s4, 0
	s_mov_b32 s16, s13
	s_cselect_b32 s23, -1, 0
	s_cmp_lg_u32 s4, 0
	s_clause 0x1
	s_load_b128 s[4:7], s[0:1], 0x40
	s_load_b32 s28, s[0:1], 0x0
	s_cselect_b32 s25, -1, 0
	s_cmp_neq_f32 s14, 1.0
	s_mov_b32 s17, s12
	s_add_nc_u64 s[8:9], s[8:9], s[20:21]
	s_cselect_b32 s26, -1, 0
	s_cmp_neq_f32 s15, 0
	s_cselect_b32 s27, -1, 0
	s_wait_xcnt 0x0
	s_bfe_u32 s0, ttmp6, 0x4000c
	s_and_b32 s1, ttmp6, 15
	s_add_co_i32 s0, s0, 1
	s_delay_alu instid0(SALU_CYCLE_1) | instskip(NEXT) | instid1(SALU_CYCLE_1)
	s_mul_i32 s0, ttmp9, s0
	s_add_co_i32 s1, s1, s0
	s_cmp_eq_u32 s18, 0
	s_mov_b32 s18, s15
	s_cselect_b32 s30, ttmp9, s1
	s_cmp_neq_f32 s14, 0
	v_lshl_or_b32 v2, s30, 6, v0
	s_cselect_b32 s0, -1, 0
	s_wait_kmcnt 0x0
	s_ashr_i32 s29, s28, 31
	s_delay_alu instid0(VALU_DEP_1) | instskip(SKIP_2) | instid1(SALU_CYCLE_1)
	v_mul_lo_u32 v0, s19, v2
	v_ashrrev_i32_e32 v3, 31, v2
	s_or_b32 s0, s0, s27
	s_xor_b32 s1, s0, -1
	s_cmp_gt_i32 s30, -1
	v_cndmask_b32_e64 v10, 0, 1, s0
	v_cmp_gt_i32_e64 s0, s28, v2
	s_cselect_b32 s24, -1, 0
	s_or_b32 s19, s26, s27
	s_add_co_i32 s26, s30, 1
	v_ashrrev_i32_e32 v1, 31, v0
	v_lshl_add_u64 v[2:3], v[2:3], 3, s[6:7]
	s_or_b32 s25, s19, s25
	s_mov_b32 s19, s14
	s_lshl_b64 s[6:7], s[28:29], 3
	s_branch .LBB7_5
.LBB7_2:                                ;   in Loop: Header=BB7_5 Depth=1
	global_store_b64 v[6:7], v[8:9], off
.LBB7_3:                                ;   in Loop: Header=BB7_5 Depth=1
	s_wait_xcnt 0x0
	s_or_b32 exec_lo, exec_lo, s27
.LBB7_4:                                ;   in Loop: Header=BB7_5 Depth=1
	s_add_co_i32 s2, s2, 0x10000
	s_delay_alu instid0(SALU_CYCLE_1)
	s_cmp_lt_u32 s2, s22
	s_cbranch_scc0 .LBB7_21
.LBB7_5:                                ; =>This Loop Header: Depth=1
                                        ;     Child Loop BB7_16 Depth 2
	s_and_not1_b32 vcc_lo, exec_lo, s25
	s_cbranch_vccnz .LBB7_4
; %bb.6:                                ;   in Loop: Header=BB7_5 Depth=1
	s_mul_u64 s[20:21], s[4:5], s[2:3]
	s_and_not1_b32 vcc_lo, exec_lo, s23
	s_lshl_b64 s[20:21], s[20:21], 3
	s_mov_b32 s27, -1
	s_add_nc_u64 s[20:21], s[8:9], s[20:21]
	s_cbranch_vccnz .LBB7_12
; %bb.7:                                ;   in Loop: Header=BB7_5 Depth=1
	s_and_saveexec_b32 s27, s0
	s_cbranch_execz .LBB7_11
; %bb.8:                                ;   in Loop: Header=BB7_5 Depth=1
	v_cmp_ne_u32_e32 vcc_lo, 1, v10
	v_dual_mov_b32 v4, 0 :: v_dual_mov_b32 v5, 0
	s_cbranch_vccnz .LBB7_10
; %bb.9:                                ;   in Loop: Header=BB7_5 Depth=1
	v_lshl_add_u64 v[4:5], v[0:1], 3, s[20:21]
	v_mov_b64_e32 v[6:7], s[18:19]
	v_mov_b64_e32 v[8:9], s[14:15]
	global_load_b64 v[4:5], v[4:5], off
	s_wait_loadcnt 0x0
	v_pk_mul_f32 v[6:7], v[4:5], v[6:7] op_sel:[1,0]
	s_delay_alu instid0(VALU_DEP_1) | instskip(SKIP_2) | instid1(VALU_DEP_2)
	v_pk_fma_f32 v[12:13], v[4:5], v[8:9], v[6:7] op_sel_hi:[0,1,1]
	s_wait_xcnt 0x0
	v_pk_fma_f32 v[4:5], v[4:5], v[8:9], v[6:7] neg_lo:[0,0,1] neg_hi:[0,0,1]
	v_mov_b32_e32 v5, v13
.LBB7_10:                               ;   in Loop: Header=BB7_5 Depth=1
	v_lshl_add_u64 v[6:7], v[0:1], 3, s[20:21]
	global_store_b64 v[6:7], v[4:5], off
.LBB7_11:                               ;   in Loop: Header=BB7_5 Depth=1
	s_wait_xcnt 0x0
	s_or_b32 exec_lo, exec_lo, s27
	s_mov_b32 s27, 0
.LBB7_12:                               ;   in Loop: Header=BB7_5 Depth=1
	s_delay_alu instid0(SALU_CYCLE_1)
	s_and_not1_b32 vcc_lo, exec_lo, s27
	s_cbranch_vccnz .LBB7_4
; %bb.13:                               ;   in Loop: Header=BB7_5 Depth=1
	s_and_saveexec_b32 s27, s0
	s_cbranch_execz .LBB7_3
; %bb.14:                               ;   in Loop: Header=BB7_5 Depth=1
	v_mov_b32_e32 v5, 0
	s_and_not1_b32 vcc_lo, exec_lo, s24
	s_delay_alu instid0(VALU_DEP_1)
	v_mov_b32_e32 v4, v5
	s_cbranch_vccnz .LBB7_17
; %bb.15:                               ;   in Loop: Header=BB7_5 Depth=1
	s_load_b32 s28, s[10:11], 0x0
	s_mov_b32 s29, s3
	v_mov_b32_e32 v4, 0
	s_delay_alu instid0(VALU_DEP_1) | instskip(SKIP_2) | instid1(SALU_CYCLE_1)
	v_mov_b32_e32 v5, v4
	s_wait_kmcnt 0x0
	s_mul_u64 s[28:29], s[6:7], s[28:29]
	v_mad_nc_u64_u32 v[6:7], s28, s2, v[2:3]
	s_mov_b32 s28, s26
	s_delay_alu instid0(VALU_DEP_1)
	v_mad_u32 v7, s29, s2, v7
.LBB7_16:                               ;   Parent Loop BB7_5 Depth=1
                                        ; =>  This Inner Loop Header: Depth=2
	global_load_b64 v[8:9], v[6:7], off
	s_wait_xcnt 0x0
	v_add_nc_u64_e32 v[6:7], s[6:7], v[6:7]
	s_add_co_i32 s28, s28, -1
	s_delay_alu instid0(SALU_CYCLE_1)
	s_cmp_eq_u32 s28, 0
	s_wait_loadcnt 0x0
	v_pk_add_f32 v[4:5], v[4:5], v[8:9]
	s_cbranch_scc0 .LBB7_16
.LBB7_17:                               ;   in Loop: Header=BB7_5 Depth=1
	s_and_b32 vcc_lo, exec_lo, s1
	s_mov_b32 s28, -1
                                        ; implicit-def: $vgpr9
	s_cbranch_vccz .LBB7_19
; %bb.18:                               ;   in Loop: Header=BB7_5 Depth=1
	v_mov_b64_e32 v[6:7], s[16:17]
	v_mov_b64_e32 v[8:9], s[12:13]
	s_mov_b32 s28, 0
	s_delay_alu instid0(VALU_DEP_2) | instskip(NEXT) | instid1(VALU_DEP_2)
	v_pk_mul_f32 v[6:7], v[4:5], v[6:7] op_sel:[1,0]
	v_pk_mul_f32 v[12:13], v[4:5], v[8:9] op_sel_hi:[0,1]
	s_delay_alu instid0(VALU_DEP_2) | instskip(NEXT) | instid1(VALU_DEP_2)
	v_pk_fma_f32 v[8:9], v[4:5], v[8:9], v[6:7] op_sel_hi:[0,1,1]
	v_sub_f32_e32 v8, v12, v6
.LBB7_19:                               ;   in Loop: Header=BB7_5 Depth=1
	v_lshl_add_u64 v[6:7], v[0:1], 3, s[20:21]
	s_and_not1_b32 vcc_lo, exec_lo, s28
	s_cbranch_vccnz .LBB7_2
; %bb.20:                               ;   in Loop: Header=BB7_5 Depth=1
	global_load_b64 v[8:9], v[6:7], off
	v_mov_b64_e32 v[12:13], s[18:19]
	v_mov_b64_e32 v[14:15], s[16:17]
	;; [unrolled: 1-line block ×4, first 2 shown]
	s_delay_alu instid0(VALU_DEP_3) | instskip(NEXT) | instid1(VALU_DEP_1)
	v_pk_mul_f32 v[14:15], v[4:5], v[14:15] op_sel:[1,0]
	v_pk_fma_f32 v[22:23], v[4:5], v[18:19], v[14:15] op_sel_hi:[0,1,1]
	v_pk_fma_f32 v[4:5], v[4:5], v[18:19], v[14:15] neg_lo:[0,0,1] neg_hi:[0,0,1]
	s_delay_alu instid0(VALU_DEP_2) | instskip(SKIP_2) | instid1(VALU_DEP_1)
	v_mov_b32_e32 v5, v23
	s_wait_loadcnt 0x0
	v_pk_mul_f32 v[12:13], v[8:9], v[12:13] op_sel:[1,0]
	v_pk_fma_f32 v[20:21], v[8:9], v[16:17], v[12:13] op_sel_hi:[0,1,1]
	v_pk_fma_f32 v[8:9], v[8:9], v[16:17], v[12:13] neg_lo:[0,0,1] neg_hi:[0,0,1]
	s_delay_alu instid0(VALU_DEP_2) | instskip(NEXT) | instid1(VALU_DEP_1)
	v_mov_b32_e32 v9, v21
	v_pk_add_f32 v[8:9], v[4:5], v[8:9]
	s_branch .LBB7_2
.LBB7_21:
	s_endpgm
	.section	.rodata,"a",@progbits
	.p2align	6, 0x0
	.amdhsa_kernel _ZL36rocblas_hemvn_kernel_upper_block_sumILi64Ei19rocblas_complex_numIfEPS1_S1_EviT1_lS3_lT2_lT0_lPT3_i
		.amdhsa_group_segment_fixed_size 0
		.amdhsa_private_segment_fixed_size 0
		.amdhsa_kernarg_size 344
		.amdhsa_user_sgpr_count 2
		.amdhsa_user_sgpr_dispatch_ptr 0
		.amdhsa_user_sgpr_queue_ptr 0
		.amdhsa_user_sgpr_kernarg_segment_ptr 1
		.amdhsa_user_sgpr_dispatch_id 0
		.amdhsa_user_sgpr_kernarg_preload_length 0
		.amdhsa_user_sgpr_kernarg_preload_offset 0
		.amdhsa_user_sgpr_private_segment_size 0
		.amdhsa_wavefront_size32 1
		.amdhsa_uses_dynamic_stack 0
		.amdhsa_enable_private_segment 0
		.amdhsa_system_sgpr_workgroup_id_x 1
		.amdhsa_system_sgpr_workgroup_id_y 0
		.amdhsa_system_sgpr_workgroup_id_z 1
		.amdhsa_system_sgpr_workgroup_info 0
		.amdhsa_system_vgpr_workitem_id 0
		.amdhsa_next_free_vgpr 24
		.amdhsa_next_free_sgpr 31
		.amdhsa_named_barrier_count 0
		.amdhsa_reserve_vcc 1
		.amdhsa_float_round_mode_32 0
		.amdhsa_float_round_mode_16_64 0
		.amdhsa_float_denorm_mode_32 3
		.amdhsa_float_denorm_mode_16_64 3
		.amdhsa_fp16_overflow 0
		.amdhsa_memory_ordered 1
		.amdhsa_forward_progress 1
		.amdhsa_inst_pref_size 7
		.amdhsa_round_robin_scheduling 0
		.amdhsa_exception_fp_ieee_invalid_op 0
		.amdhsa_exception_fp_denorm_src 0
		.amdhsa_exception_fp_ieee_div_zero 0
		.amdhsa_exception_fp_ieee_overflow 0
		.amdhsa_exception_fp_ieee_underflow 0
		.amdhsa_exception_fp_ieee_inexact 0
		.amdhsa_exception_int_div_zero 0
	.end_amdhsa_kernel
	.section	.text._ZL36rocblas_hemvn_kernel_upper_block_sumILi64Ei19rocblas_complex_numIfEPS1_S1_EviT1_lS3_lT2_lT0_lPT3_i,"axG",@progbits,_ZL36rocblas_hemvn_kernel_upper_block_sumILi64Ei19rocblas_complex_numIfEPS1_S1_EviT1_lS3_lT2_lT0_lPT3_i,comdat
.Lfunc_end7:
	.size	_ZL36rocblas_hemvn_kernel_upper_block_sumILi64Ei19rocblas_complex_numIfEPS1_S1_EviT1_lS3_lT2_lT0_lPT3_i, .Lfunc_end7-_ZL36rocblas_hemvn_kernel_upper_block_sumILi64Ei19rocblas_complex_numIfEPS1_S1_EviT1_lS3_lT2_lT0_lPT3_i
                                        ; -- End function
	.set _ZL36rocblas_hemvn_kernel_upper_block_sumILi64Ei19rocblas_complex_numIfEPS1_S1_EviT1_lS3_lT2_lT0_lPT3_i.num_vgpr, 24
	.set _ZL36rocblas_hemvn_kernel_upper_block_sumILi64Ei19rocblas_complex_numIfEPS1_S1_EviT1_lS3_lT2_lT0_lPT3_i.num_agpr, 0
	.set _ZL36rocblas_hemvn_kernel_upper_block_sumILi64Ei19rocblas_complex_numIfEPS1_S1_EviT1_lS3_lT2_lT0_lPT3_i.numbered_sgpr, 31
	.set _ZL36rocblas_hemvn_kernel_upper_block_sumILi64Ei19rocblas_complex_numIfEPS1_S1_EviT1_lS3_lT2_lT0_lPT3_i.num_named_barrier, 0
	.set _ZL36rocblas_hemvn_kernel_upper_block_sumILi64Ei19rocblas_complex_numIfEPS1_S1_EviT1_lS3_lT2_lT0_lPT3_i.private_seg_size, 0
	.set _ZL36rocblas_hemvn_kernel_upper_block_sumILi64Ei19rocblas_complex_numIfEPS1_S1_EviT1_lS3_lT2_lT0_lPT3_i.uses_vcc, 1
	.set _ZL36rocblas_hemvn_kernel_upper_block_sumILi64Ei19rocblas_complex_numIfEPS1_S1_EviT1_lS3_lT2_lT0_lPT3_i.uses_flat_scratch, 0
	.set _ZL36rocblas_hemvn_kernel_upper_block_sumILi64Ei19rocblas_complex_numIfEPS1_S1_EviT1_lS3_lT2_lT0_lPT3_i.has_dyn_sized_stack, 0
	.set _ZL36rocblas_hemvn_kernel_upper_block_sumILi64Ei19rocblas_complex_numIfEPS1_S1_EviT1_lS3_lT2_lT0_lPT3_i.has_recursion, 0
	.set _ZL36rocblas_hemvn_kernel_upper_block_sumILi64Ei19rocblas_complex_numIfEPS1_S1_EviT1_lS3_lT2_lT0_lPT3_i.has_indirect_call, 0
	.section	.AMDGPU.csdata,"",@progbits
; Kernel info:
; codeLenInByte = 876
; TotalNumSgprs: 33
; NumVgprs: 24
; ScratchSize: 0
; MemoryBound: 0
; FloatMode: 240
; IeeeMode: 1
; LDSByteSize: 0 bytes/workgroup (compile time only)
; SGPRBlocks: 0
; VGPRBlocks: 1
; NumSGPRsForWavesPerEU: 33
; NumVGPRsForWavesPerEU: 24
; NamedBarCnt: 0
; Occupancy: 16
; WaveLimiterHint : 0
; COMPUTE_PGM_RSRC2:SCRATCH_EN: 0
; COMPUTE_PGM_RSRC2:USER_SGPR: 2
; COMPUTE_PGM_RSRC2:TRAP_HANDLER: 0
; COMPUTE_PGM_RSRC2:TGID_X_EN: 1
; COMPUTE_PGM_RSRC2:TGID_Y_EN: 0
; COMPUTE_PGM_RSRC2:TGID_Z_EN: 1
; COMPUTE_PGM_RSRC2:TIDIG_COMP_CNT: 0
	.section	.text._ZL26rocblas_hemvn_kernel_lowerILb1ELi64ELi4ELi33ELi32ELi16ElPK19rocblas_complex_numIfES3_PS1_EviT6_lT7_lT5_lS6_lS7_lS5_lT8_i,"axG",@progbits,_ZL26rocblas_hemvn_kernel_lowerILb1ELi64ELi4ELi33ELi32ELi16ElPK19rocblas_complex_numIfES3_PS1_EviT6_lT7_lT5_lS6_lS7_lS5_lT8_i,comdat
	.globl	_ZL26rocblas_hemvn_kernel_lowerILb1ELi64ELi4ELi33ELi32ELi16ElPK19rocblas_complex_numIfES3_PS1_EviT6_lT7_lT5_lS6_lS7_lS5_lT8_i ; -- Begin function _ZL26rocblas_hemvn_kernel_lowerILb1ELi64ELi4ELi33ELi32ELi16ElPK19rocblas_complex_numIfES3_PS1_EviT6_lT7_lT5_lS6_lS7_lS5_lT8_i
	.p2align	8
	.type	_ZL26rocblas_hemvn_kernel_lowerILb1ELi64ELi4ELi33ELi32ELi16ElPK19rocblas_complex_numIfES3_PS1_EviT6_lT7_lT5_lS6_lS7_lS5_lT8_i,@function
_ZL26rocblas_hemvn_kernel_lowerILb1ELi64ELi4ELi33ELi32ELi16ElPK19rocblas_complex_numIfES3_PS1_EviT6_lT7_lT5_lS6_lS7_lS5_lT8_i: ; @_ZL26rocblas_hemvn_kernel_lowerILb1ELi64ELi4ELi33ELi32ELi16ElPK19rocblas_complex_numIfES3_PS1_EviT6_lT7_lT5_lS6_lS7_lS5_lT8_i
; %bb.0:
	s_clause 0x1
	s_load_b64 s[2:3], s[0:1], 0x84
	s_load_b32 s33, s[0:1], 0x70
	s_bfe_u32 s4, ttmp6, 0x40014
	s_lshr_b32 s5, ttmp7, 16
	s_add_co_i32 s4, s4, 1
	s_bfe_u32 s7, ttmp6, 0x40008
	s_mul_i32 s4, s5, s4
	s_getreg_b32 s6, hwreg(HW_REG_IB_STS2, 6, 4)
	s_add_co_i32 s7, s7, s4
	s_mov_b32 s25, 0
	s_wait_kmcnt 0x0
	s_lshr_b32 s4, s2, 16
	s_and_b32 s2, s2, 0xffff
	s_and_b32 s3, s3, 0xffff
	s_mul_i32 s2, s4, s2
	s_cmp_eq_u32 s6, 0
	s_mul_i32 s2, s2, s3
	s_cselect_b32 s26, s5, s7
	s_cmp_lg_u32 s2, 0x100
	s_cselect_b32 s2, -1, 0
	s_cmp_ge_u32 s26, s33
	s_cselect_b32 s3, -1, 0
	s_delay_alu instid0(SALU_CYCLE_1) | instskip(NEXT) | instid1(SALU_CYCLE_1)
	s_or_b32 s2, s2, s3
	s_and_b32 vcc_lo, exec_lo, s2
	s_cbranch_vccnz .LBB8_114
; %bb.1:
	s_load_b32 s2, s[0:1], 0x0
	s_add_nc_u64 s[8:9], s[0:1], 0x78
	s_clause 0x2
	s_load_b512 s[36:51], s[0:1], 0x8
	s_load_b64 s[4:5], s[0:1], 0x68
	s_load_b256 s[52:59], s[0:1], 0x48
	s_wait_xcnt 0x0
	s_bfe_u32 s0, ttmp6, 0x4000c
	s_and_b32 s1, ttmp6, 15
	s_add_co_i32 s0, s0, 1
	v_and_b32_e32 v32, 0x3ff, v0
	s_mul_i32 s3, ttmp9, s0
	v_bfe_u32 v1, v0, 10, 10
	s_add_co_i32 s1, s1, s3
	s_load_b32 s24, s[8:9], 0x0
	v_dual_mov_b32 v35, 0 :: v_dual_bitop2_b32 v34, 31, v0 bitop3:0x40
	s_delay_alu instid0(VALU_DEP_2) | instskip(SKIP_2) | instid1(VALU_DEP_4)
	v_lshl_add_u32 v8, v1, 6, v32
	v_lshlrev_b32_e32 v33, 3, v32
	v_cmp_eq_u32_e64 s0, 0, v1
	v_lshlrev_b32_e32 v9, 3, v34
	v_mul_u32_u24_e32 v16, 33, v34
	v_sub_nc_u64_e32 v[36:37], 0, v[34:35]
	v_add_nc_u32_e32 v86, 0x2380, v33
	s_wait_kmcnt 0x0
	s_ashr_i32 s3, s2, 31
	s_cmp_eq_u32 s6, 0
	v_lshlrev_b32_e32 v91, 3, v16
	s_cselect_b32 s102, ttmp9, s1
	s_lshr_b32 s1, s3, 26
	s_lshl_b32 s22, s102, 6
	s_add_co_i32 s1, s2, s1
	v_add_nc_u32_e32 v38, s22, v32
	v_lshrrev_b32_e32 v10, 5, v8
	s_and_not1_b32 s1, s1, 63
	s_mul_u64 s[30:31], s[24:25], s[2:3]
	s_add_co_i32 s3, s24, -1
	v_ashrrev_i32_e32 v39, 31, v38
	v_add_nc_u32_e32 v12, 8, v10
	v_mad_nc_u64_u32 v[2:3], s44, v10, v[34:35]
	s_lshl_b64 s[6:7], s[50:51], 3
	s_lshl_b64 s[8:9], s[42:43], 3
	v_mul_u64_e32 v[4:5], s[52:53], v[38:39]
	s_sub_co_i32 s1, s2, s1
	s_cmp_eq_u32 s102, s3
	s_add_nc_u64 s[8:9], s[40:41], s[8:9]
	s_cselect_b32 s34, s1, 0
	s_add_nc_u64 s[6:7], s[48:49], s[6:7]
	s_cmp_eq_u32 s34, 0
	s_mul_i32 s10, s2, s102
	v_mad_u32 v3, s45, v10, v3
	s_cselect_b32 s103, -1, 0
	s_cmp_lg_u32 s34, 0
	v_mul_u32_u24_e32 v11, 0x108, v10
	s_cselect_b32 s3, -1, 0
	s_ashr_i32 s23, s22, 31
	s_ashr_i32 s11, s10, 31
	s_lshl_b64 s[12:13], s[22:23], 3
	s_mul_u64 s[64:65], s[44:45], s[22:23]
	s_add_nc_u64 s[8:9], s[8:9], s[12:13]
	s_sub_co_i32 s20, s34, 32
	v_lshl_add_u64 v[6:7], v[2:3], 3, s[8:9]
	s_lshl_b64 s[8:9], s[10:11], 3
	v_dual_add_nc_u32 v13, 16, v10 :: v_dual_add_nc_u32 v14, 24, v10
	s_add_nc_u64 s[48:49], s[4:5], s[8:9]
	s_delay_alu instid0(VALU_DEP_2)
	v_lshl_add_u64 v[40:41], s[64:65], 3, v[6:7]
	v_and_b32_e32 v6, 0x7fe0, v8
	v_cmp_gt_i32_e64 s2, s34, v10
	v_mul_u32_u24_e32 v15, 0x420, v10
	v_cmp_gt_i32_e64 s17, s20, v10
	v_cmp_eq_u32_e64 s21, 1, v10
	v_add_nc_u32_e32 v93, 0x2380, v6
	v_cmp_gt_i32_e64 s4, s34, v12
	v_lshl_add_u64 v[42:43], v[4:5], 3, s[6:7]
	v_lshl_or_b32 v5, v34, 8, v9
	v_cmp_gt_i32_e64 s18, s20, v12
	v_sub_nc_u64_e32 v[44:45], 0, v[2:3]
	v_cmp_le_i32_e32 vcc_lo, s34, v32
	v_or_b32_e32 v3, 0x78, v33
	v_add_nc_u32_e32 v88, v5, v6
	v_lshlrev_b32_e32 v4, 2, v10
	v_mul_i32_i24_e32 v6, 0xffffffe8, v10
	s_and_b32 s3, s3, vcc_lo
	s_delay_alu instid0(VALU_DEP_3) | instskip(NEXT) | instid1(VALU_DEP_3)
	v_dual_lshlrev_b32 v17, 3, v10 :: v_dual_add_nc_u32 v89, 8, v88
	v_cmp_ge_u32_e64 s7, v4, v34
	v_or_b32_e32 v7, 1, v4
	v_cmp_eq_u32_e64 s8, v4, v34
	v_or_b32_e32 v5, 2, v4
	v_dual_add_nc_u32 v94, v91, v17 :: v_dual_bitop2_b32 v4, 3, v4 bitop3:0x54
	s_delay_alu instid0(VALU_DEP_4) | instskip(SKIP_1) | instid1(VALU_DEP_4)
	v_cmp_ge_u32_e64 s9, v7, v34
	v_cmp_eq_u32_e64 s10, v7, v34
	v_cmp_ge_u32_e64 s11, v5, v34
	s_delay_alu instid0(VALU_DEP_4)
	v_cmp_ge_u32_e64 s13, v4, v34
	v_cmp_eq_u32_e64 s14, v4, v34
	v_or_b32_e32 v4, 32, v34
	v_cmp_eq_u32_e64 s12, v5, v34
	v_mov_b32_e32 v5, v35
	v_mad_u32_u24 v95, v10, 24, v94
	v_lshrrev_b32_e32 v10, 4, v8
	v_cmp_gt_i32_e64 s16, s34, v4
	v_dual_lshlrev_b32 v4, 2, v1 :: v_dual_bitop2_b32 v12, 15, v0 bitop3:0x40
	v_dual_add_nc_u32 v103, v9, v11 :: v_dual_bitop2_b32 v0, 48, v0 bitop3:0x40
	s_delay_alu instid0(VALU_DEP_4) | instskip(NEXT) | instid1(VALU_DEP_3)
	v_lshlrev_b32_e32 v2, 5, v10
	v_mul_u64_e32 v[46:47], s[44:45], v[4:5]
	v_mul_u32_u24_e32 v7, 0x108, v7
	s_delay_alu instid0(VALU_DEP_4) | instskip(NEXT) | instid1(VALU_DEP_4)
	v_dual_lshlrev_b32 v0, 3, v0 :: v_dual_add_nc_u32 v104, v9, v15
	v_mad_u32_u24 v98, 0x218, v12, v2
	v_mul_i32_i24_e32 v2, 0xffffffe8, v10
	s_mul_u64 s[22:23], s[52:53], s[22:23]
	v_cmp_gt_i32_e64 s1, s34, v34
	s_lshl_b64 s[40:41], s[44:45], 6
	s_lshl_b64 s[42:43], s[44:45], 7
	s_ashr_i32 s35, s34, 31
	v_cmp_gt_i32_e64 s5, s34, v13
	v_cmp_gt_i32_e64 s6, s34, v14
	v_mad_u32_u24 v87, 0x108, v34, v9
	v_dual_add_nc_u32 v90, 16, v88 :: v_dual_add_nc_u32 v92, 24, v88
	v_cmp_gt_u32_e64 s15, 32, v8
	s_lshl_b64 s[50:51], s[44:45], 5
	v_cmp_gt_i32_e64 s19, s20, v13
	v_cmp_gt_i32_e64 s20, s20, v14
	s_xor_b32 s24, s3, -1
	s_sub_nc_u64 s[62:63], 0, s[22:23]
	v_lshl_add_u32 v96, v1, 5, 0x2180
	v_mad_u32_u24 v97, 0x860, v1, v33
	v_cmp_gt_u32_e64 s22, 64, v8
	v_mad_u32_u24 v99, 0x218, v12, v0
	v_mad_u32_u24 v100, 0x218, v12, v3
	;; [unrolled: 1-line block ×3, first 2 shown]
	v_add_nc_u32_e32 v102, 0x2380, v17
	v_dual_add_nc_u32 v105, v9, v7 :: v_dual_add_nc_u32 v107, v98, v2
	v_add_nc_u32_e32 v106, v93, v6
	v_lshlrev_b32_e32 v34, 3, v34
	s_cmp_gt_i32 s102, 0
	s_mul_u64 s[28:29], s[44:45], 0xc0
	s_sub_nc_u64 s[60:61], 0, s[50:51]
	s_cselect_b32 s104, -1, 0
	s_sub_nc_u64 s[64:65], 0, s[64:65]
	s_and_b32 vcc_hi, s0, s24
	s_sub_nc_u64 s[66:67], 0, s[34:35]
	s_lshl_b64 s[68:69], s[44:45], 3
	s_lshl_b64 s[70:71], s[44:45], 9
	;; [unrolled: 1-line block ×3, first 2 shown]
	s_mul_u64 s[74:75], s[44:45], 24
	s_mul_u64 s[76:77], s[44:45], 0x90
	;; [unrolled: 1-line block ×8, first 2 shown]
	s_mov_b64 s[90:91], 0xfffffffffffffef8
	s_mul_u64 s[94:95], s[44:45], 0x180
	s_mul_u64 s[96:97], s[44:45], 0x108
	s_lshl_b64 s[98:99], s[44:45], 8
	s_mul_u64 s[44:45], s[44:45], 0x88
	s_branch .LBB8_4
.LBB8_2:                                ;   in Loop: Header=BB8_4 Depth=1
	s_wait_xcnt 0x0
	s_or_b32 exec_lo, exec_lo, s23
.LBB8_3:                                ;   in Loop: Header=BB8_4 Depth=1
	s_add_co_i32 s26, s26, 0x10000
	s_delay_alu instid0(SALU_CYCLE_1)
	s_cmp_lt_u32 s26, s33
	s_cbranch_scc0 .LBB8_114
.LBB8_4:                                ; =>This Loop Header: Depth=1
                                        ;     Child Loop BB8_108 Depth 2
	s_mov_b32 s27, s25
	s_mov_b32 s24, -1
	s_wait_xcnt 0x0
	s_mul_u64 s[100:101], s[38:39], s[26:27]
	s_delay_alu instid0(SALU_CYCLE_1) | instskip(NEXT) | instid1(SALU_CYCLE_1)
	s_lshl_b64 s[100:101], s[100:101], 3
	s_add_nc_u64 s[100:101], s[36:37], s[100:101]
	global_load_b64 v[0:1], v35, s[100:101]
	s_wait_loadcnt 0x0
	v_or_b32_e32 v0, v0, v1
	s_delay_alu instid0(VALU_DEP_1) | instskip(NEXT) | instid1(VALU_DEP_1)
	v_and_b32_e32 v0, 0x7fffffff, v0
	v_cmp_ne_u32_e64 s23, 0, v0
	s_and_b32 vcc_lo, exec_lo, s23
	s_cbranch_vccnz .LBB8_6
; %bb.5:                                ;   in Loop: Header=BB8_4 Depth=1
	s_wait_xcnt 0x0
	s_mul_u64 s[100:101], s[58:59], s[26:27]
	s_delay_alu instid0(SALU_CYCLE_1) | instskip(NEXT) | instid1(SALU_CYCLE_1)
	s_lshl_b64 s[100:101], s[100:101], 3
	s_add_nc_u64 s[100:101], s[56:57], s[100:101]
	global_load_b64 v[0:1], v35, s[100:101]
	s_wait_loadcnt 0x0
	v_cmp_neq_f32_e32 vcc_lo, 1.0, v0
	v_cmp_neq_f32_e64 s24, 0, v1
	s_or_b32 s24, vcc_lo, s24
.LBB8_6:                                ;   in Loop: Header=BB8_4 Depth=1
	s_delay_alu instid0(SALU_CYCLE_1)
	s_and_not1_b32 vcc_lo, exec_lo, s24
	s_cbranch_vccnz .LBB8_3
; %bb.7:                                ;   in Loop: Header=BB8_4 Depth=1
	s_and_not1_b32 vcc_lo, exec_lo, s23
	s_cbranch_vccnz .LBB8_3
; %bb.8:                                ;   in Loop: Header=BB8_4 Depth=1
	s_wait_xcnt 0x0
	s_mul_u64 s[100:101], s[54:55], s[26:27]
	s_delay_alu instid0(SALU_CYCLE_1)
	v_lshl_add_u64 v[16:17], s[100:101], 3, v[42:43]
	s_and_saveexec_b32 s23, s0
	s_cbranch_execz .LBB8_13
; %bb.9:                                ;   in Loop: Header=BB8_4 Depth=1
	s_and_saveexec_b32 s24, s3
	s_delay_alu instid0(SALU_CYCLE_1)
	s_xor_b32 s24, exec_lo, s24
; %bb.10:                               ;   in Loop: Header=BB8_4 Depth=1
	v_mov_b64_e32 v[0:1], 0
	ds_store_b64 v86, v[0:1]
; %bb.11:                               ;   in Loop: Header=BB8_4 Depth=1
	s_and_not1_saveexec_b32 s24, s24
	s_cbranch_execz .LBB8_13
; %bb.12:                               ;   in Loop: Header=BB8_4 Depth=1
	global_load_b64 v[0:1], v[16:17], off
	s_wait_loadcnt 0x0
	ds_store_b64 v86, v[0:1]
.LBB8_13:                               ;   in Loop: Header=BB8_4 Depth=1
	s_wait_xcnt 0x0
	s_or_b32 exec_lo, exec_lo, s23
	s_mul_u64 s[100:101], s[46:47], s[26:27]
	s_and_not1_b32 vcc_lo, exec_lo, s103
	v_lshl_add_u64 v[0:1], s[100:101], 3, v[40:41]
	s_mov_b32 s23, -1
	s_cbranch_vccnz .LBB8_15
; %bb.14:                               ;   in Loop: Header=BB8_4 Depth=1
	s_delay_alu instid0(VALU_DEP_1) | instskip(SKIP_1) | instid1(VALU_DEP_1)
	v_add_nc_u64_e32 v[2:3], s[40:41], v[0:1]
	s_mov_b32 s23, 0
	v_add_nc_u64_e32 v[4:5], s[40:41], v[2:3]
	s_delay_alu instid0(VALU_DEP_1)
	v_add_nc_u64_e32 v[6:7], s[40:41], v[4:5]
	s_clause 0x3
	global_load_b64 v[8:9], v[0:1], off
	global_load_b64 v[2:3], v[2:3], off
	;; [unrolled: 1-line block ×4, first 2 shown]
	s_wait_loadcnt 0x3
	ds_store_b64 v103, v[8:9]
	s_wait_loadcnt 0x2
	ds_store_b64 v103, v[2:3] offset:2112
	s_wait_loadcnt 0x1
	ds_store_b64 v103, v[4:5] offset:4224
	;; [unrolled: 2-line block ×3, first 2 shown]
.LBB8_15:                               ;   in Loop: Header=BB8_4 Depth=1
	s_and_not1_b32 vcc_lo, exec_lo, s23
	s_cbranch_vccnz .LBB8_25
; %bb.16:                               ;   in Loop: Header=BB8_4 Depth=1
	s_wait_xcnt 0x2
	v_lshl_add_u64 v[2:3], v[36:37], 3, v[0:1]
	s_wait_xcnt 0x0
	v_dual_mov_b32 v6, 0 :: v_dual_mov_b32 v4, 0
	v_mov_b32_e32 v5, 0
	s_delay_alu instid0(VALU_DEP_3) | instskip(NEXT) | instid1(VALU_DEP_1)
	v_lshl_add_u64 v[2:3], s[34:35], 3, v[2:3]
	v_add_nc_u64_e32 v[2:3], -8, v[2:3]
	s_delay_alu instid0(VALU_DEP_1)
	v_dual_cndmask_b32 v3, v3, v1, s1 :: v_dual_cndmask_b32 v2, v2, v0, s1
	s_and_saveexec_b32 s23, s2
	s_cbranch_execz .LBB8_18
; %bb.17:                               ;   in Loop: Header=BB8_4 Depth=1
	global_load_b64 v[4:5], v[2:3], off
.LBB8_18:                               ;   in Loop: Header=BB8_4 Depth=1
	s_wait_xcnt 0x0
	s_or_b32 exec_lo, exec_lo, s23
	v_mov_b32_e32 v7, 0
	s_wait_loadcnt 0x0
	ds_store_b64 v103, v[4:5]
	s_and_saveexec_b32 s23, s4
	s_cbranch_execz .LBB8_20
; %bb.19:                               ;   in Loop: Header=BB8_4 Depth=1
	v_add_nc_u64_e32 v[4:5], s[40:41], v[2:3]
	global_load_b64 v[6:7], v[4:5], off
.LBB8_20:                               ;   in Loop: Header=BB8_4 Depth=1
	s_wait_xcnt 0x0
	s_or_b32 exec_lo, exec_lo, s23
	v_dual_mov_b32 v4, 0 :: v_dual_mov_b32 v8, 0
	v_mov_b32_e32 v9, 0
	s_wait_loadcnt 0x0
	ds_store_b64 v103, v[6:7] offset:2112
	s_and_saveexec_b32 s23, s5
	s_cbranch_execz .LBB8_22
; %bb.21:                               ;   in Loop: Header=BB8_4 Depth=1
	v_add_nc_u64_e32 v[6:7], s[42:43], v[2:3]
	global_load_b64 v[8:9], v[6:7], off
.LBB8_22:                               ;   in Loop: Header=BB8_4 Depth=1
	s_wait_xcnt 0x0
	s_or_b32 exec_lo, exec_lo, s23
	v_mov_b32_e32 v5, 0
	s_wait_loadcnt 0x0
	ds_store_b64 v103, v[8:9] offset:4224
	s_and_saveexec_b32 s23, s6
	s_cbranch_execz .LBB8_24
; %bb.23:                               ;   in Loop: Header=BB8_4 Depth=1
	v_add_nc_u64_e32 v[4:5], s[28:29], v[2:3]
	global_load_b64 v[4:5], v[4:5], off
.LBB8_24:                               ;   in Loop: Header=BB8_4 Depth=1
	s_wait_xcnt 0x0
	s_or_b32 exec_lo, exec_lo, s23
	v_add_nc_u64_e32 v[2:3], v[2:3], v[34:35]
	s_wait_loadcnt 0x0
	ds_store_b64 v103, v[4:5] offset:6336
	v_lshl_add_u64 v[2:3], s[66:67], 3, v[2:3]
	s_delay_alu instid0(VALU_DEP_1) | instskip(NEXT) | instid1(VALU_DEP_1)
	v_add_nc_u64_e32 v[2:3], 8, v[2:3]
	v_dual_cndmask_b32 v1, v3, v1, s1 :: v_dual_cndmask_b32 v0, v2, v0, s1
.LBB8_25:                               ;   in Loop: Header=BB8_4 Depth=1
	s_mov_b32 s23, 0
	s_wait_dscnt 0x0
	s_barrier_signal -1
	s_barrier_wait -1
	s_wait_xcnt 0x0
	s_and_saveexec_b32 s24, s7
	s_delay_alu instid0(SALU_CYCLE_1)
	s_xor_b32 s24, exec_lo, s24
; %bb.26:                               ;   in Loop: Header=BB8_4 Depth=1
	s_and_b32 s23, s8, exec_lo
; %bb.27:                               ;   in Loop: Header=BB8_4 Depth=1
	s_or_saveexec_b32 s24, s24
	v_dual_mov_b32 v2, 0 :: v_dual_mov_b32 v3, v87
	s_xor_b32 exec_lo, exec_lo, s24
	s_cbranch_execz .LBB8_29
; %bb.28:                               ;   in Loop: Header=BB8_4 Depth=1
	ds_load_b64 v[4:5], v104
	v_mov_b32_e32 v3, v88
	s_or_b32 s23, s23, exec_lo
	s_wait_dscnt 0x0
	v_xor_b32_e32 v2, 0x80000000, v5
	ds_store_b32 v88, v4
.LBB8_29:                               ;   in Loop: Header=BB8_4 Depth=1
	s_or_b32 exec_lo, exec_lo, s24
	s_and_saveexec_b32 s24, s23
; %bb.30:                               ;   in Loop: Header=BB8_4 Depth=1
	ds_store_b32 v3, v2 offset:4
; %bb.31:                               ;   in Loop: Header=BB8_4 Depth=1
	s_or_b32 exec_lo, exec_lo, s24
	s_mov_b32 s23, 0
	s_and_saveexec_b32 s24, s9
	s_delay_alu instid0(SALU_CYCLE_1)
	s_xor_b32 s24, exec_lo, s24
; %bb.32:                               ;   in Loop: Header=BB8_4 Depth=1
	s_and_b32 s23, s10, exec_lo
; %bb.33:                               ;   in Loop: Header=BB8_4 Depth=1
	s_or_saveexec_b32 s24, s24
	v_dual_mov_b32 v2, 0 :: v_dual_mov_b32 v3, v87
	s_xor_b32 exec_lo, exec_lo, s24
	s_cbranch_execz .LBB8_35
; %bb.34:                               ;   in Loop: Header=BB8_4 Depth=1
	ds_load_b64 v[4:5], v105
	v_mov_b32_e32 v3, v89
	s_or_b32 s23, s23, exec_lo
	s_wait_dscnt 0x0
	v_xor_b32_e32 v2, 0x80000000, v5
	ds_store_b32 v89, v4
.LBB8_35:                               ;   in Loop: Header=BB8_4 Depth=1
	s_or_b32 exec_lo, exec_lo, s24
	s_and_saveexec_b32 s24, s23
; %bb.36:                               ;   in Loop: Header=BB8_4 Depth=1
	ds_store_b32 v3, v2 offset:4
; %bb.37:                               ;   in Loop: Header=BB8_4 Depth=1
	s_or_b32 exec_lo, exec_lo, s24
	s_mov_b32 s23, 0
	s_and_saveexec_b32 s24, s11
	s_delay_alu instid0(SALU_CYCLE_1)
	s_xor_b32 s24, exec_lo, s24
; %bb.38:                               ;   in Loop: Header=BB8_4 Depth=1
	s_and_b32 s23, s12, exec_lo
; %bb.39:                               ;   in Loop: Header=BB8_4 Depth=1
	s_or_saveexec_b32 s24, s24
	v_dual_mov_b32 v2, 0 :: v_dual_mov_b32 v3, v87
	s_xor_b32 exec_lo, exec_lo, s24
	s_cbranch_execz .LBB8_41
; %bb.40:                               ;   in Loop: Header=BB8_4 Depth=1
	ds_load_b64 v[4:5], v105 offset:264
	v_mov_b32_e32 v3, v90
	s_or_b32 s23, s23, exec_lo
	s_wait_dscnt 0x0
	v_xor_b32_e32 v2, 0x80000000, v5
	ds_store_b32 v90, v4
.LBB8_41:                               ;   in Loop: Header=BB8_4 Depth=1
	s_or_b32 exec_lo, exec_lo, s24
	s_and_saveexec_b32 s24, s23
; %bb.42:                               ;   in Loop: Header=BB8_4 Depth=1
	ds_store_b32 v3, v2 offset:4
; %bb.43:                               ;   in Loop: Header=BB8_4 Depth=1
	s_or_b32 exec_lo, exec_lo, s24
	s_mov_b32 s23, 0
	s_and_saveexec_b32 s24, s13
	s_delay_alu instid0(SALU_CYCLE_1)
	s_xor_b32 s24, exec_lo, s24
; %bb.44:                               ;   in Loop: Header=BB8_4 Depth=1
	s_and_b32 s23, s14, exec_lo
; %bb.45:                               ;   in Loop: Header=BB8_4 Depth=1
	s_or_saveexec_b32 s24, s24
	v_dual_mov_b32 v2, 0 :: v_dual_mov_b32 v3, v87
	s_xor_b32 exec_lo, exec_lo, s24
	s_cbranch_execz .LBB8_47
; %bb.46:                               ;   in Loop: Header=BB8_4 Depth=1
	ds_load_b64 v[4:5], v105 offset:528
	v_mov_b32_e32 v3, v92
	s_or_b32 s23, s23, exec_lo
	s_wait_dscnt 0x0
	v_xor_b32_e32 v2, 0x80000000, v5
	ds_store_b32 v92, v4
.LBB8_47:                               ;   in Loop: Header=BB8_4 Depth=1
	s_or_b32 exec_lo, exec_lo, s24
	s_and_saveexec_b32 s24, s23
; %bb.48:                               ;   in Loop: Header=BB8_4 Depth=1
	ds_store_b32 v3, v2 offset:4
; %bb.49:                               ;   in Loop: Header=BB8_4 Depth=1
	s_or_b32 exec_lo, exec_lo, s24
	s_wait_dscnt 0x0
	s_barrier_signal -1
	s_barrier_wait -1
	ds_load_b64 v[14:15], v104
	ds_load_b128 v[2:5], v93
	ds_load_2addr_b64 v[6:9], v105 offset1:33
	ds_load_b128 v[10:13], v93 offset:16
	ds_load_b64 v[18:19], v105 offset:528
	v_mov_b64_e32 v[48:49], 0
	s_wait_dscnt 0x0
	s_barrier_signal -1
	s_barrier_wait -1
	v_pk_mul_f32 v[20:21], v[2:3], v[14:15] op_sel:[1,1] op_sel_hi:[0,1]
	v_dual_mov_b32 v22, v5 :: v_dual_mov_b32 v23, v4
	v_pk_mul_f32 v[24:25], v[10:11], v[8:9] op_sel:[1,1] op_sel_hi:[0,1]
	v_dual_mov_b32 v28, v13 :: v_dual_mov_b32 v29, v12
	s_delay_alu instid0(VALU_DEP_4) | instskip(NEXT) | instid1(VALU_DEP_4)
	v_pk_fma_f32 v[26:27], v[2:3], v[14:15], v[20:21] op_sel_hi:[1,0,1]
	v_pk_mul_f32 v[22:23], v[22:23], v[6:7] op_sel:[0,1]
	v_pk_fma_f32 v[2:3], v[2:3], v[14:15], v[20:21] neg_lo:[0,0,1] neg_hi:[0,0,1]
	v_pk_fma_f32 v[20:21], v[10:11], v[8:9], v[24:25] op_sel_hi:[1,0,1]
	s_delay_alu instid0(VALU_DEP_3)
	v_pk_fma_f32 v[14:15], v[4:5], v[6:7], v[22:23] op_sel_hi:[1,0,1]
	v_mov_b32_e32 v3, v27
	v_pk_fma_f32 v[4:5], v[4:5], v[6:7], v[22:23] neg_lo:[0,0,1] neg_hi:[0,0,1]
	v_pk_mul_f32 v[26:27], v[28:29], v[18:19] op_sel:[0,1]
	v_pk_fma_f32 v[6:7], v[10:11], v[8:9], v[24:25] neg_lo:[0,0,1] neg_hi:[0,0,1]
	v_mov_b32_e32 v5, v15
	v_pk_add_f32 v[2:3], v[2:3], 0 op_sel_hi:[1,0]
	s_delay_alu instid0(VALU_DEP_4) | instskip(SKIP_1) | instid1(VALU_DEP_3)
	v_pk_fma_f32 v[8:9], v[12:13], v[18:19], v[26:27] op_sel_hi:[1,0,1]
	v_mov_b32_e32 v7, v21
	v_pk_add_f32 v[2:3], v[2:3], v[4:5]
	v_pk_fma_f32 v[4:5], v[12:13], v[18:19], v[26:27] neg_lo:[0,0,1] neg_hi:[0,0,1]
	s_delay_alu instid0(VALU_DEP_4) | instskip(NEXT) | instid1(VALU_DEP_3)
	v_mov_b32_e32 v5, v9
	v_pk_add_f32 v[2:3], v[2:3], v[6:7]
	s_delay_alu instid0(VALU_DEP_1)
	v_pk_add_f32 v[2:3], v[2:3], v[4:5]
	ds_store_b64 v94, v[2:3]
	s_wait_dscnt 0x0
	s_barrier_signal -1
	s_barrier_wait -1
	s_and_saveexec_b32 s23, s15
	s_cbranch_execz .LBB8_51
; %bb.50:                               ;   in Loop: Header=BB8_4 Depth=1
	ds_load_2addr_b64 v[2:5], v91 offset1:7
	ds_load_2addr_b64 v[6:9], v91 offset0:1 offset1:2
	ds_load_2addr_b64 v[10:13], v91 offset0:3 offset1:4
	;; [unrolled: 1-line block ×3, first 2 shown]
	s_wait_dscnt 0x2
	v_dual_add_f32 v2, v6, v2 :: v_dual_add_f32 v3, v7, v3
	s_delay_alu instid0(VALU_DEP_1) | instskip(SKIP_1) | instid1(VALU_DEP_1)
	v_dual_add_f32 v2, v8, v2 :: v_dual_add_f32 v3, v9, v3
	s_wait_dscnt 0x1
	v_dual_add_f32 v2, v2, v10 :: v_dual_add_f32 v3, v3, v11
	s_delay_alu instid0(VALU_DEP_1) | instskip(SKIP_1) | instid1(VALU_DEP_1)
	v_dual_add_f32 v2, v2, v12 :: v_dual_add_f32 v3, v3, v13
	s_wait_dscnt 0x0
	v_dual_add_f32 v2, v2, v18 :: v_dual_add_f32 v3, v3, v19
	s_delay_alu instid0(VALU_DEP_1) | instskip(NEXT) | instid1(VALU_DEP_1)
	v_dual_add_f32 v2, v2, v20 :: v_dual_add_f32 v3, v3, v21
	v_pk_add_f32 v[48:49], v[2:3], v[4:5]
.LBB8_51:                               ;   in Loop: Header=BB8_4 Depth=1
	s_or_b32 exec_lo, exec_lo, s23
	v_lshl_add_u64 v[2:3], s[50:51], 3, v[0:1]
	s_and_not1_b32 vcc_lo, exec_lo, s103
	s_mov_b32 s23, -1
	s_barrier_signal -1
	s_barrier_wait -1
	s_cbranch_vccnz .LBB8_53
; %bb.52:                               ;   in Loop: Header=BB8_4 Depth=1
	v_add_nc_u64_e32 v[0:1], s[40:41], v[2:3]
	s_mov_b32 s23, 0
	s_delay_alu instid0(VALU_DEP_1) | instskip(NEXT) | instid1(VALU_DEP_1)
	v_add_nc_u64_e32 v[4:5], s[40:41], v[0:1]
	v_add_nc_u64_e32 v[6:7], s[40:41], v[4:5]
	s_clause 0x3
	global_load_b64 v[8:9], v[2:3], off offset:256
	global_load_b64 v[0:1], v[0:1], off offset:256
	;; [unrolled: 1-line block ×4, first 2 shown]
	s_wait_loadcnt 0x3
	ds_store_b64 v103, v[8:9]
	s_wait_loadcnt 0x2
	ds_store_b64 v103, v[0:1] offset:2112
	s_wait_loadcnt 0x1
	ds_store_b64 v103, v[4:5] offset:4224
	s_wait_loadcnt 0x0
	ds_store_b64 v103, v[6:7] offset:6336
.LBB8_53:                               ;   in Loop: Header=BB8_4 Depth=1
	s_wait_xcnt 0x2
	v_add_nc_u64_e32 v[0:1], 0x100, v[2:3]
	s_and_not1_b32 vcc_lo, exec_lo, s23
	s_cbranch_vccnz .LBB8_63
; %bb.54:                               ;   in Loop: Header=BB8_4 Depth=1
	v_lshl_add_u64 v[2:3], v[36:37], 3, v[2:3]
	s_wait_xcnt 0x0
	v_dual_mov_b32 v6, 0 :: v_dual_mov_b32 v4, 0
	v_mov_b32_e32 v5, 0
	s_delay_alu instid0(VALU_DEP_3) | instskip(NEXT) | instid1(VALU_DEP_1)
	v_lshl_add_u64 v[2:3], s[34:35], 3, v[2:3]
	v_add_nc_u64_e32 v[2:3], -8, v[2:3]
	s_delay_alu instid0(VALU_DEP_1)
	v_dual_cndmask_b32 v3, v3, v1, s16 :: v_dual_cndmask_b32 v2, v2, v0, s16
	s_and_saveexec_b32 s23, s17
	s_cbranch_execz .LBB8_56
; %bb.55:                               ;   in Loop: Header=BB8_4 Depth=1
	global_load_b64 v[4:5], v[2:3], off
.LBB8_56:                               ;   in Loop: Header=BB8_4 Depth=1
	s_wait_xcnt 0x0
	s_or_b32 exec_lo, exec_lo, s23
	v_mov_b32_e32 v7, 0
	s_wait_loadcnt 0x0
	ds_store_b64 v103, v[4:5]
	s_and_saveexec_b32 s23, s18
	s_cbranch_execz .LBB8_58
; %bb.57:                               ;   in Loop: Header=BB8_4 Depth=1
	v_add_nc_u64_e32 v[4:5], s[40:41], v[2:3]
	global_load_b64 v[6:7], v[4:5], off
.LBB8_58:                               ;   in Loop: Header=BB8_4 Depth=1
	s_wait_xcnt 0x0
	s_or_b32 exec_lo, exec_lo, s23
	v_dual_mov_b32 v4, 0 :: v_dual_mov_b32 v8, 0
	v_mov_b32_e32 v9, 0
	s_wait_loadcnt 0x0
	ds_store_b64 v103, v[6:7] offset:2112
	s_and_saveexec_b32 s23, s19
	s_cbranch_execz .LBB8_60
; %bb.59:                               ;   in Loop: Header=BB8_4 Depth=1
	v_add_nc_u64_e32 v[6:7], s[42:43], v[2:3]
	global_load_b64 v[8:9], v[6:7], off
.LBB8_60:                               ;   in Loop: Header=BB8_4 Depth=1
	s_wait_xcnt 0x0
	s_or_b32 exec_lo, exec_lo, s23
	v_mov_b32_e32 v5, 0
	s_wait_loadcnt 0x0
	ds_store_b64 v103, v[8:9] offset:4224
	s_and_saveexec_b32 s23, s20
	s_cbranch_execz .LBB8_62
; %bb.61:                               ;   in Loop: Header=BB8_4 Depth=1
	v_add_nc_u64_e32 v[4:5], s[28:29], v[2:3]
	global_load_b64 v[4:5], v[4:5], off
.LBB8_62:                               ;   in Loop: Header=BB8_4 Depth=1
	s_wait_xcnt 0x0
	s_or_b32 exec_lo, exec_lo, s23
	v_add_nc_u64_e32 v[2:3], v[2:3], v[34:35]
	s_wait_loadcnt 0x0
	ds_store_b64 v103, v[4:5] offset:6336
	v_lshl_add_u64 v[2:3], s[66:67], 3, v[2:3]
	s_delay_alu instid0(VALU_DEP_1) | instskip(NEXT) | instid1(VALU_DEP_1)
	v_add_nc_u64_e32 v[2:3], 0x108, v[2:3]
	v_dual_cndmask_b32 v1, v3, v1, s16 :: v_dual_cndmask_b32 v0, v2, v0, s16
.LBB8_63:                               ;   in Loop: Header=BB8_4 Depth=1
	s_mov_b32 s23, 0
	s_wait_dscnt 0x0
	s_barrier_signal -1
	s_barrier_wait -1
	s_wait_xcnt 0x0
	s_and_saveexec_b32 s24, s7
	s_delay_alu instid0(SALU_CYCLE_1)
	s_xor_b32 s24, exec_lo, s24
; %bb.64:                               ;   in Loop: Header=BB8_4 Depth=1
	s_and_b32 s23, s8, exec_lo
; %bb.65:                               ;   in Loop: Header=BB8_4 Depth=1
	s_or_saveexec_b32 s24, s24
	v_dual_mov_b32 v2, 0 :: v_dual_mov_b32 v3, v87
	s_xor_b32 exec_lo, exec_lo, s24
	s_cbranch_execz .LBB8_67
; %bb.66:                               ;   in Loop: Header=BB8_4 Depth=1
	ds_load_b64 v[4:5], v104
	v_mov_b32_e32 v3, v88
	s_or_b32 s23, s23, exec_lo
	s_wait_dscnt 0x0
	v_xor_b32_e32 v2, 0x80000000, v5
	ds_store_b32 v88, v4
.LBB8_67:                               ;   in Loop: Header=BB8_4 Depth=1
	s_or_b32 exec_lo, exec_lo, s24
	s_and_saveexec_b32 s24, s23
; %bb.68:                               ;   in Loop: Header=BB8_4 Depth=1
	ds_store_b32 v3, v2 offset:4
; %bb.69:                               ;   in Loop: Header=BB8_4 Depth=1
	s_or_b32 exec_lo, exec_lo, s24
	s_mov_b32 s23, 0
	s_and_saveexec_b32 s24, s9
	s_delay_alu instid0(SALU_CYCLE_1)
	s_xor_b32 s24, exec_lo, s24
; %bb.70:                               ;   in Loop: Header=BB8_4 Depth=1
	s_and_b32 s23, s10, exec_lo
; %bb.71:                               ;   in Loop: Header=BB8_4 Depth=1
	s_or_saveexec_b32 s24, s24
	v_dual_mov_b32 v2, 0 :: v_dual_mov_b32 v3, v87
	s_xor_b32 exec_lo, exec_lo, s24
	s_cbranch_execz .LBB8_73
; %bb.72:                               ;   in Loop: Header=BB8_4 Depth=1
	ds_load_b64 v[4:5], v105
	v_mov_b32_e32 v3, v89
	s_or_b32 s23, s23, exec_lo
	s_wait_dscnt 0x0
	v_xor_b32_e32 v2, 0x80000000, v5
	ds_store_b32 v89, v4
.LBB8_73:                               ;   in Loop: Header=BB8_4 Depth=1
	s_or_b32 exec_lo, exec_lo, s24
	s_and_saveexec_b32 s24, s23
; %bb.74:                               ;   in Loop: Header=BB8_4 Depth=1
	ds_store_b32 v3, v2 offset:4
; %bb.75:                               ;   in Loop: Header=BB8_4 Depth=1
	s_or_b32 exec_lo, exec_lo, s24
	s_mov_b32 s23, 0
	s_and_saveexec_b32 s24, s11
	s_delay_alu instid0(SALU_CYCLE_1)
	s_xor_b32 s24, exec_lo, s24
; %bb.76:                               ;   in Loop: Header=BB8_4 Depth=1
	s_and_b32 s23, s12, exec_lo
; %bb.77:                               ;   in Loop: Header=BB8_4 Depth=1
	s_or_saveexec_b32 s24, s24
	v_dual_mov_b32 v2, 0 :: v_dual_mov_b32 v3, v87
	s_xor_b32 exec_lo, exec_lo, s24
	s_cbranch_execz .LBB8_79
; %bb.78:                               ;   in Loop: Header=BB8_4 Depth=1
	ds_load_b64 v[4:5], v105 offset:264
	v_mov_b32_e32 v3, v90
	s_or_b32 s23, s23, exec_lo
	s_wait_dscnt 0x0
	v_xor_b32_e32 v2, 0x80000000, v5
	ds_store_b32 v90, v4
.LBB8_79:                               ;   in Loop: Header=BB8_4 Depth=1
	s_or_b32 exec_lo, exec_lo, s24
	s_and_saveexec_b32 s24, s23
; %bb.80:                               ;   in Loop: Header=BB8_4 Depth=1
	ds_store_b32 v3, v2 offset:4
; %bb.81:                               ;   in Loop: Header=BB8_4 Depth=1
	s_or_b32 exec_lo, exec_lo, s24
	s_mov_b32 s23, 0
	s_and_saveexec_b32 s24, s13
	s_delay_alu instid0(SALU_CYCLE_1)
	s_xor_b32 s24, exec_lo, s24
; %bb.82:                               ;   in Loop: Header=BB8_4 Depth=1
	s_and_b32 s23, s14, exec_lo
; %bb.83:                               ;   in Loop: Header=BB8_4 Depth=1
	s_or_saveexec_b32 s24, s24
	v_dual_mov_b32 v2, 0 :: v_dual_mov_b32 v3, v87
	s_xor_b32 exec_lo, exec_lo, s24
	s_cbranch_execz .LBB8_85
; %bb.84:                               ;   in Loop: Header=BB8_4 Depth=1
	ds_load_b64 v[4:5], v105 offset:528
	v_mov_b32_e32 v3, v92
	s_or_b32 s23, s23, exec_lo
	s_wait_dscnt 0x0
	v_xor_b32_e32 v2, 0x80000000, v5
	ds_store_b32 v92, v4
.LBB8_85:                               ;   in Loop: Header=BB8_4 Depth=1
	s_or_b32 exec_lo, exec_lo, s24
	s_and_saveexec_b32 s24, s23
; %bb.86:                               ;   in Loop: Header=BB8_4 Depth=1
	ds_store_b32 v3, v2 offset:4
; %bb.87:                               ;   in Loop: Header=BB8_4 Depth=1
	s_or_b32 exec_lo, exec_lo, s24
	s_wait_dscnt 0x0
	s_barrier_signal -1
	s_barrier_wait -1
	ds_load_b64 v[14:15], v104
	ds_load_b128 v[2:5], v93 offset:256
	ds_load_2addr_b64 v[6:9], v105 offset1:33
	ds_load_b128 v[10:13], v93 offset:272
	ds_load_b64 v[18:19], v105 offset:528
	s_wait_dscnt 0x0
	s_barrier_signal -1
	s_barrier_wait -1
	v_pk_mul_f32 v[20:21], v[2:3], v[14:15] op_sel:[1,1] op_sel_hi:[0,1]
	v_dual_mov_b32 v22, v5 :: v_dual_mov_b32 v23, v4
	v_pk_mul_f32 v[24:25], v[10:11], v[8:9] op_sel:[1,1] op_sel_hi:[0,1]
	v_dual_mov_b32 v28, v13 :: v_dual_mov_b32 v29, v12
	s_delay_alu instid0(VALU_DEP_4) | instskip(NEXT) | instid1(VALU_DEP_4)
	v_pk_fma_f32 v[26:27], v[2:3], v[14:15], v[20:21] op_sel_hi:[1,0,1]
	v_pk_mul_f32 v[22:23], v[22:23], v[6:7] op_sel:[0,1]
	v_pk_fma_f32 v[2:3], v[2:3], v[14:15], v[20:21] neg_lo:[0,0,1] neg_hi:[0,0,1]
	v_pk_fma_f32 v[20:21], v[10:11], v[8:9], v[24:25] op_sel_hi:[1,0,1]
	s_delay_alu instid0(VALU_DEP_3)
	v_pk_fma_f32 v[14:15], v[4:5], v[6:7], v[22:23] op_sel_hi:[1,0,1]
	v_mov_b32_e32 v3, v27
	v_pk_fma_f32 v[4:5], v[4:5], v[6:7], v[22:23] neg_lo:[0,0,1] neg_hi:[0,0,1]
	v_pk_mul_f32 v[26:27], v[28:29], v[18:19] op_sel:[0,1]
	v_pk_fma_f32 v[6:7], v[10:11], v[8:9], v[24:25] neg_lo:[0,0,1] neg_hi:[0,0,1]
	v_mov_b32_e32 v5, v15
	v_pk_add_f32 v[2:3], v[2:3], 0 op_sel_hi:[1,0]
	s_delay_alu instid0(VALU_DEP_4) | instskip(SKIP_1) | instid1(VALU_DEP_3)
	v_pk_fma_f32 v[8:9], v[12:13], v[18:19], v[26:27] op_sel_hi:[1,0,1]
	v_mov_b32_e32 v7, v21
	v_pk_add_f32 v[2:3], v[2:3], v[4:5]
	v_pk_fma_f32 v[4:5], v[12:13], v[18:19], v[26:27] neg_lo:[0,0,1] neg_hi:[0,0,1]
	s_delay_alu instid0(VALU_DEP_4) | instskip(NEXT) | instid1(VALU_DEP_3)
	v_mov_b32_e32 v5, v9
	v_pk_add_f32 v[2:3], v[2:3], v[6:7]
	s_delay_alu instid0(VALU_DEP_1)
	v_pk_add_f32 v[2:3], v[2:3], v[4:5]
	ds_store_b64 v94, v[2:3]
	s_wait_dscnt 0x0
	s_barrier_signal -1
	s_barrier_wait -1
	s_and_saveexec_b32 s23, s21
	s_cbranch_execz .LBB8_89
; %bb.88:                               ;   in Loop: Header=BB8_4 Depth=1
	ds_load_2addr_b64 v[2:5], v91 offset1:7
	ds_load_2addr_b64 v[6:9], v91 offset0:1 offset1:2
	ds_load_2addr_b64 v[10:13], v91 offset0:3 offset1:4
	;; [unrolled: 1-line block ×3, first 2 shown]
	s_wait_dscnt 0x2
	v_dual_add_f32 v2, v6, v2 :: v_dual_add_f32 v3, v7, v3
	s_delay_alu instid0(VALU_DEP_1) | instskip(SKIP_1) | instid1(VALU_DEP_1)
	v_dual_add_f32 v2, v8, v2 :: v_dual_add_f32 v3, v9, v3
	s_wait_dscnt 0x1
	v_dual_add_f32 v2, v2, v10 :: v_dual_add_f32 v3, v3, v11
	s_delay_alu instid0(VALU_DEP_1) | instskip(SKIP_1) | instid1(VALU_DEP_1)
	v_dual_add_f32 v2, v2, v12 :: v_dual_add_f32 v3, v3, v13
	s_wait_dscnt 0x0
	v_dual_add_f32 v2, v2, v18 :: v_dual_add_f32 v3, v3, v19
	s_delay_alu instid0(VALU_DEP_1) | instskip(NEXT) | instid1(VALU_DEP_1)
	v_pk_add_f32 v[2:3], v[2:3], v[20:21]
	v_pk_add_f32 v[48:49], v[2:3], v[4:5]
.LBB8_89:                               ;   in Loop: Header=BB8_4 Depth=1
	s_or_b32 exec_lo, exec_lo, s23
	v_lshl_add_u64 v[18:19], s[60:61], 3, v[0:1]
	s_and_not1_b32 vcc_lo, exec_lo, s103
	s_mov_b32 s23, -1
	s_barrier_signal -1
	s_barrier_wait -1
	s_cbranch_vccnz .LBB8_91
; %bb.90:                               ;   in Loop: Header=BB8_4 Depth=1
	v_add_nc_u64_e32 v[0:1], s[40:41], v[18:19]
	s_mov_b32 s23, 0
	s_delay_alu instid0(VALU_DEP_1) | instskip(NEXT) | instid1(VALU_DEP_1)
	v_add_nc_u64_e32 v[2:3], s[40:41], v[0:1]
	v_add_nc_u64_e32 v[4:5], s[40:41], v[2:3]
	s_clause 0x3
	global_load_b64 v[6:7], v[18:19], off
	global_load_b64 v[0:1], v[0:1], off
	;; [unrolled: 1-line block ×4, first 2 shown]
	s_wait_loadcnt 0x3
	ds_store_b64 v103, v[6:7]
	s_wait_loadcnt 0x2
	ds_store_b64 v103, v[0:1] offset:2112
	s_wait_loadcnt 0x1
	ds_store_b64 v103, v[2:3] offset:4224
	;; [unrolled: 2-line block ×3, first 2 shown]
.LBB8_91:                               ;   in Loop: Header=BB8_4 Depth=1
	s_and_not1_b32 vcc_lo, exec_lo, s23
	s_cbranch_vccnz .LBB8_101
; %bb.92:                               ;   in Loop: Header=BB8_4 Depth=1
	s_wait_xcnt 0x2
	v_lshl_add_u64 v[0:1], v[36:37], 3, v[18:19]
	s_wait_xcnt 0x0
	v_dual_mov_b32 v4, 0 :: v_dual_mov_b32 v2, 0
	v_mov_b32_e32 v3, 0
	s_delay_alu instid0(VALU_DEP_3) | instskip(NEXT) | instid1(VALU_DEP_1)
	v_lshl_add_u64 v[0:1], s[34:35], 3, v[0:1]
	v_add_nc_u64_e32 v[0:1], s[90:91], v[0:1]
	s_delay_alu instid0(VALU_DEP_1)
	v_dual_cndmask_b32 v1, v1, v19, s16 :: v_dual_cndmask_b32 v0, v0, v18, s16
	s_and_saveexec_b32 s23, s2
	s_cbranch_execz .LBB8_94
; %bb.93:                               ;   in Loop: Header=BB8_4 Depth=1
	global_load_b64 v[2:3], v[0:1], off
.LBB8_94:                               ;   in Loop: Header=BB8_4 Depth=1
	s_wait_xcnt 0x0
	s_or_b32 exec_lo, exec_lo, s23
	v_mov_b32_e32 v5, 0
	s_wait_loadcnt 0x0
	ds_store_b64 v103, v[2:3]
	s_and_saveexec_b32 s23, s4
	s_cbranch_execz .LBB8_96
; %bb.95:                               ;   in Loop: Header=BB8_4 Depth=1
	v_add_nc_u64_e32 v[2:3], s[40:41], v[0:1]
	global_load_b64 v[4:5], v[2:3], off
.LBB8_96:                               ;   in Loop: Header=BB8_4 Depth=1
	s_wait_xcnt 0x0
	s_or_b32 exec_lo, exec_lo, s23
	v_dual_mov_b32 v2, 0 :: v_dual_mov_b32 v6, 0
	v_mov_b32_e32 v7, 0
	s_wait_loadcnt 0x0
	ds_store_b64 v103, v[4:5] offset:2112
	s_and_saveexec_b32 s23, s5
	s_cbranch_execz .LBB8_98
; %bb.97:                               ;   in Loop: Header=BB8_4 Depth=1
	v_add_nc_u64_e32 v[4:5], s[42:43], v[0:1]
	global_load_b64 v[6:7], v[4:5], off
.LBB8_98:                               ;   in Loop: Header=BB8_4 Depth=1
	s_wait_xcnt 0x0
	s_or_b32 exec_lo, exec_lo, s23
	v_mov_b32_e32 v3, 0
	s_wait_loadcnt 0x0
	ds_store_b64 v103, v[6:7] offset:4224
	s_and_saveexec_b32 s23, s6
	s_cbranch_execz .LBB8_100
; %bb.99:                               ;   in Loop: Header=BB8_4 Depth=1
	v_add_nc_u64_e32 v[2:3], s[28:29], v[0:1]
	global_load_b64 v[2:3], v[2:3], off
.LBB8_100:                              ;   in Loop: Header=BB8_4 Depth=1
	s_wait_xcnt 0x0
	s_or_b32 exec_lo, exec_lo, s23
	v_add_nc_u64_e32 v[0:1], v[0:1], v[34:35]
	s_wait_loadcnt 0x0
	ds_store_b64 v103, v[2:3] offset:6336
	v_lshl_add_u64 v[0:1], s[66:67], 3, v[0:1]
	s_delay_alu instid0(VALU_DEP_1) | instskip(NEXT) | instid1(VALU_DEP_1)
	v_add_nc_u64_e32 v[0:1], 0x108, v[0:1]
	v_dual_cndmask_b32 v19, v1, v19, s16 :: v_dual_cndmask_b32 v18, v0, v18, s16
.LBB8_101:                              ;   in Loop: Header=BB8_4 Depth=1
	s_wait_dscnt 0x0
	s_barrier_signal -1
	s_barrier_wait -1
	ds_load_b64 v[8:9], v103
	ds_load_b64 v[10:11], v106
	ds_load_2addr_b64 v[20:23], v102 offset0:8 offset1:16
	ds_load_b64 v[12:13], v103 offset:2112
	ds_load_b64 v[24:25], v103 offset:4224
	;; [unrolled: 1-line block ×4, first 2 shown]
	s_wait_xcnt 0x0
	ds_load_2addr_b64 v[4:7], v95 offset1:1
	ds_load_2addr_b64 v[0:3], v95 offset0:2 offset1:3
	s_wait_dscnt 0x7
	v_pk_mul_f32 v[14:15], v[10:11], v[8:9] op_sel:[1,1] op_sel_hi:[0,1]
	s_wait_dscnt 0x5
	v_pk_mul_f32 v[30:31], v[20:21], v[12:13] op_sel:[1,1] op_sel_hi:[0,1]
	;; [unrolled: 2-line block ×3, first 2 shown]
	v_pk_fma_f32 v[50:51], v[10:11], v[8:9], v[14:15] op_sel_hi:[1,0,1]
	v_pk_fma_f32 v[8:9], v[10:11], v[8:9], v[14:15] neg_lo:[0,0,1] neg_hi:[0,0,1]
	v_pk_fma_f32 v[10:11], v[20:21], v[12:13], v[30:31] op_sel_hi:[1,0,1]
	v_pk_fma_f32 v[20:21], v[20:21], v[12:13], v[30:31] neg_lo:[0,0,1] neg_hi:[0,0,1]
	v_pk_fma_f32 v[30:31], v[22:23], v[24:25], v[52:53] op_sel_hi:[1,0,1]
	v_mov_b32_e32 v9, v51
	s_wait_dscnt 0x2
	v_pk_mul_f32 v[50:51], v[28:29], v[26:27] op_sel:[1,1] op_sel_hi:[0,1]
	v_mov_b32_e32 v21, v11
	v_pk_fma_f32 v[22:23], v[22:23], v[24:25], v[52:53] neg_lo:[0,0,1] neg_hi:[0,0,1]
	v_pk_add_f32 v[54:55], v[8:9], 0 op_sel_hi:[1,0]
	ds_load_b128 v[12:15], v93 offset:256
	ds_load_b128 v[8:11], v93 offset:272
	v_pk_fma_f32 v[24:25], v[28:29], v[26:27], v[50:51] op_sel_hi:[1,0,1]
	v_mov_b32_e32 v23, v31
	v_pk_fma_f32 v[26:27], v[28:29], v[26:27], v[50:51] neg_lo:[0,0,1] neg_hi:[0,0,1]
	v_pk_add_f32 v[20:21], v[54:55], v[20:21]
	s_wait_dscnt 0x0
	v_mov_b32_e32 v27, v25
	s_barrier_signal -1
	s_barrier_wait -1
	v_pk_add_f32 v[20:21], v[20:21], v[22:23]
	s_delay_alu instid0(VALU_DEP_1)
	v_pk_add_f32 v[20:21], v[20:21], v[26:27]
	ds_store_b64 v94, v[20:21]
	s_wait_dscnt 0x0
	s_barrier_signal -1
	s_barrier_wait -1
	s_and_saveexec_b32 s23, s21
	s_cbranch_execz .LBB8_103
; %bb.102:                              ;   in Loop: Header=BB8_4 Depth=1
	ds_load_2addr_b64 v[20:23], v91 offset1:1
	ds_load_2addr_b64 v[24:27], v91 offset0:2 offset1:3
	ds_load_2addr_b64 v[28:31], v91 offset0:4 offset1:5
	s_wait_dscnt 0x2
	v_pk_add_f32 v[20:21], v[48:49], v[20:21]
	s_delay_alu instid0(VALU_DEP_1) | instskip(SKIP_1) | instid1(VALU_DEP_1)
	v_pk_add_f32 v[20:21], v[20:21], v[22:23]
	s_wait_dscnt 0x1
	v_pk_add_f32 v[24:25], v[20:21], v[24:25]
	ds_load_2addr_b64 v[20:23], v91 offset0:6 offset1:7
	v_pk_add_f32 v[24:25], v[24:25], v[26:27]
	s_wait_dscnt 0x1
	s_delay_alu instid0(VALU_DEP_1) | instskip(NEXT) | instid1(VALU_DEP_1)
	v_pk_add_f32 v[24:25], v[24:25], v[28:29]
	v_pk_add_f32 v[24:25], v[24:25], v[30:31]
	s_wait_dscnt 0x0
	s_delay_alu instid0(VALU_DEP_1) | instskip(NEXT) | instid1(VALU_DEP_1)
	v_pk_add_f32 v[20:21], v[24:25], v[20:21]
	v_pk_add_f32 v[48:49], v[20:21], v[22:23]
.LBB8_103:                              ;   in Loop: Header=BB8_4 Depth=1
	s_or_b32 exec_lo, exec_lo, s23
	v_pk_mul_f32 v[20:21], v[4:5], v[12:13] op_sel:[1,1] op_sel_hi:[1,0]
	v_dual_mov_b32 v22, v7 :: v_dual_mov_b32 v24, v15
	v_mov_b32_e32 v25, v14
	v_pk_mul_f32 v[26:27], v[0:1], v[8:9] op_sel:[1,1] op_sel_hi:[1,0]
	s_delay_alu instid0(VALU_DEP_4) | instskip(SKIP_3) | instid1(VALU_DEP_4)
	v_pk_fma_f32 v[28:29], v[4:5], v[12:13], v[20:21] op_sel_hi:[0,1,1] neg_lo:[0,0,1] neg_hi:[0,0,1]
	v_mov_b32_e32 v28, v3
	v_pk_fma_f32 v[4:5], v[4:5], v[12:13], v[20:21]
	v_pk_mul_f32 v[22:23], v[22:23], v[24:25] op_sel_hi:[0,1]
	v_dual_mov_b32 v24, v11 :: v_dual_mov_b32 v5, v29
	v_pk_fma_f32 v[20:21], v[0:1], v[8:9], v[26:27] op_sel_hi:[0,1,1] neg_lo:[0,0,1] neg_hi:[0,0,1]
	v_pk_fma_f32 v[0:1], v[0:1], v[8:9], v[26:27]
	s_delay_alu instid0(VALU_DEP_4) | instskip(SKIP_3) | instid1(VALU_DEP_4)
	v_pk_fma_f32 v[12:13], v[6:7], v[14:15], v[22:23] op_sel_hi:[0,1,1] neg_lo:[0,0,1] neg_hi:[0,0,1]
	v_mov_b32_e32 v25, v10
	v_pk_fma_f32 v[6:7], v[6:7], v[14:15], v[22:23]
	v_pk_add_f32 v[4:5], v[4:5], 0 op_sel_hi:[1,0]
	v_mov_b32_e32 v7, v13
	s_delay_alu instid0(VALU_DEP_4) | instskip(SKIP_2) | instid1(VALU_DEP_2)
	v_pk_mul_f32 v[14:15], v[28:29], v[24:25] op_sel_hi:[0,1]
	s_barrier_signal -1
	s_barrier_wait -1
	v_pk_add_f32 v[4:5], v[4:5], v[6:7]
	s_delay_alu instid0(VALU_DEP_2) | instskip(SKIP_2) | instid1(VALU_DEP_3)
	v_pk_fma_f32 v[8:9], v[2:3], v[10:11], v[14:15] op_sel_hi:[0,1,1] neg_lo:[0,0,1] neg_hi:[0,0,1]
	v_mov_b32_e32 v1, v21
	v_pk_fma_f32 v[2:3], v[2:3], v[10:11], v[14:15]
	v_mov_b32_e32 v3, v9
	s_delay_alu instid0(VALU_DEP_3) | instskip(NEXT) | instid1(VALU_DEP_1)
	v_pk_add_f32 v[0:1], v[4:5], v[0:1]
	v_pk_add_f32 v[0:1], v[0:1], v[2:3]
	ds_store_b64 v94, v[0:1]
	s_wait_dscnt 0x0
	s_barrier_signal -1
	s_barrier_wait -1
	s_and_saveexec_b32 s23, s15
	s_cbranch_execz .LBB8_105
; %bb.104:                              ;   in Loop: Header=BB8_4 Depth=1
	ds_load_2addr_b64 v[0:3], v91 offset1:1
	ds_load_2addr_b64 v[4:7], v91 offset0:2 offset1:3
	ds_load_2addr_b64 v[8:11], v91 offset0:4 offset1:5
	s_wait_dscnt 0x2
	v_pk_add_f32 v[0:1], v[48:49], v[0:1]
	s_delay_alu instid0(VALU_DEP_1) | instskip(SKIP_1) | instid1(VALU_DEP_1)
	v_pk_add_f32 v[0:1], v[0:1], v[2:3]
	s_wait_dscnt 0x1
	v_pk_add_f32 v[4:5], v[0:1], v[4:5]
	ds_load_2addr_b64 v[0:3], v91 offset0:6 offset1:7
	v_pk_add_f32 v[4:5], v[4:5], v[6:7]
	s_wait_dscnt 0x1
	s_delay_alu instid0(VALU_DEP_1) | instskip(NEXT) | instid1(VALU_DEP_1)
	v_pk_add_f32 v[4:5], v[4:5], v[8:9]
	v_pk_add_f32 v[4:5], v[4:5], v[10:11]
	s_wait_dscnt 0x0
	s_delay_alu instid0(VALU_DEP_1) | instskip(NEXT) | instid1(VALU_DEP_1)
	v_pk_add_f32 v[0:1], v[4:5], v[0:1]
	v_pk_add_f32 v[48:49], v[0:1], v[2:3]
.LBB8_105:                              ;   in Loop: Header=BB8_4 Depth=1
	s_or_b32 exec_lo, exec_lo, s23
	s_mul_u64 s[100:101], s[30:31], s[26:27]
	s_and_not1_b32 vcc_lo, exec_lo, s104
	s_lshl_b64 s[100:101], s[100:101], 3
	s_delay_alu instid0(SALU_CYCLE_1)
	s_add_nc_u64 s[100:101], s[48:49], s[100:101]
	s_barrier_signal -1
	s_barrier_wait -1
	s_cbranch_vccnz .LBB8_112
; %bb.106:                              ;   in Loop: Header=BB8_4 Depth=1
	v_lshl_add_u64 v[0:1], s[64:65], 3, v[18:19]
	v_dual_mov_b32 v3, v35 :: v_dual_lshlrev_b32 v2, 3, v32
	s_mov_b64 s[92:93], 0xffffffffffffff00
	v_lshl_add_u64 v[50:51], s[62:63], 3, v[16:17]
	s_delay_alu instid0(VALU_DEP_3) | instskip(SKIP_2) | instid1(VALU_DEP_1)
	v_lshl_add_u64 v[0:1], v[44:45], 3, v[0:1]
	s_mov_b32 s24, 0
	s_mov_b32 s23, s102
	v_lshl_add_u64 v[0:1], v[46:47], 3, v[0:1]
	s_delay_alu instid0(VALU_DEP_1) | instskip(SKIP_1) | instid1(VALU_DEP_1)
	v_add_nc_u64_e32 v[2:3], v[0:1], v[2:3]
	v_lshl_add_u64 v[0:1], s[34:35], 3, v[0:1]
	v_add_nc_u64_e32 v[0:1], s[90:91], v[0:1]
	s_delay_alu instid0(VALU_DEP_3) | instskip(NEXT) | instid1(VALU_DEP_1)
	v_add_nc_u64_e32 v[2:3], s[92:93], v[2:3]
	v_dual_cndmask_b32 v53, v3, v1, s3 :: v_dual_cndmask_b32 v52, v2, v0, s3
	s_branch .LBB8_108
.LBB8_107:                              ;   in Loop: Header=BB8_108 Depth=2
	s_wait_xcnt 0x0
	s_or_b32 exec_lo, exec_lo, s27
	v_pk_mul_f32 v[108:109], v[60:61], v[4:5] op_sel:[1,1] op_sel_hi:[0,1]
	v_dual_mov_b32 v110, v7 :: v_dual_mov_b32 v114, v3
	v_pk_mul_f32 v[112:113], v[56:57], v[0:1] op_sel:[1,1] op_sel_hi:[0,1]
	v_pk_mul_f32 v[118:119], v[66:67], v[8:9] op_sel:[1,1] op_sel_hi:[0,1]
	s_delay_alu instid0(VALU_DEP_4) | instskip(NEXT) | instid1(VALU_DEP_4)
	v_pk_fma_f32 v[116:117], v[60:61], v[4:5], v[108:109] op_sel_hi:[1,0,1]
	v_pk_mul_f32 v[110:111], v[58:59], v[110:111] op_sel:[1,0] op_sel_hi:[0,0]
	v_pk_fma_f32 v[4:5], v[60:61], v[4:5], v[108:109] neg_lo:[0,0,1] neg_hi:[0,0,1]
	v_mov_b32_e32 v116, v11
	v_pk_mul_f32 v[108:109], v[54:55], v[114:115] op_sel:[1,0] op_sel_hi:[0,0]
	v_mov_b32_e32 v5, v117
	v_pk_fma_f32 v[60:61], v[58:59], v[6:7], v[110:111] op_sel_hi:[1,0,1]
	v_pk_fma_f32 v[6:7], v[58:59], v[6:7], v[110:111] neg_lo:[0,0,1] neg_hi:[0,0,1]
	v_pk_fma_f32 v[114:115], v[56:57], v[0:1], v[112:113] op_sel_hi:[1,0,1]
	v_pk_fma_f32 v[0:1], v[56:57], v[0:1], v[112:113] neg_lo:[0,0,1] neg_hi:[0,0,1]
	v_pk_add_f32 v[4:5], v[48:49], v[4:5]
	v_mov_b32_e32 v7, v61
	v_pk_fma_f32 v[56:57], v[54:55], v[2:3], v[108:109] op_sel_hi:[1,0,1]
	v_mov_b32_e32 v1, v115
	v_pk_fma_f32 v[2:3], v[54:55], v[2:3], v[108:109] neg_lo:[0,0,1] neg_hi:[0,0,1]
	v_pk_fma_f32 v[58:59], v[66:67], v[8:9], v[118:119] op_sel_hi:[1,0,1]
	v_pk_add_f32 v[4:5], v[4:5], v[6:7]
	v_pk_mul_f32 v[6:7], v[62:63], v[116:117] op_sel:[1,0] op_sel_hi:[0,0]
	v_mov_b32_e32 v3, v57
	v_pk_mul_f32 v[48:49], v[68:69], v[12:13] op_sel:[1,1] op_sel_hi:[0,1]
	v_pk_fma_f32 v[8:9], v[66:67], v[8:9], v[118:119] neg_lo:[0,0,1] neg_hi:[0,0,1]
	v_pk_add_f32 v[0:1], v[4:5], v[0:1]
	v_mov_b32_e32 v4, v15
	v_pk_fma_f32 v[54:55], v[62:63], v[10:11], v[6:7] op_sel_hi:[1,0,1]
	v_mov_b32_e32 v9, v59
	v_pk_fma_f32 v[6:7], v[62:63], v[10:11], v[6:7] neg_lo:[0,0,1] neg_hi:[0,0,1]
	v_pk_add_f32 v[0:1], v[0:1], v[2:3]
	v_pk_fma_f32 v[2:3], v[68:69], v[12:13], v[48:49] op_sel_hi:[1,0,1]
	v_pk_mul_f32 v[4:5], v[64:65], v[4:5] op_sel:[1,0] op_sel_hi:[0,0]
	v_mov_b32_e32 v7, v55
	v_pk_fma_f32 v[10:11], v[68:69], v[12:13], v[48:49] neg_lo:[0,0,1] neg_hi:[0,0,1]
	v_pk_add_f32 v[0:1], v[0:1], v[8:9]
	v_mov_b32_e32 v11, v3
	v_pk_fma_f32 v[2:3], v[64:65], v[14:15], v[4:5] op_sel_hi:[1,0,1]
	v_pk_mul_f32 v[8:9], v[76:77], v[24:25] op_sel:[1,1] op_sel_hi:[0,1]
	v_mov_b32_e32 v2, v27
	v_pk_add_f32 v[0:1], v[0:1], v[6:7]
	v_pk_fma_f32 v[4:5], v[64:65], v[14:15], v[4:5] neg_lo:[0,0,1] neg_hi:[0,0,1]
	v_mov_b32_e32 v5, v3
	v_pk_fma_f32 v[6:7], v[76:77], v[24:25], v[8:9] op_sel_hi:[1,0,1]
	v_pk_mul_f32 v[2:3], v[74:75], v[2:3] op_sel:[1,0] op_sel_hi:[0,0]
	v_pk_add_f32 v[0:1], v[0:1], v[10:11]
	v_pk_fma_f32 v[8:9], v[76:77], v[24:25], v[8:9] neg_lo:[0,0,1] neg_hi:[0,0,1]
	v_mov_b32_e32 v6, v31
	v_pk_mul_f32 v[10:11], v[72:73], v[28:29] op_sel:[1,1] op_sel_hi:[0,1]
	v_add_nc_u64_e32 v[52:53], s[70:71], v[52:53]
	v_pk_add_f32 v[0:1], v[0:1], v[4:5]
	v_pk_fma_f32 v[4:5], v[74:75], v[26:27], v[2:3] op_sel_hi:[1,0,1]
	v_mov_b32_e32 v9, v7
	v_pk_fma_f32 v[2:3], v[74:75], v[26:27], v[2:3] neg_lo:[0,0,1] neg_hi:[0,0,1]
	v_pk_mul_f32 v[6:7], v[70:71], v[6:7] op_sel:[1,0] op_sel_hi:[0,0]
	s_add_co_i32 s23, s23, -1
	v_mov_b32_e32 v3, v5
	v_pk_add_f32 v[0:1], v[0:1], v[8:9]
	v_pk_fma_f32 v[4:5], v[72:73], v[28:29], v[10:11] op_sel_hi:[1,0,1]
	v_pk_fma_f32 v[10:11], v[72:73], v[28:29], v[10:11] neg_lo:[0,0,1] neg_hi:[0,0,1]
	v_pk_fma_f32 v[8:9], v[70:71], v[30:31], v[6:7] op_sel_hi:[1,0,1]
	v_dual_mov_b32 v4, v23 :: v_dual_mov_b32 v8, v19
	v_pk_add_f32 v[0:1], v[0:1], v[2:3]
	v_mov_b32_e32 v11, v5
	v_pk_fma_f32 v[2:3], v[70:71], v[30:31], v[6:7] neg_lo:[0,0,1] neg_hi:[0,0,1]
	v_pk_mul_f32 v[6:7], v[84:85], v[20:21] op_sel:[1,1] op_sel_hi:[0,1]
	v_mov_b32_e32 v3, v9
	v_pk_mul_f32 v[4:5], v[82:83], v[4:5] op_sel:[1,0] op_sel_hi:[0,0]
	v_pk_add_f32 v[0:1], v[0:1], v[10:11]
	v_pk_mul_f32 v[8:9], v[78:79], v[8:9] op_sel:[1,0] op_sel_hi:[0,0]
	v_pk_fma_f32 v[10:11], v[84:85], v[20:21], v[6:7] op_sel_hi:[1,0,1]
	v_pk_fma_f32 v[6:7], v[84:85], v[20:21], v[6:7] neg_lo:[0,0,1] neg_hi:[0,0,1]
	v_pk_fma_f32 v[12:13], v[82:83], v[22:23], v[4:5] op_sel_hi:[1,0,1]
	v_pk_add_f32 v[0:1], v[0:1], v[2:3]
	v_pk_mul_f32 v[2:3], v[80:81], v[16:17] op_sel:[1,1] op_sel_hi:[0,1]
	v_mov_b32_e32 v7, v11
	v_pk_fma_f32 v[4:5], v[82:83], v[22:23], v[4:5] neg_lo:[0,0,1] neg_hi:[0,0,1]
	v_mov_b32_e32 v5, v13
	s_add_co_i32 s24, s24, 64
	v_pk_fma_f32 v[10:11], v[80:81], v[16:17], v[2:3] op_sel_hi:[1,0,1]
	v_pk_add_f32 v[0:1], v[0:1], v[6:7]
	v_pk_fma_f32 v[2:3], v[80:81], v[16:17], v[2:3] neg_lo:[0,0,1] neg_hi:[0,0,1]
	v_pk_fma_f32 v[6:7], v[78:79], v[18:19], v[8:9] op_sel_hi:[1,0,1]
	s_cmp_eq_u32 s23, 0
	v_mov_b32_e32 v3, v11
	v_pk_add_f32 v[0:1], v[0:1], v[4:5]
	v_pk_fma_f32 v[4:5], v[78:79], v[18:19], v[8:9] neg_lo:[0,0,1] neg_hi:[0,0,1]
	v_mov_b32_e32 v5, v7
	s_wait_storecnt 0x0
	s_barrier_signal -1
	v_pk_add_f32 v[0:1], v[0:1], v[2:3]
	s_barrier_wait -1
	s_delay_alu instid0(VALU_DEP_1)
	v_pk_add_f32 v[48:49], v[0:1], v[4:5]
	s_cbranch_scc1 .LBB8_112
.LBB8_108:                              ;   Parent Loop BB8_4 Depth=1
                                        ; =>  This Inner Loop Header: Depth=2
	s_and_saveexec_b32 s27, s0
	s_cbranch_execz .LBB8_110
; %bb.109:                              ;   in Loop: Header=BB8_108 Depth=2
	s_mul_u64 s[92:93], s[52:53], s[24:25]
	v_add_nc_u32_e32 v2, 0x2180, v33
	v_lshl_add_u64 v[0:1], s[92:93], 3, v[50:51]
	global_load_b64 v[0:1], v[0:1], off
	s_wait_loadcnt 0x0
	ds_store_b64 v2, v[0:1]
.LBB8_110:                              ;   in Loop: Header=BB8_108 Depth=2
	s_wait_xcnt 0x0
	s_or_b32 exec_lo, exec_lo, s27
	v_add_nc_u64_e32 v[0:1], s[68:69], v[52:53]
	v_add_nc_u64_e32 v[2:3], s[72:73], v[52:53]
	;; [unrolled: 1-line block ×3, first 2 shown]
	s_wait_dscnt 0x0
	s_barrier_signal -1
	s_barrier_wait -1
	s_clause 0x3
	global_load_b64 v[60:61], v[52:53], off
	global_load_b64 v[58:59], v[0:1], off
	;; [unrolled: 1-line block ×4, first 2 shown]
	ds_load_b64 v[8:9], v86
	s_wait_xcnt 0x0
	ds_load_b128 v[4:7], v96
	v_add_nc_u64_e32 v[12:13], s[42:43], v[52:53]
	v_add_nc_u64_e32 v[24:25], s[76:77], v[52:53]
	;; [unrolled: 1-line block ×3, first 2 shown]
	ds_load_b128 v[0:3], v96 offset:16
	v_add_nc_u64_e32 v[72:73], s[96:97], v[52:53]
	v_add_nc_u64_e32 v[82:83], s[80:81], v[52:53]
	s_wait_loadcnt_dscnt 0x202
	v_dual_mul_f32 v14, v59, v9 :: v_dual_mul_f32 v15, v59, v8
	v_dual_mul_f32 v10, v61, v9 :: v_dual_mul_f32 v11, v61, v8
	s_wait_loadcnt 0x1
	v_dual_mul_f32 v16, v57, v9 :: v_dual_mul_f32 v17, v57, v8
	s_wait_loadcnt 0x0
	v_dual_mul_f32 v18, v55, v9 :: v_dual_mul_f32 v19, v55, v8
	v_dual_fmac_f32 v10, v60, v8 :: v_dual_fma_f32 v11, v60, v9, -v11
	v_dual_fmac_f32 v14, v58, v8 :: v_dual_fma_f32 v15, v58, v9, -v15
	;; [unrolled: 1-line block ×3, first 2 shown]
	s_delay_alu instid0(VALU_DEP_4)
	v_dual_fmac_f32 v18, v54, v8 :: v_dual_fma_f32 v19, v54, v9, -v19
	v_add_nc_u64_e32 v[8:9], s[44:45], v[52:53]
	ds_store_2addr_b64 v97, v[10:11], v[14:15] offset1:67
	ds_store_2addr_b64 v97, v[16:17], v[18:19] offset0:134 offset1:201
	s_wait_dscnt 0x0
	s_barrier_signal -1
	s_barrier_wait -1
	ds_load_2addr_b64 v[16:19], v98 offset1:1
	ds_load_2addr_b64 v[20:23], v98 offset0:2 offset1:3
	s_wait_dscnt 0x0
	s_barrier_signal -1
	s_barrier_wait -1
	s_clause 0x3
	global_load_b64 v[66:67], v[12:13], off
	global_load_b64 v[62:63], v[8:9], off
	;; [unrolled: 1-line block ×4, first 2 shown]
	s_wait_xcnt 0x3
	ds_load_b64 v[12:13], v86
	s_wait_xcnt 0x2
	ds_load_b128 v[8:11], v96 offset:128
	s_wait_xcnt 0x1
	v_add_nc_u64_e32 v[24:25], s[98:99], v[52:53]
	v_pk_add_f32 v[16:17], v[16:17], 0 op_sel_hi:[1,0]
	s_delay_alu instid0(VALU_DEP_1) | instskip(NEXT) | instid1(VALU_DEP_1)
	v_pk_add_f32 v[16:17], v[16:17], v[18:19]
	v_pk_add_f32 v[16:17], v[16:17], v[20:21]
	v_add_nc_u64_e32 v[20:21], s[94:95], v[52:53]
	s_delay_alu instid0(VALU_DEP_2)
	v_pk_add_f32 v[120:121], v[16:17], v[22:23]
	s_wait_loadcnt_dscnt 0x301
	s_wait_xcnt 0x0
	v_dual_mul_f32 v26, v67, v13 :: v_dual_mul_f32 v14, v67, v12
	s_wait_loadcnt 0x2
	v_dual_mul_f32 v28, v63, v13 :: v_dual_mul_f32 v15, v63, v12
	s_wait_loadcnt 0x1
	;; [unrolled: 2-line block ×3, first 2 shown]
	v_dual_mul_f32 v70, v65, v13 :: v_dual_mul_f32 v71, v65, v12
	v_fmac_f32_e32 v26, v66, v12
	v_fma_f32 v27, v66, v13, -v14
	v_dual_fmac_f32 v28, v62, v12 :: v_dual_fma_f32 v29, v62, v13, -v15
	v_dual_fmac_f32 v30, v68, v12 :: v_dual_fma_f32 v31, v68, v13, -v31
	;; [unrolled: 1-line block ×3, first 2 shown]
	ds_load_b128 v[12:15], v96 offset:144
	ds_store_2addr_b64 v97, v[26:27], v[28:29] offset1:67
	ds_store_2addr_b64 v97, v[30:31], v[70:71] offset0:134 offset1:201
	s_wait_dscnt 0x0
	s_barrier_signal -1
	s_barrier_wait -1
	ds_load_2addr_b64 v[28:31], v98 offset1:1
	ds_load_2addr_b64 v[78:81], v98 offset0:2 offset1:3
	s_wait_dscnt 0x0
	s_barrier_signal -1
	s_barrier_wait -1
	global_load_b64 v[76:77], v[24:25], off
	s_wait_xcnt 0x0
	v_add_nc_u64_e32 v[24:25], s[82:83], v[52:53]
	s_clause 0x2
	global_load_b64 v[74:75], v[72:73], off
	global_load_b64 v[72:73], v[82:83], off
	;; [unrolled: 1-line block ×3, first 2 shown]
	s_wait_xcnt 0x1
	ds_load_b64 v[82:83], v86
	s_wait_xcnt 0x0
	ds_load_b128 v[24:27], v96 offset:256
	v_pk_add_f32 v[16:17], v[28:29], 0 op_sel_hi:[1,0]
	s_delay_alu instid0(VALU_DEP_1)
	v_pk_add_f32 v[112:113], v[16:17], v[30:31]
	s_wait_loadcnt_dscnt 0x301
	v_dual_mul_f32 v19, v77, v82 :: v_dual_mul_f32 v18, v77, v83
	s_wait_loadcnt 0x2
	v_dual_mul_f32 v23, v75, v82 :: v_dual_mul_f32 v22, v75, v83
	s_wait_loadcnt 0x1
	;; [unrolled: 2-line block ×3, first 2 shown]
	v_dual_fma_f32 v19, v76, v83, -v19 :: v_dual_mul_f32 v108, v71, v83
	s_delay_alu instid0(VALU_DEP_2) | instskip(SKIP_2) | instid1(VALU_DEP_4)
	v_dual_fma_f32 v23, v74, v83, -v23 :: v_dual_fma_f32 v85, v72, v83, -v28
	v_dual_mul_f32 v28, v71, v82 :: v_dual_fmac_f32 v18, v76, v82
	v_dual_fmac_f32 v22, v74, v82 :: v_dual_fmac_f32 v84, v72, v82
	v_fmac_f32_e32 v108, v70, v82
	s_delay_alu instid0(VALU_DEP_3)
	v_fma_f32 v109, v70, v83, -v28
	ds_load_b128 v[28:31], v96 offset:272
	ds_store_2addr_b64 v97, v[18:19], v[22:23] offset1:67
	ds_store_2addr_b64 v97, v[84:85], v[108:109] offset0:134 offset1:201
	s_wait_dscnt 0x0
	s_barrier_signal -1
	s_barrier_wait -1
	ds_load_2addr_b64 v[16:19], v98 offset1:1
	ds_load_2addr_b64 v[108:111], v98 offset0:2 offset1:3
	v_add_nc_u64_e32 v[82:83], s[88:89], v[52:53]
	s_wait_dscnt 0x0
	s_barrier_signal -1
	s_barrier_wait -1
	s_clause 0x1
	global_load_b64 v[84:85], v[20:21], off
	global_load_b64 v[82:83], v[82:83], off
	s_wait_xcnt 0x1
	v_pk_add_f32 v[20:21], v[112:113], v[78:79]
	s_delay_alu instid0(VALU_DEP_1) | instskip(SKIP_2) | instid1(VALU_DEP_1)
	v_pk_add_f32 v[122:123], v[20:21], v[80:81]
	v_add_nc_u64_e32 v[20:21], s[84:85], v[52:53]
	v_pk_add_f32 v[16:17], v[16:17], 0 op_sel_hi:[1,0]
	v_pk_add_f32 v[124:125], v[16:17], v[18:19]
	v_add_nc_u64_e32 v[16:17], s[86:87], v[52:53]
	s_clause 0x1
	global_load_b64 v[80:81], v[20:21], off
	global_load_b64 v[78:79], v[16:17], off
	s_wait_xcnt 0x0
	ds_load_b64 v[16:17], v86
	ds_load_b128 v[20:23], v96 offset:384
	v_pk_add_f32 v[108:109], v[124:125], v[108:109]
	s_delay_alu instid0(VALU_DEP_1) | instskip(SKIP_2) | instid1(VALU_DEP_1)
	v_pk_add_f32 v[108:109], v[108:109], v[110:111]
	s_wait_loadcnt_dscnt 0x201
	v_dual_mul_f32 v18, v85, v16 :: v_dual_mul_f32 v112, v83, v16
	v_dual_fma_f32 v19, v84, v17, -v18 :: v_dual_mul_f32 v18, v85, v17
	s_delay_alu instid0(VALU_DEP_2) | instskip(NEXT) | instid1(VALU_DEP_1)
	v_dual_fma_f32 v113, v82, v17, -v112 :: v_dual_mul_f32 v112, v83, v17
	v_dual_fmac_f32 v18, v84, v16 :: v_dual_fmac_f32 v112, v82, v16
	ds_store_2addr_b64 v97, v[18:19], v[112:113] offset1:67
	s_wait_loadcnt 0x0
	v_dual_mul_f32 v18, v81, v16 :: v_dual_mul_f32 v112, v79, v16
	s_delay_alu instid0(VALU_DEP_1) | instskip(NEXT) | instid1(VALU_DEP_2)
	v_dual_fma_f32 v19, v80, v17, -v18 :: v_dual_mul_f32 v18, v81, v17
	v_dual_fma_f32 v113, v78, v17, -v112 :: v_dual_mul_f32 v112, v79, v17
	s_delay_alu instid0(VALU_DEP_1)
	v_dual_fmac_f32 v18, v80, v16 :: v_dual_fmac_f32 v112, v78, v16
	ds_store_2addr_b64 v97, v[18:19], v[112:113] offset0:134 offset1:201
	ds_load_b128 v[16:19], v96 offset:400
	s_wait_dscnt 0x0
	s_barrier_signal -1
	s_barrier_wait -1
	ds_load_2addr_b64 v[112:115], v98 offset1:1
	ds_load_2addr_b64 v[116:119], v98 offset0:2 offset1:3
	s_wait_dscnt 0x0
	s_barrier_signal -1
	s_barrier_wait -1
	v_pk_add_f32 v[112:113], v[112:113], 0 op_sel_hi:[1,0]
	s_delay_alu instid0(VALU_DEP_1) | instskip(NEXT) | instid1(VALU_DEP_1)
	v_pk_add_f32 v[112:113], v[112:113], v[114:115]
	v_pk_add_f32 v[110:111], v[112:113], v[116:117]
	s_delay_alu instid0(VALU_DEP_1)
	v_pk_add_f32 v[110:111], v[110:111], v[118:119]
	ds_store_2addr_b64 v107, v[120:121], v[122:123] offset1:16
	ds_store_2addr_b64 v107, v[108:109], v[110:111] offset0:32 offset1:48
	s_wait_dscnt 0x0
	s_barrier_signal -1
	s_barrier_wait -1
	s_and_saveexec_b32 s27, s22
	s_cbranch_execz .LBB8_107
; %bb.111:                              ;   in Loop: Header=BB8_108 Depth=2
	ds_load_b64 v[120:121], v99
	ds_load_2addr_b64 v[108:111], v99 offset0:1 offset1:2
	ds_load_2addr_b64 v[112:115], v99 offset0:3 offset1:4
	ds_load_2addr_b64 v[116:119], v99 offset0:5 offset1:6
	s_wait_dscnt 0x2
	v_dual_add_f32 v108, v108, v120 :: v_dual_add_f32 v109, v109, v121
	s_delay_alu instid0(VALU_DEP_1) | instskip(SKIP_3) | instid1(VALU_DEP_1)
	v_dual_add_f32 v120, v110, v108 :: v_dual_add_f32 v121, v111, v109
	ds_load_2addr_b64 v[108:111], v99 offset0:7 offset1:8
	s_wait_dscnt 0x2
	v_dual_add_f32 v112, v120, v112 :: v_dual_add_f32 v113, v121, v113
	v_dual_add_f32 v120, v112, v114 :: v_dual_add_f32 v121, v113, v115
	ds_load_2addr_b64 v[112:115], v99 offset0:9 offset1:10
	s_wait_dscnt 0x2
	v_pk_add_f32 v[116:117], v[120:121], v[116:117]
	s_delay_alu instid0(VALU_DEP_1) | instskip(SKIP_3) | instid1(VALU_DEP_1)
	v_pk_add_f32 v[120:121], v[116:117], v[118:119]
	ds_load_2addr_b64 v[116:119], v99 offset0:11 offset1:12
	s_wait_dscnt 0x2
	v_pk_add_f32 v[108:109], v[120:121], v[108:109]
	v_pk_add_f32 v[108:109], v[108:109], v[110:111]
	s_wait_dscnt 0x1
	s_delay_alu instid0(VALU_DEP_1)
	v_pk_add_f32 v[112:113], v[108:109], v[112:113]
	ds_load_2addr_b64 v[108:111], v99 offset0:13 offset1:14
	v_pk_add_f32 v[112:113], v[112:113], v[114:115]
	ds_load_b64 v[114:115], v100
	s_wait_dscnt 0x2
	v_pk_add_f32 v[112:113], v[112:113], v[116:117]
	s_delay_alu instid0(VALU_DEP_1) | instskip(SKIP_1) | instid1(VALU_DEP_1)
	v_pk_add_f32 v[112:113], v[112:113], v[118:119]
	s_wait_dscnt 0x1
	v_pk_add_f32 v[108:109], v[112:113], v[108:109]
	s_delay_alu instid0(VALU_DEP_1) | instskip(SKIP_2) | instid1(VALU_DEP_2)
	v_pk_add_f32 v[108:109], v[108:109], v[110:111]
	v_add_nc_u32_e32 v110, s24, v32
	s_wait_dscnt 0x0
	v_pk_add_f32 v[108:109], v[108:109], v[114:115]
	global_store_b64 v110, v[108:109], s[100:101] scale_offset
	s_branch .LBB8_107
.LBB8_112:                              ;   in Loop: Header=BB8_4 Depth=1
	ds_store_b64 v101, v[48:49]
	s_wait_dscnt 0x0
	s_barrier_signal -1
	s_barrier_wait -1
	s_and_saveexec_b32 s23, vcc_hi
	s_cbranch_execz .LBB8_2
; %bb.113:                              ;   in Loop: Header=BB8_4 Depth=1
	ds_load_2addr_b64 v[0:3], v33 offset1:67
	ds_load_2addr_b64 v[4:7], v33 offset0:134 offset1:201
	s_wait_dscnt 0x1
	v_pk_add_f32 v[0:1], v[2:3], v[0:1]
	v_lshl_add_u64 v[2:3], v[38:39], 3, s[100:101]
	s_wait_dscnt 0x0
	s_delay_alu instid0(VALU_DEP_2) | instskip(NEXT) | instid1(VALU_DEP_1)
	v_pk_add_f32 v[0:1], v[4:5], v[0:1]
	v_pk_add_f32 v[0:1], v[0:1], v[6:7]
	global_store_b64 v[2:3], v[0:1], off
	s_branch .LBB8_2
.LBB8_114:
	s_sendmsg sendmsg(MSG_DEALLOC_VGPRS)
	s_endpgm
	.section	.rodata,"a",@progbits
	.p2align	6, 0x0
	.amdhsa_kernel _ZL26rocblas_hemvn_kernel_lowerILb1ELi64ELi4ELi33ELi32ELi16ElPK19rocblas_complex_numIfES3_PS1_EviT6_lT7_lT5_lS6_lS7_lS5_lT8_i
		.amdhsa_group_segment_fixed_size 9600
		.amdhsa_private_segment_fixed_size 0
		.amdhsa_kernarg_size 376
		.amdhsa_user_sgpr_count 2
		.amdhsa_user_sgpr_dispatch_ptr 0
		.amdhsa_user_sgpr_queue_ptr 0
		.amdhsa_user_sgpr_kernarg_segment_ptr 1
		.amdhsa_user_sgpr_dispatch_id 0
		.amdhsa_user_sgpr_kernarg_preload_length 0
		.amdhsa_user_sgpr_kernarg_preload_offset 0
		.amdhsa_user_sgpr_private_segment_size 0
		.amdhsa_wavefront_size32 1
		.amdhsa_uses_dynamic_stack 0
		.amdhsa_enable_private_segment 0
		.amdhsa_system_sgpr_workgroup_id_x 1
		.amdhsa_system_sgpr_workgroup_id_y 0
		.amdhsa_system_sgpr_workgroup_id_z 1
		.amdhsa_system_sgpr_workgroup_info 0
		.amdhsa_system_vgpr_workitem_id 1
		.amdhsa_next_free_vgpr 126
		.amdhsa_next_free_sgpr 105
		.amdhsa_named_barrier_count 0
		.amdhsa_reserve_vcc 1
		.amdhsa_float_round_mode_32 0
		.amdhsa_float_round_mode_16_64 0
		.amdhsa_float_denorm_mode_32 3
		.amdhsa_float_denorm_mode_16_64 3
		.amdhsa_fp16_overflow 0
		.amdhsa_memory_ordered 1
		.amdhsa_forward_progress 1
		.amdhsa_inst_pref_size 60
		.amdhsa_round_robin_scheduling 0
		.amdhsa_exception_fp_ieee_invalid_op 0
		.amdhsa_exception_fp_denorm_src 0
		.amdhsa_exception_fp_ieee_div_zero 0
		.amdhsa_exception_fp_ieee_overflow 0
		.amdhsa_exception_fp_ieee_underflow 0
		.amdhsa_exception_fp_ieee_inexact 0
		.amdhsa_exception_int_div_zero 0
	.end_amdhsa_kernel
	.section	.text._ZL26rocblas_hemvn_kernel_lowerILb1ELi64ELi4ELi33ELi32ELi16ElPK19rocblas_complex_numIfES3_PS1_EviT6_lT7_lT5_lS6_lS7_lS5_lT8_i,"axG",@progbits,_ZL26rocblas_hemvn_kernel_lowerILb1ELi64ELi4ELi33ELi32ELi16ElPK19rocblas_complex_numIfES3_PS1_EviT6_lT7_lT5_lS6_lS7_lS5_lT8_i,comdat
.Lfunc_end8:
	.size	_ZL26rocblas_hemvn_kernel_lowerILb1ELi64ELi4ELi33ELi32ELi16ElPK19rocblas_complex_numIfES3_PS1_EviT6_lT7_lT5_lS6_lS7_lS5_lT8_i, .Lfunc_end8-_ZL26rocblas_hemvn_kernel_lowerILb1ELi64ELi4ELi33ELi32ELi16ElPK19rocblas_complex_numIfES3_PS1_EviT6_lT7_lT5_lS6_lS7_lS5_lT8_i
                                        ; -- End function
	.set _ZL26rocblas_hemvn_kernel_lowerILb1ELi64ELi4ELi33ELi32ELi16ElPK19rocblas_complex_numIfES3_PS1_EviT6_lT7_lT5_lS6_lS7_lS5_lT8_i.num_vgpr, 126
	.set _ZL26rocblas_hemvn_kernel_lowerILb1ELi64ELi4ELi33ELi32ELi16ElPK19rocblas_complex_numIfES3_PS1_EviT6_lT7_lT5_lS6_lS7_lS5_lT8_i.num_agpr, 0
	.set _ZL26rocblas_hemvn_kernel_lowerILb1ELi64ELi4ELi33ELi32ELi16ElPK19rocblas_complex_numIfES3_PS1_EviT6_lT7_lT5_lS6_lS7_lS5_lT8_i.numbered_sgpr, 105
	.set _ZL26rocblas_hemvn_kernel_lowerILb1ELi64ELi4ELi33ELi32ELi16ElPK19rocblas_complex_numIfES3_PS1_EviT6_lT7_lT5_lS6_lS7_lS5_lT8_i.num_named_barrier, 0
	.set _ZL26rocblas_hemvn_kernel_lowerILb1ELi64ELi4ELi33ELi32ELi16ElPK19rocblas_complex_numIfES3_PS1_EviT6_lT7_lT5_lS6_lS7_lS5_lT8_i.private_seg_size, 0
	.set _ZL26rocblas_hemvn_kernel_lowerILb1ELi64ELi4ELi33ELi32ELi16ElPK19rocblas_complex_numIfES3_PS1_EviT6_lT7_lT5_lS6_lS7_lS5_lT8_i.uses_vcc, 1
	.set _ZL26rocblas_hemvn_kernel_lowerILb1ELi64ELi4ELi33ELi32ELi16ElPK19rocblas_complex_numIfES3_PS1_EviT6_lT7_lT5_lS6_lS7_lS5_lT8_i.uses_flat_scratch, 0
	.set _ZL26rocblas_hemvn_kernel_lowerILb1ELi64ELi4ELi33ELi32ELi16ElPK19rocblas_complex_numIfES3_PS1_EviT6_lT7_lT5_lS6_lS7_lS5_lT8_i.has_dyn_sized_stack, 0
	.set _ZL26rocblas_hemvn_kernel_lowerILb1ELi64ELi4ELi33ELi32ELi16ElPK19rocblas_complex_numIfES3_PS1_EviT6_lT7_lT5_lS6_lS7_lS5_lT8_i.has_recursion, 0
	.set _ZL26rocblas_hemvn_kernel_lowerILb1ELi64ELi4ELi33ELi32ELi16ElPK19rocblas_complex_numIfES3_PS1_EviT6_lT7_lT5_lS6_lS7_lS5_lT8_i.has_indirect_call, 0
	.section	.AMDGPU.csdata,"",@progbits
; Kernel info:
; codeLenInByte = 7656
; TotalNumSgprs: 107
; NumVgprs: 126
; ScratchSize: 0
; MemoryBound: 1
; FloatMode: 240
; IeeeMode: 1
; LDSByteSize: 9600 bytes/workgroup (compile time only)
; SGPRBlocks: 0
; VGPRBlocks: 7
; NumSGPRsForWavesPerEU: 107
; NumVGPRsForWavesPerEU: 126
; NamedBarCnt: 0
; Occupancy: 8
; WaveLimiterHint : 0
; COMPUTE_PGM_RSRC2:SCRATCH_EN: 0
; COMPUTE_PGM_RSRC2:USER_SGPR: 2
; COMPUTE_PGM_RSRC2:TRAP_HANDLER: 0
; COMPUTE_PGM_RSRC2:TGID_X_EN: 1
; COMPUTE_PGM_RSRC2:TGID_Y_EN: 0
; COMPUTE_PGM_RSRC2:TGID_Z_EN: 1
; COMPUTE_PGM_RSRC2:TIDIG_COMP_CNT: 1
	.section	.text._ZL36rocblas_hemvn_kernel_lower_block_sumILi64ElPK19rocblas_complex_numIfEPS1_S1_EviT1_lS5_lT2_lT0_lPT3_i,"axG",@progbits,_ZL36rocblas_hemvn_kernel_lower_block_sumILi64ElPK19rocblas_complex_numIfEPS1_S1_EviT1_lS5_lT2_lT0_lPT3_i,comdat
	.globl	_ZL36rocblas_hemvn_kernel_lower_block_sumILi64ElPK19rocblas_complex_numIfEPS1_S1_EviT1_lS5_lT2_lT0_lPT3_i ; -- Begin function _ZL36rocblas_hemvn_kernel_lower_block_sumILi64ElPK19rocblas_complex_numIfEPS1_S1_EviT1_lS5_lT2_lT0_lPT3_i
	.p2align	8
	.type	_ZL36rocblas_hemvn_kernel_lower_block_sumILi64ElPK19rocblas_complex_numIfEPS1_S1_EviT1_lS5_lT2_lT0_lPT3_i,@function
_ZL36rocblas_hemvn_kernel_lower_block_sumILi64ElPK19rocblas_complex_numIfEPS1_S1_EviT1_lS5_lT2_lT0_lPT3_i: ; @_ZL36rocblas_hemvn_kernel_lower_block_sumILi64ElPK19rocblas_complex_numIfEPS1_S1_EviT1_lS5_lT2_lT0_lPT3_i
; %bb.0:
	s_load_b32 s3, s[0:1], 0x50
	s_bfe_u32 s2, ttmp6, 0x40014
	s_lshr_b32 s4, ttmp7, 16
	s_add_co_i32 s2, s2, 1
	s_bfe_u32 s6, ttmp6, 0x40008
	s_mul_i32 s5, s4, s2
	s_getreg_b32 s2, hwreg(HW_REG_IB_STS2, 6, 4)
	s_add_co_i32 s6, s6, s5
	s_cmp_eq_u32 s2, 0
	s_mov_b32 s21, 0
	s_cselect_b32 s20, s4, s6
	s_wait_kmcnt 0x0
	s_cmp_ge_u32 s20, s3
	s_cbranch_scc1 .LBB9_21
; %bb.1:
	s_clause 0x1
	s_load_b256 s[4:11], s[0:1], 0x30
	s_load_b32 s22, s[0:1], 0x0
	s_bfe_u32 s12, ttmp6, 0x4000c
	s_and_b32 s13, ttmp6, 15
	s_add_co_i32 s12, s12, 1
	s_delay_alu instid0(SALU_CYCLE_1) | instskip(NEXT) | instid1(SALU_CYCLE_1)
	s_mul_i32 s12, ttmp9, s12
	s_add_co_i32 s13, s13, s12
	s_wait_kmcnt 0x0
	s_lshl_b64 s[4:5], s[4:5], 3
	s_cmp_eq_u32 s2, 0
	s_cselect_b32 s28, ttmp9, s13
	s_load_b256 s[12:19], s[0:1], 0x8
	v_lshl_or_b32 v2, s28, 6, v0
	s_ashr_i32 s23, s22, 31
	s_delay_alu instid0(VALU_DEP_1) | instskip(SKIP_2) | instid1(VALU_DEP_3)
	v_mad_u32 v4, s22, s28, v2
	v_ashrrev_i32_e32 v3, 31, v2
	v_cmp_gt_i32_e64 s2, s22, v2
	v_ashrrev_i32_e32 v5, 31, v4
	s_delay_alu instid0(VALU_DEP_3)
	v_mul_u64_e32 v[0:1], s[6:7], v[2:3]
	s_load_b64 s[6:7], s[0:1], 0x28
	s_wait_xcnt 0x0
	s_add_nc_u64 s[0:1], s[0:1], 0x58
	v_lshl_add_u64 v[2:3], v[4:5], 3, s[10:11]
	s_wait_kmcnt 0x0
	s_add_nc_u64 s[4:5], s[6:7], s[4:5]
	s_lshl_b64 s[6:7], s[22:23], 3
	s_branch .LBB9_5
.LBB9_2:                                ;   in Loop: Header=BB9_5 Depth=1
	global_store_b64 v[6:7], v[8:9], off
.LBB9_3:                                ;   in Loop: Header=BB9_5 Depth=1
	s_wait_xcnt 0x0
	s_or_b32 exec_lo, exec_lo, s29
.LBB9_4:                                ;   in Loop: Header=BB9_5 Depth=1
	s_add_co_i32 s20, s20, 0x10000
	s_delay_alu instid0(SALU_CYCLE_1)
	s_cmp_lt_u32 s20, s3
	s_cbranch_scc0 .LBB9_21
.LBB9_5:                                ; =>This Loop Header: Depth=1
                                        ;     Child Loop BB9_16 Depth 2
	s_mul_u64 s[10:11], s[14:15], s[20:21]
	s_delay_alu instid0(SALU_CYCLE_1) | instskip(NEXT) | instid1(SALU_CYCLE_1)
	s_lshl_b64 s[10:11], s[10:11], 3
	s_add_nc_u64 s[22:23], s[12:13], s[10:11]
	s_load_b64 s[10:11], s[22:23], 0x0
	s_wait_xcnt 0x0
	s_mul_u64 s[22:23], s[18:19], s[20:21]
	s_delay_alu instid0(SALU_CYCLE_1) | instskip(NEXT) | instid1(SALU_CYCLE_1)
	s_lshl_b64 s[22:23], s[22:23], 3
	s_add_nc_u64 s[24:25], s[16:17], s[22:23]
	s_load_b64 s[22:23], s[24:25], 0x0
	s_wait_kmcnt 0x0
	s_wait_xcnt 0x0
	s_or_b32 s24, s10, s11
	s_delay_alu instid0(SALU_CYCLE_1) | instskip(NEXT) | instid1(SALU_CYCLE_1)
	s_bitset0_b32 s24, 31
	s_cmp_eq_u32 s24, 0
	s_cselect_b32 s26, -1, 0
	s_cmp_eq_f32 s22, 1.0
	s_cselect_b32 s24, -1, 0
	s_cmp_eq_f32 s23, 0
	s_cselect_b32 s25, -1, 0
	s_delay_alu instid0(SALU_CYCLE_1) | instskip(NEXT) | instid1(SALU_CYCLE_1)
	s_and_b32 s24, s24, s25
	s_and_b32 s24, s26, s24
	s_delay_alu instid0(SALU_CYCLE_1)
	s_and_b32 vcc_lo, exec_lo, s24
	s_cbranch_vccnz .LBB9_4
; %bb.6:                                ;   in Loop: Header=BB9_5 Depth=1
	s_mul_u64 s[24:25], s[8:9], s[20:21]
	s_and_not1_b32 vcc_lo, exec_lo, s26
	s_lshl_b64 s[24:25], s[24:25], 3
	s_mov_b32 s26, -1
	s_add_nc_u64 s[24:25], s[4:5], s[24:25]
	s_cbranch_vccnz .LBB9_12
; %bb.7:                                ;   in Loop: Header=BB9_5 Depth=1
	s_and_saveexec_b32 s26, s2
	s_cbranch_execz .LBB9_11
; %bb.8:                                ;   in Loop: Header=BB9_5 Depth=1
	s_cmp_neq_f32 s22, 0
	v_dual_mov_b32 v4, 0 :: v_dual_mov_b32 v5, 0
	s_cselect_b32 s27, -1, 0
	s_cmp_neq_f32 s23, 0
	s_cselect_b32 s29, -1, 0
	s_delay_alu instid0(SALU_CYCLE_1) | instskip(NEXT) | instid1(SALU_CYCLE_1)
	s_or_b32 s27, s27, s29
	s_and_not1_b32 vcc_lo, exec_lo, s27
	s_cbranch_vccnz .LBB9_10
; %bb.9:                                ;   in Loop: Header=BB9_5 Depth=1
	v_lshl_add_u64 v[4:5], v[0:1], 3, s[24:25]
	v_mov_b64_e32 v[6:7], s[22:23]
	global_load_b64 v[4:5], v[4:5], off
	s_wait_loadcnt 0x0
	v_pk_mul_f32 v[8:9], v[4:5], v[6:7] op_sel:[1,1] op_sel_hi:[1,0]
	s_delay_alu instid0(VALU_DEP_1) | instskip(SKIP_2) | instid1(VALU_DEP_2)
	v_pk_fma_f32 v[10:11], v[4:5], v[6:7], v[8:9] op_sel_hi:[0,1,1]
	s_wait_xcnt 0x0
	v_pk_fma_f32 v[4:5], v[4:5], v[6:7], v[8:9] neg_lo:[0,0,1] neg_hi:[0,0,1]
	v_mov_b32_e32 v5, v11
.LBB9_10:                               ;   in Loop: Header=BB9_5 Depth=1
	v_lshl_add_u64 v[6:7], v[0:1], 3, s[24:25]
	global_store_b64 v[6:7], v[4:5], off
.LBB9_11:                               ;   in Loop: Header=BB9_5 Depth=1
	s_wait_xcnt 0x0
	s_or_b32 exec_lo, exec_lo, s26
	s_mov_b32 s26, 0
.LBB9_12:                               ;   in Loop: Header=BB9_5 Depth=1
	s_delay_alu instid0(SALU_CYCLE_1)
	s_and_not1_b32 vcc_lo, exec_lo, s26
	s_cbranch_vccnz .LBB9_4
; %bb.13:                               ;   in Loop: Header=BB9_5 Depth=1
	s_and_saveexec_b32 s29, s2
	s_cbranch_execz .LBB9_3
; %bb.14:                               ;   in Loop: Header=BB9_5 Depth=1
	s_load_b32 s26, s[0:1], 0x0
	v_mov_b32_e32 v5, 0
	s_delay_alu instid0(VALU_DEP_1)
	v_mov_b32_e32 v4, v5
	s_wait_kmcnt 0x0
	s_cmp_ge_i32 s28, s26
	s_cbranch_scc1 .LBB9_17
; %bb.15:                               ;   in Loop: Header=BB9_5 Depth=1
	s_mov_b32 s27, s21
	v_mov_b32_e32 v4, 0
	s_mul_u64 s[30:31], s[6:7], s[26:27]
	s_mov_b32 s27, s28
	v_mad_nc_u64_u32 v[6:7], s30, s20, v[2:3]
	s_delay_alu instid0(VALU_DEP_2) | instskip(NEXT) | instid1(VALU_DEP_2)
	v_mov_b32_e32 v5, v4
	v_mad_u32 v7, s31, s20, v7
.LBB9_16:                               ;   Parent Loop BB9_5 Depth=1
                                        ; =>  This Inner Loop Header: Depth=2
	global_load_b64 v[8:9], v[6:7], off
	s_wait_xcnt 0x0
	v_add_nc_u64_e32 v[6:7], s[6:7], v[6:7]
	s_add_co_i32 s27, s27, 1
	s_delay_alu instid0(SALU_CYCLE_1)
	s_cmp_ge_i32 s27, s26
	s_wait_loadcnt 0x0
	v_pk_add_f32 v[4:5], v[4:5], v[8:9]
	s_cbranch_scc0 .LBB9_16
.LBB9_17:                               ;   in Loop: Header=BB9_5 Depth=1
	s_cmp_neq_f32 s22, 0
                                        ; implicit-def: $vgpr9
	s_cselect_b32 s26, -1, 0
	s_cmp_neq_f32 s23, 0
	s_cselect_b32 s27, -1, 0
	s_delay_alu instid0(SALU_CYCLE_1) | instskip(NEXT) | instid1(SALU_CYCLE_1)
	s_or_b32 s26, s26, s27
	s_and_not1_b32 vcc_lo, exec_lo, s26
	s_mov_b32 s26, -1
	s_cbranch_vccz .LBB9_19
; %bb.18:                               ;   in Loop: Header=BB9_5 Depth=1
	v_mov_b64_e32 v[6:7], s[10:11]
	s_mov_b32 s26, 0
	s_delay_alu instid0(VALU_DEP_1) | instskip(SKIP_1) | instid1(VALU_DEP_2)
	v_pk_mul_f32 v[10:11], v[4:5], v[6:7] op_sel:[1,1] op_sel_hi:[1,0]
	v_pk_mul_f32 v[12:13], v[4:5], v[6:7] op_sel_hi:[0,1]
	v_pk_fma_f32 v[8:9], v[4:5], v[6:7], v[10:11] op_sel_hi:[0,1,1]
	s_delay_alu instid0(VALU_DEP_2)
	v_sub_f32_e32 v8, v12, v10
.LBB9_19:                               ;   in Loop: Header=BB9_5 Depth=1
	v_lshl_add_u64 v[6:7], v[0:1], 3, s[24:25]
	s_and_not1_b32 vcc_lo, exec_lo, s26
	s_cbranch_vccnz .LBB9_2
; %bb.20:                               ;   in Loop: Header=BB9_5 Depth=1
	global_load_b64 v[8:9], v[6:7], off
	v_mov_b64_e32 v[10:11], s[22:23]
	v_mov_b64_e32 v[12:13], s[10:11]
	s_delay_alu instid0(VALU_DEP_1) | instskip(NEXT) | instid1(VALU_DEP_1)
	v_pk_mul_f32 v[16:17], v[4:5], v[12:13] op_sel:[1,1] op_sel_hi:[1,0]
	v_pk_fma_f32 v[20:21], v[4:5], v[12:13], v[16:17] op_sel_hi:[0,1,1]
	v_pk_fma_f32 v[4:5], v[4:5], v[12:13], v[16:17] neg_lo:[0,0,1] neg_hi:[0,0,1]
	s_delay_alu instid0(VALU_DEP_2) | instskip(SKIP_2) | instid1(VALU_DEP_1)
	v_mov_b32_e32 v5, v21
	s_wait_loadcnt 0x0
	v_pk_mul_f32 v[14:15], v[8:9], v[10:11] op_sel:[1,1] op_sel_hi:[1,0]
	v_pk_fma_f32 v[18:19], v[8:9], v[10:11], v[14:15] op_sel_hi:[0,1,1]
	v_pk_fma_f32 v[8:9], v[8:9], v[10:11], v[14:15] neg_lo:[0,0,1] neg_hi:[0,0,1]
	s_delay_alu instid0(VALU_DEP_2) | instskip(NEXT) | instid1(VALU_DEP_1)
	v_mov_b32_e32 v9, v19
	v_pk_add_f32 v[8:9], v[4:5], v[8:9]
	s_branch .LBB9_2
.LBB9_21:
	s_endpgm
	.section	.rodata,"a",@progbits
	.p2align	6, 0x0
	.amdhsa_kernel _ZL36rocblas_hemvn_kernel_lower_block_sumILi64ElPK19rocblas_complex_numIfEPS1_S1_EviT1_lS5_lT2_lT0_lPT3_i
		.amdhsa_group_segment_fixed_size 0
		.amdhsa_private_segment_fixed_size 0
		.amdhsa_kernarg_size 344
		.amdhsa_user_sgpr_count 2
		.amdhsa_user_sgpr_dispatch_ptr 0
		.amdhsa_user_sgpr_queue_ptr 0
		.amdhsa_user_sgpr_kernarg_segment_ptr 1
		.amdhsa_user_sgpr_dispatch_id 0
		.amdhsa_user_sgpr_kernarg_preload_length 0
		.amdhsa_user_sgpr_kernarg_preload_offset 0
		.amdhsa_user_sgpr_private_segment_size 0
		.amdhsa_wavefront_size32 1
		.amdhsa_uses_dynamic_stack 0
		.amdhsa_enable_private_segment 0
		.amdhsa_system_sgpr_workgroup_id_x 1
		.amdhsa_system_sgpr_workgroup_id_y 0
		.amdhsa_system_sgpr_workgroup_id_z 1
		.amdhsa_system_sgpr_workgroup_info 0
		.amdhsa_system_vgpr_workitem_id 0
		.amdhsa_next_free_vgpr 22
		.amdhsa_next_free_sgpr 32
		.amdhsa_named_barrier_count 0
		.amdhsa_reserve_vcc 1
		.amdhsa_float_round_mode_32 0
		.amdhsa_float_round_mode_16_64 0
		.amdhsa_float_denorm_mode_32 3
		.amdhsa_float_denorm_mode_16_64 3
		.amdhsa_fp16_overflow 0
		.amdhsa_memory_ordered 1
		.amdhsa_forward_progress 1
		.amdhsa_inst_pref_size 8
		.amdhsa_round_robin_scheduling 0
		.amdhsa_exception_fp_ieee_invalid_op 0
		.amdhsa_exception_fp_denorm_src 0
		.amdhsa_exception_fp_ieee_div_zero 0
		.amdhsa_exception_fp_ieee_overflow 0
		.amdhsa_exception_fp_ieee_underflow 0
		.amdhsa_exception_fp_ieee_inexact 0
		.amdhsa_exception_int_div_zero 0
	.end_amdhsa_kernel
	.section	.text._ZL36rocblas_hemvn_kernel_lower_block_sumILi64ElPK19rocblas_complex_numIfEPS1_S1_EviT1_lS5_lT2_lT0_lPT3_i,"axG",@progbits,_ZL36rocblas_hemvn_kernel_lower_block_sumILi64ElPK19rocblas_complex_numIfEPS1_S1_EviT1_lS5_lT2_lT0_lPT3_i,comdat
.Lfunc_end9:
	.size	_ZL36rocblas_hemvn_kernel_lower_block_sumILi64ElPK19rocblas_complex_numIfEPS1_S1_EviT1_lS5_lT2_lT0_lPT3_i, .Lfunc_end9-_ZL36rocblas_hemvn_kernel_lower_block_sumILi64ElPK19rocblas_complex_numIfEPS1_S1_EviT1_lS5_lT2_lT0_lPT3_i
                                        ; -- End function
	.set _ZL36rocblas_hemvn_kernel_lower_block_sumILi64ElPK19rocblas_complex_numIfEPS1_S1_EviT1_lS5_lT2_lT0_lPT3_i.num_vgpr, 22
	.set _ZL36rocblas_hemvn_kernel_lower_block_sumILi64ElPK19rocblas_complex_numIfEPS1_S1_EviT1_lS5_lT2_lT0_lPT3_i.num_agpr, 0
	.set _ZL36rocblas_hemvn_kernel_lower_block_sumILi64ElPK19rocblas_complex_numIfEPS1_S1_EviT1_lS5_lT2_lT0_lPT3_i.numbered_sgpr, 32
	.set _ZL36rocblas_hemvn_kernel_lower_block_sumILi64ElPK19rocblas_complex_numIfEPS1_S1_EviT1_lS5_lT2_lT0_lPT3_i.num_named_barrier, 0
	.set _ZL36rocblas_hemvn_kernel_lower_block_sumILi64ElPK19rocblas_complex_numIfEPS1_S1_EviT1_lS5_lT2_lT0_lPT3_i.private_seg_size, 0
	.set _ZL36rocblas_hemvn_kernel_lower_block_sumILi64ElPK19rocblas_complex_numIfEPS1_S1_EviT1_lS5_lT2_lT0_lPT3_i.uses_vcc, 1
	.set _ZL36rocblas_hemvn_kernel_lower_block_sumILi64ElPK19rocblas_complex_numIfEPS1_S1_EviT1_lS5_lT2_lT0_lPT3_i.uses_flat_scratch, 0
	.set _ZL36rocblas_hemvn_kernel_lower_block_sumILi64ElPK19rocblas_complex_numIfEPS1_S1_EviT1_lS5_lT2_lT0_lPT3_i.has_dyn_sized_stack, 0
	.set _ZL36rocblas_hemvn_kernel_lower_block_sumILi64ElPK19rocblas_complex_numIfEPS1_S1_EviT1_lS5_lT2_lT0_lPT3_i.has_recursion, 0
	.set _ZL36rocblas_hemvn_kernel_lower_block_sumILi64ElPK19rocblas_complex_numIfEPS1_S1_EviT1_lS5_lT2_lT0_lPT3_i.has_indirect_call, 0
	.section	.AMDGPU.csdata,"",@progbits
; Kernel info:
; codeLenInByte = 904
; TotalNumSgprs: 34
; NumVgprs: 22
; ScratchSize: 0
; MemoryBound: 0
; FloatMode: 240
; IeeeMode: 1
; LDSByteSize: 0 bytes/workgroup (compile time only)
; SGPRBlocks: 0
; VGPRBlocks: 1
; NumSGPRsForWavesPerEU: 34
; NumVGPRsForWavesPerEU: 22
; NamedBarCnt: 0
; Occupancy: 16
; WaveLimiterHint : 0
; COMPUTE_PGM_RSRC2:SCRATCH_EN: 0
; COMPUTE_PGM_RSRC2:USER_SGPR: 2
; COMPUTE_PGM_RSRC2:TRAP_HANDLER: 0
; COMPUTE_PGM_RSRC2:TGID_X_EN: 1
; COMPUTE_PGM_RSRC2:TGID_Y_EN: 0
; COMPUTE_PGM_RSRC2:TGID_Z_EN: 1
; COMPUTE_PGM_RSRC2:TIDIG_COMP_CNT: 0
	.section	.text._ZL26rocblas_hemvn_kernel_lowerILb1ELi64ELi4ELi33ELi32ELi16EiPK19rocblas_complex_numIfES3_PS1_EviT6_lT7_lT5_lS6_lS7_lS5_lT8_i,"axG",@progbits,_ZL26rocblas_hemvn_kernel_lowerILb1ELi64ELi4ELi33ELi32ELi16EiPK19rocblas_complex_numIfES3_PS1_EviT6_lT7_lT5_lS6_lS7_lS5_lT8_i,comdat
	.globl	_ZL26rocblas_hemvn_kernel_lowerILb1ELi64ELi4ELi33ELi32ELi16EiPK19rocblas_complex_numIfES3_PS1_EviT6_lT7_lT5_lS6_lS7_lS5_lT8_i ; -- Begin function _ZL26rocblas_hemvn_kernel_lowerILb1ELi64ELi4ELi33ELi32ELi16EiPK19rocblas_complex_numIfES3_PS1_EviT6_lT7_lT5_lS6_lS7_lS5_lT8_i
	.p2align	8
	.type	_ZL26rocblas_hemvn_kernel_lowerILb1ELi64ELi4ELi33ELi32ELi16EiPK19rocblas_complex_numIfES3_PS1_EviT6_lT7_lT5_lS6_lS7_lS5_lT8_i,@function
_ZL26rocblas_hemvn_kernel_lowerILb1ELi64ELi4ELi33ELi32ELi16EiPK19rocblas_complex_numIfES3_PS1_EviT6_lT7_lT5_lS6_lS7_lS5_lT8_i: ; @_ZL26rocblas_hemvn_kernel_lowerILb1ELi64ELi4ELi33ELi32ELi16EiPK19rocblas_complex_numIfES3_PS1_EviT6_lT7_lT5_lS6_lS7_lS5_lT8_i
; %bb.0:
	s_clause 0x1
	s_load_b64 s[2:3], s[0:1], 0x84
	s_load_b32 s33, s[0:1], 0x70
	s_bfe_u32 s4, ttmp6, 0x40014
	s_lshr_b32 s5, ttmp7, 16
	s_add_co_i32 s4, s4, 1
	s_bfe_u32 s6, ttmp6, 0x40008
	s_mul_i32 s7, s5, s4
	s_getreg_b32 s4, hwreg(HW_REG_IB_STS2, 6, 4)
	s_add_co_i32 s6, s6, s7
	s_mov_b32 s27, 0
	s_wait_kmcnt 0x0
	s_lshr_b32 s7, s2, 16
	s_and_b32 s2, s2, 0xffff
	s_and_b32 s3, s3, 0xffff
	s_mul_i32 s2, s7, s2
	s_cmp_eq_u32 s4, 0
	s_mul_i32 s2, s2, s3
	s_cselect_b32 s26, s5, s6
	s_cmp_lg_u32 s2, 0x100
	s_cselect_b32 s2, -1, 0
	s_cmp_ge_u32 s26, s33
	s_cselect_b32 s3, -1, 0
	s_delay_alu instid0(SALU_CYCLE_1) | instskip(NEXT) | instid1(SALU_CYCLE_1)
	s_or_b32 s2, s2, s3
	s_and_b32 vcc_lo, exec_lo, s2
	s_cbranch_vccnz .LBB10_114
; %bb.1:
	s_clause 0x5
	s_load_b32 s2, s[0:1], 0x0
	s_load_b32 s24, s[0:1], 0x28
	s_load_b256 s[36:43], s[0:1], 0x8
	s_load_b128 s[28:31], s[0:1], 0x30
	s_load_b96 s[20:22], s[0:1], 0x40
	s_load_b256 s[44:51], s[0:1], 0x50
	s_add_nc_u64 s[6:7], s[0:1], 0x78
	s_wait_xcnt 0x0
	s_bfe_u32 s0, ttmp6, 0x4000c
	s_load_b32 s8, s[6:7], 0x0
	s_add_co_i32 s0, s0, 1
	s_and_b32 s1, ttmp6, 15
	s_mul_i32 s3, ttmp9, s0
	v_and_b32_e32 v32, 0x3ff, v0
	s_add_co_i32 s1, s1, s3
	v_bfe_u32 v1, v0, 10, 10
	s_mov_b32 s9, s27
                                        ; implicit-def: $vgpr140 : SGPR spill to VGPR lane
	v_mov_b64_e32 v[50:51], 0
	s_mov_b64 s[94:95], 0xfffffffffffffef8
	v_mov_b32_e32 v35, 0
	v_lshl_add_u32 v6, v1, 6, v32
	v_and_b32_e32 v34, 31, v0
	v_cmp_eq_u32_e64 s0, 0, v1
	v_lshl_add_u32 v101, v1, 5, 0x2180
	s_wait_kmcnt 0x0
	s_ashr_i32 s3, s2, 31
	s_ashr_i32 s25, s24, 31
	s_cmp_eq_u32 s4, 0
	v_lshrrev_b32_e32 v7, 5, v6
	s_cselect_b32 s102, ttmp9, s1
	s_lshr_b32 s1, s3, 26
	s_lshl_b32 s56, s102, 6
	s_delay_alu instid0(SALU_CYCLE_1)
	v_dual_lshlrev_b32 v90, 3, v32 :: v_dual_add_nc_u32 v36, s56, v32
	s_add_co_i32 s1, s2, s1
	s_add_co_i32 s10, s8, -1
	s_and_not1_b32 s1, s1, 63
	v_mad_u32 v4, s24, v7, v34
	v_mul_lo_u32 v2, s22, v36
	s_lshl_b64 s[4:5], s[20:21], 3
	s_lshl_b64 s[6:7], s[42:43], 3
	s_sub_co_i32 s1, s2, s1
	s_cmp_eq_u32 s102, s10
	s_add_nc_u64 s[4:5], s[30:31], s[4:5]
	s_cselect_b32 s34, s1, 0
	s_add_nc_u64 s[6:7], s[40:41], s[6:7]
	s_cmp_eq_u32 s34, 0
	s_mul_i32 s58, s24, s56
	s_cselect_b32 s103, -1, 0
	v_dual_ashrrev_i32 v3, 31, v2 :: v_dual_ashrrev_i32 v5, 31, v4
	s_cmp_lg_u32 s34, 0
	v_dual_add_nc_u32 v10, 24, v7 :: v_dual_lshlrev_b32 v11, 2, v7
	s_cselect_b32 s1, -1, 0
	s_ashr_i32 s57, s56, 31
	v_lshl_add_u64 v[38:39], v[2:3], 3, s[4:5]
	s_lshl_b64 s[4:5], s[56:57], 3
	s_ashr_i32 s59, s58, 31
	s_add_nc_u64 s[4:5], s[6:7], s[4:5]
	v_and_b32_e32 v13, 0x7fe0, v6
	v_lshl_add_u64 v[2:3], v[4:5], 3, s[4:5]
	v_mul_u32_u24_e32 v16, 33, v34
	s_sub_co_i32 s17, s34, 32
	v_dual_add_nc_u32 v8, 8, v7 :: v_dual_add_nc_u32 v9, 16, v7
	s_delay_alu instid0(VALU_DEP_3)
	v_lshl_add_u64 v[40:41], s[58:59], 3, v[2:3]
	v_lshlrev_b32_e32 v2, 3, v34
	v_cmp_gt_i32_e64 s18, s17, v7
	s_mul_u64 s[30:31], s[8:9], s[2:3]
	s_mul_i32 s2, s2, s102
	v_cmp_gt_i32_e64 s4, s34, v8
	v_lshl_or_b32 v12, v34, 8, v2
	v_or_b32_e32 v14, 1, v11
	v_writelane_b32 v140, s18, 0
	v_cmp_gt_i32_e64 s18, s17, v8
	v_mul_lo_u32 v8, v1, s24
	v_dual_add_nc_u32 v93, v12, v13 :: v_dual_bitop2_b32 v12, 2, v11 bitop3:0x54
	v_lshlrev_b32_e32 v96, 3, v16
	s_ashr_i32 s3, s2, 31
	v_mul_u32_u24_e32 v3, 0x108, v7
	s_delay_alu instid0(VALU_DEP_3)
	v_add_nc_u32_e32 v94, 8, v93
	v_cmp_ge_u32_e64 s11, v12, v34
	v_cmp_eq_u32_e64 s12, v12, v34
	v_dual_lshlrev_b32 v12, 3, v7 :: v_dual_add_nc_u32 v97, 24, v93
	s_lshl_b64 s[2:3], s[2:3], 3
	v_cmp_gt_i32_e64 s5, s34, v9
	s_add_nc_u64 s[40:41], s[50:51], s[2:3]
	v_add_nc_u32_e32 v99, v96, v12
	v_cmp_gt_i32_e64 s3, s34, v7
	v_mul_u32_u24_e32 v15, 0x420, v7
	v_cmp_gt_i32_e64 s19, s17, v9
	v_cmp_eq_u32_e64 s21, 1, v7
	v_mul_i32_i24_e32 v9, 0xffffffe8, v7
	v_mad_u32_u24 v100, v7, 24, v99
	v_lshrrev_b32_e32 v7, 4, v6
	v_cmp_le_i32_e32 vcc_lo, s34, v32
	v_cmp_ge_u32_e64 s7, v11, v34
	v_cmp_eq_u32_e64 s8, v11, v34
	v_dual_add_nc_u32 v95, 16, v93 :: v_dual_bitop2_b32 v11, 3, v11 bitop3:0x54
	v_lshl_add_u32 v44, v8, 2, v32
	v_and_b32_e32 v8, 15, v0
	v_sub_nc_u64_e32 v[46:47], 0, v[4:5]
	v_dual_lshlrev_b32 v4, 5, v7 :: v_dual_bitop2_b32 v0, 48, v0 bitop3:0x40
	v_dual_mov_b32 v33, v35 :: v_dual_add_nc_u32 v98, 0x2380, v13
	s_and_b32 s1, s1, vcc_lo
	s_lshl_b32 s42, s24, 3
	s_lshl_b32 s50, s24, 4
	s_mul_i32 s52, s24, 24
	v_cmp_ge_u32_e64 s9, v14, v34
	v_cmp_eq_u32_e64 s10, v14, v34
	v_mul_u32_u24_e32 v14, 0x108, v14
	v_cmp_ge_u32_e64 s13, v11, v34
	v_cmp_eq_u32_e64 s14, v11, v34
	v_dual_ashrrev_i32 v45, 31, v44 :: v_dual_bitop2_b32 v11, 32, v34 bitop3:0x54
	s_lshl_b32 s54, s24, 5
	s_mul_i32 s56, s22, s56
	v_dual_lshlrev_b32 v0, 3, v0 :: v_dual_add_nc_u32 v108, v2, v3
	v_or_b32_e32 v5, 0x78, v90
	v_mad_u32_u24 v103, 0x218, v8, v4
	v_mul_i32_i24_e32 v4, 0xffffffe8, v7
	s_ashr_i32 s43, s42, 31
	s_ashr_i32 s51, s50, 31
	;; [unrolled: 1-line block ×5, first 2 shown]
	v_cmp_gt_i32_e64 s20, s17, v10
	s_xor_b32 s17, s1, -1
	s_ashr_i32 s57, s56, 31
	v_sub_nc_u64_e32 v[42:43], 0, v[34:35]
	s_cmp_gt_i32 s102, 0
	v_sub_nc_u64_e32 v[48:49], 0, v[32:33]
	v_add_nc_u32_e32 v91, 0x2380, v90
	v_cmp_gt_i32_e64 s2, s34, v34
	v_cmp_gt_i32_e64 s6, s34, v10
	v_mad_u32_u24 v92, 0x108, v34, v2
	v_cmp_gt_u32_e64 s15, 32, v6
	v_cmp_gt_i32_e64 s16, s34, v11
	s_cselect_b32 s104, -1, 0
	s_lshl_b32 vcc_hi, s22, 6
	v_add_nc_u32_e32 v33, 0x2180, v90
	v_mad_u32_u24 v102, 0x860, v1, v90
	v_mad_u32_u24 v104, 0x218, v8, v0
	;; [unrolled: 1-line block ×4, first 2 shown]
	v_dual_ashrrev_i32 v37, 31, v36 :: v_dual_add_nc_u32 v109, v2, v15
	v_add_nc_u32_e32 v107, 0x2380, v12
	v_dual_add_nc_u32 v110, v2, v14 :: v_dual_add_nc_u32 v112, v103, v4
	v_dual_add_nc_u32 v111, v98, v9 :: v_dual_lshlrev_b32 v34, 3, v34
	v_cmp_gt_u32_e64 s22, 64, v6
	s_sub_nc_u64 s[56:57], 0, s[56:57]
	s_sub_nc_u64 s[58:59], 0, s[58:59]
	s_and_b32 s17, s0, s17
	s_lshl_b64 s[60:61], s[24:25], 6
	s_lshl_b64 s[62:63], s[24:25], 3
	;; [unrolled: 1-line block ×4, first 2 shown]
	s_mul_u64 s[68:69], s[24:25], 24
	s_mul_u64 s[70:71], s[24:25], 0x90
	;; [unrolled: 1-line block ×10, first 2 shown]
	s_lshl_b64 s[88:89], s[24:25], 8
	s_mul_u64 s[90:91], s[24:25], 0x88
	s_lshl_b64 s[92:93], s[24:25], 7
	s_sub_nc_u64 s[96:97], 0, s[54:55]
	s_sub_nc_u64 s[98:99], 0, s[34:35]
	s_branch .LBB10_4
.LBB10_2:                               ;   in Loop: Header=BB10_4 Depth=1
	s_wait_xcnt 0x0
	s_or_b32 exec_lo, exec_lo, s23
.LBB10_3:                               ;   in Loop: Header=BB10_4 Depth=1
	s_add_co_i32 s26, s26, 0x10000
	s_delay_alu instid0(SALU_CYCLE_1)
	s_cmp_lt_u32 s26, s33
	s_cbranch_scc0 .LBB10_114
.LBB10_4:                               ; =>This Loop Header: Depth=1
                                        ;     Child Loop BB10_108 Depth 2
	s_mul_u64 s[24:25], s[38:39], s[26:27]
	s_delay_alu instid0(SALU_CYCLE_1) | instskip(NEXT) | instid1(SALU_CYCLE_1)
	s_lshl_b64 s[24:25], s[24:25], 3
	s_add_nc_u64 s[24:25], s[36:37], s[24:25]
	global_load_b64 v[0:1], v35, s[24:25]
	s_wait_xcnt 0x0
	s_mov_b32 s24, -1
	s_wait_loadcnt 0x0
	v_or_b32_e32 v0, v0, v1
	s_delay_alu instid0(VALU_DEP_1) | instskip(NEXT) | instid1(VALU_DEP_1)
	v_and_b32_e32 v0, 0x7fffffff, v0
	v_cmp_ne_u32_e64 s23, 0, v0
	s_and_b32 vcc_lo, exec_lo, s23
	s_cbranch_vccnz .LBB10_6
; %bb.5:                                ;   in Loop: Header=BB10_4 Depth=1
	s_mul_u64 s[24:25], s[48:49], s[26:27]
	s_delay_alu instid0(SALU_CYCLE_1) | instskip(NEXT) | instid1(SALU_CYCLE_1)
	s_lshl_b64 s[24:25], s[24:25], 3
	s_add_nc_u64 s[24:25], s[46:47], s[24:25]
	global_load_b64 v[0:1], v35, s[24:25]
	s_wait_loadcnt 0x0
	v_cmp_neq_f32_e32 vcc_lo, 1.0, v0
	s_wait_xcnt 0x0
	v_cmp_neq_f32_e64 s24, 0, v1
	s_or_b32 s24, vcc_lo, s24
.LBB10_6:                               ;   in Loop: Header=BB10_4 Depth=1
	s_delay_alu instid0(SALU_CYCLE_1)
	s_and_not1_b32 vcc_lo, exec_lo, s24
	s_cbranch_vccnz .LBB10_3
; %bb.7:                                ;   in Loop: Header=BB10_4 Depth=1
	s_and_not1_b32 vcc_lo, exec_lo, s23
	s_cbranch_vccnz .LBB10_3
; %bb.8:                                ;   in Loop: Header=BB10_4 Depth=1
	s_mul_u64 s[24:25], s[44:45], s[26:27]
	s_delay_alu instid0(SALU_CYCLE_1)
	v_lshl_add_u64 v[16:17], s[24:25], 3, v[38:39]
	s_and_saveexec_b32 s23, s0
	s_cbranch_execz .LBB10_13
; %bb.9:                                ;   in Loop: Header=BB10_4 Depth=1
	s_and_saveexec_b32 s24, s1
	s_delay_alu instid0(SALU_CYCLE_1)
	s_xor_b32 s24, exec_lo, s24
; %bb.10:                               ;   in Loop: Header=BB10_4 Depth=1
	ds_store_b64 v91, v[50:51]
; %bb.11:                               ;   in Loop: Header=BB10_4 Depth=1
	s_and_not1_saveexec_b32 s24, s24
	s_cbranch_execz .LBB10_13
; %bb.12:                               ;   in Loop: Header=BB10_4 Depth=1
	global_load_b64 v[0:1], v[16:17], off
	s_wait_loadcnt 0x0
	ds_store_b64 v91, v[0:1]
.LBB10_13:                              ;   in Loop: Header=BB10_4 Depth=1
	s_wait_xcnt 0x0
	s_or_b32 exec_lo, exec_lo, s23
	s_mul_u64 s[24:25], s[28:29], s[26:27]
	s_and_not1_b32 vcc_lo, exec_lo, s103
	v_lshl_add_u64 v[0:1], s[24:25], 3, v[40:41]
	s_mov_b32 s23, -1
	s_cbranch_vccnz .LBB10_15
; %bb.14:                               ;   in Loop: Header=BB10_4 Depth=1
	s_delay_alu instid0(VALU_DEP_1) | instskip(SKIP_1) | instid1(VALU_DEP_1)
	v_lshl_add_u64 v[2:3], s[42:43], 3, v[0:1]
	s_mov_b32 s23, 0
	v_add_nc_u64_e32 v[4:5], s[60:61], v[2:3]
	s_delay_alu instid0(VALU_DEP_1)
	v_add_nc_u64_e32 v[6:7], s[60:61], v[4:5]
	s_clause 0x3
	global_load_b64 v[8:9], v[0:1], off
	global_load_b64 v[2:3], v[2:3], off
	;; [unrolled: 1-line block ×4, first 2 shown]
	s_wait_loadcnt 0x3
	ds_store_b64 v108, v[8:9]
	s_wait_loadcnt 0x2
	ds_store_b64 v108, v[2:3] offset:2112
	s_wait_loadcnt 0x1
	ds_store_b64 v108, v[4:5] offset:4224
	;; [unrolled: 2-line block ×3, first 2 shown]
.LBB10_15:                              ;   in Loop: Header=BB10_4 Depth=1
	s_and_not1_b32 vcc_lo, exec_lo, s23
	s_cbranch_vccnz .LBB10_25
; %bb.16:                               ;   in Loop: Header=BB10_4 Depth=1
	s_wait_xcnt 0x2
	v_lshl_add_u64 v[2:3], v[42:43], 3, v[0:1]
	s_wait_xcnt 0x0
	v_dual_mov_b32 v6, 0 :: v_dual_mov_b32 v4, 0
	v_mov_b32_e32 v5, 0
	s_delay_alu instid0(VALU_DEP_3) | instskip(NEXT) | instid1(VALU_DEP_1)
	v_lshl_add_u64 v[2:3], s[34:35], 3, v[2:3]
	v_add_nc_u64_e32 v[2:3], -8, v[2:3]
	s_delay_alu instid0(VALU_DEP_1)
	v_dual_cndmask_b32 v3, v3, v1, s2 :: v_dual_cndmask_b32 v2, v2, v0, s2
	s_and_saveexec_b32 s23, s3
	s_cbranch_execz .LBB10_18
; %bb.17:                               ;   in Loop: Header=BB10_4 Depth=1
	global_load_b64 v[4:5], v[2:3], off
.LBB10_18:                              ;   in Loop: Header=BB10_4 Depth=1
	s_wait_xcnt 0x0
	s_or_b32 exec_lo, exec_lo, s23
	v_mov_b32_e32 v7, 0
	s_wait_loadcnt 0x0
	ds_store_b64 v108, v[4:5]
	s_and_saveexec_b32 s23, s4
	s_cbranch_execz .LBB10_20
; %bb.19:                               ;   in Loop: Header=BB10_4 Depth=1
	v_lshl_add_u64 v[4:5], s[42:43], 3, v[2:3]
	global_load_b64 v[6:7], v[4:5], off
.LBB10_20:                              ;   in Loop: Header=BB10_4 Depth=1
	s_wait_xcnt 0x0
	s_or_b32 exec_lo, exec_lo, s23
	v_dual_mov_b32 v4, 0 :: v_dual_mov_b32 v8, 0
	v_mov_b32_e32 v9, 0
	s_wait_loadcnt 0x0
	ds_store_b64 v108, v[6:7] offset:2112
	s_and_saveexec_b32 s23, s5
	s_cbranch_execz .LBB10_22
; %bb.21:                               ;   in Loop: Header=BB10_4 Depth=1
	v_lshl_add_u64 v[6:7], s[50:51], 3, v[2:3]
	global_load_b64 v[8:9], v[6:7], off
.LBB10_22:                              ;   in Loop: Header=BB10_4 Depth=1
	s_wait_xcnt 0x0
	s_or_b32 exec_lo, exec_lo, s23
	v_mov_b32_e32 v5, 0
	s_wait_loadcnt 0x0
	ds_store_b64 v108, v[8:9] offset:4224
	s_and_saveexec_b32 s23, s6
	s_cbranch_execz .LBB10_24
; %bb.23:                               ;   in Loop: Header=BB10_4 Depth=1
	v_lshl_add_u64 v[4:5], s[52:53], 3, v[2:3]
	global_load_b64 v[4:5], v[4:5], off
.LBB10_24:                              ;   in Loop: Header=BB10_4 Depth=1
	s_wait_xcnt 0x0
	s_or_b32 exec_lo, exec_lo, s23
	v_add_nc_u64_e32 v[2:3], v[2:3], v[34:35]
	s_wait_loadcnt 0x0
	ds_store_b64 v108, v[4:5] offset:6336
	v_lshl_add_u64 v[2:3], s[98:99], 3, v[2:3]
	s_delay_alu instid0(VALU_DEP_1) | instskip(NEXT) | instid1(VALU_DEP_1)
	v_add_nc_u64_e32 v[2:3], 8, v[2:3]
	v_dual_cndmask_b32 v1, v3, v1, s2 :: v_dual_cndmask_b32 v0, v2, v0, s2
.LBB10_25:                              ;   in Loop: Header=BB10_4 Depth=1
	s_mov_b32 s23, 0
	s_wait_dscnt 0x0
	s_barrier_signal -1
	s_barrier_wait -1
	s_wait_xcnt 0x0
	s_and_saveexec_b32 s24, s7
	s_delay_alu instid0(SALU_CYCLE_1)
	s_xor_b32 s24, exec_lo, s24
; %bb.26:                               ;   in Loop: Header=BB10_4 Depth=1
	s_and_b32 s23, s8, exec_lo
; %bb.27:                               ;   in Loop: Header=BB10_4 Depth=1
	s_or_saveexec_b32 s24, s24
	v_dual_mov_b32 v2, 0 :: v_dual_mov_b32 v3, v92
	s_xor_b32 exec_lo, exec_lo, s24
	s_cbranch_execz .LBB10_29
; %bb.28:                               ;   in Loop: Header=BB10_4 Depth=1
	ds_load_b64 v[4:5], v109
	v_mov_b32_e32 v3, v93
	s_or_b32 s23, s23, exec_lo
	s_wait_dscnt 0x0
	v_xor_b32_e32 v2, 0x80000000, v5
	ds_store_b32 v93, v4
.LBB10_29:                              ;   in Loop: Header=BB10_4 Depth=1
	s_or_b32 exec_lo, exec_lo, s24
	s_and_saveexec_b32 s24, s23
; %bb.30:                               ;   in Loop: Header=BB10_4 Depth=1
	ds_store_b32 v3, v2 offset:4
; %bb.31:                               ;   in Loop: Header=BB10_4 Depth=1
	s_or_b32 exec_lo, exec_lo, s24
	s_mov_b32 s23, 0
	s_and_saveexec_b32 s24, s9
	s_delay_alu instid0(SALU_CYCLE_1)
	s_xor_b32 s24, exec_lo, s24
; %bb.32:                               ;   in Loop: Header=BB10_4 Depth=1
	s_and_b32 s23, s10, exec_lo
; %bb.33:                               ;   in Loop: Header=BB10_4 Depth=1
	s_or_saveexec_b32 s24, s24
	v_dual_mov_b32 v2, 0 :: v_dual_mov_b32 v3, v92
	s_xor_b32 exec_lo, exec_lo, s24
	s_cbranch_execz .LBB10_35
; %bb.34:                               ;   in Loop: Header=BB10_4 Depth=1
	ds_load_b64 v[4:5], v110
	v_mov_b32_e32 v3, v94
	s_or_b32 s23, s23, exec_lo
	s_wait_dscnt 0x0
	v_xor_b32_e32 v2, 0x80000000, v5
	ds_store_b32 v94, v4
.LBB10_35:                              ;   in Loop: Header=BB10_4 Depth=1
	s_or_b32 exec_lo, exec_lo, s24
	s_and_saveexec_b32 s24, s23
; %bb.36:                               ;   in Loop: Header=BB10_4 Depth=1
	ds_store_b32 v3, v2 offset:4
; %bb.37:                               ;   in Loop: Header=BB10_4 Depth=1
	s_or_b32 exec_lo, exec_lo, s24
	s_mov_b32 s23, 0
	s_and_saveexec_b32 s24, s11
	s_delay_alu instid0(SALU_CYCLE_1)
	s_xor_b32 s24, exec_lo, s24
; %bb.38:                               ;   in Loop: Header=BB10_4 Depth=1
	s_and_b32 s23, s12, exec_lo
; %bb.39:                               ;   in Loop: Header=BB10_4 Depth=1
	s_or_saveexec_b32 s24, s24
	v_dual_mov_b32 v2, 0 :: v_dual_mov_b32 v3, v92
	s_xor_b32 exec_lo, exec_lo, s24
	s_cbranch_execz .LBB10_41
; %bb.40:                               ;   in Loop: Header=BB10_4 Depth=1
	ds_load_b64 v[4:5], v110 offset:264
	v_mov_b32_e32 v3, v95
	s_or_b32 s23, s23, exec_lo
	s_wait_dscnt 0x0
	v_xor_b32_e32 v2, 0x80000000, v5
	ds_store_b32 v95, v4
.LBB10_41:                              ;   in Loop: Header=BB10_4 Depth=1
	s_or_b32 exec_lo, exec_lo, s24
	s_and_saveexec_b32 s24, s23
; %bb.42:                               ;   in Loop: Header=BB10_4 Depth=1
	ds_store_b32 v3, v2 offset:4
; %bb.43:                               ;   in Loop: Header=BB10_4 Depth=1
	s_or_b32 exec_lo, exec_lo, s24
	s_mov_b32 s23, 0
	s_and_saveexec_b32 s24, s13
	s_delay_alu instid0(SALU_CYCLE_1)
	s_xor_b32 s24, exec_lo, s24
; %bb.44:                               ;   in Loop: Header=BB10_4 Depth=1
	s_and_b32 s23, s14, exec_lo
; %bb.45:                               ;   in Loop: Header=BB10_4 Depth=1
	s_or_saveexec_b32 s24, s24
	v_dual_mov_b32 v2, 0 :: v_dual_mov_b32 v3, v92
	s_xor_b32 exec_lo, exec_lo, s24
	s_cbranch_execz .LBB10_47
; %bb.46:                               ;   in Loop: Header=BB10_4 Depth=1
	ds_load_b64 v[4:5], v110 offset:528
	v_mov_b32_e32 v3, v97
	s_or_b32 s23, s23, exec_lo
	s_wait_dscnt 0x0
	v_xor_b32_e32 v2, 0x80000000, v5
	ds_store_b32 v97, v4
.LBB10_47:                              ;   in Loop: Header=BB10_4 Depth=1
	s_or_b32 exec_lo, exec_lo, s24
	s_and_saveexec_b32 s24, s23
; %bb.48:                               ;   in Loop: Header=BB10_4 Depth=1
	ds_store_b32 v3, v2 offset:4
; %bb.49:                               ;   in Loop: Header=BB10_4 Depth=1
	s_or_b32 exec_lo, exec_lo, s24
	s_wait_dscnt 0x0
	s_barrier_signal -1
	s_barrier_wait -1
	ds_load_b64 v[14:15], v109
	ds_load_b128 v[2:5], v98
	ds_load_2addr_b64 v[6:9], v110 offset1:33
	ds_load_b128 v[10:13], v98 offset:16
	ds_load_b64 v[18:19], v110 offset:528
	v_mov_b64_e32 v[52:53], 0
	s_wait_dscnt 0x0
	s_barrier_signal -1
	s_barrier_wait -1
	v_pk_mul_f32 v[20:21], v[2:3], v[14:15] op_sel:[1,1] op_sel_hi:[0,1]
	v_dual_mov_b32 v22, v5 :: v_dual_mov_b32 v23, v4
	v_pk_mul_f32 v[24:25], v[10:11], v[8:9] op_sel:[1,1] op_sel_hi:[0,1]
	v_dual_mov_b32 v28, v13 :: v_dual_mov_b32 v29, v12
	s_delay_alu instid0(VALU_DEP_4) | instskip(NEXT) | instid1(VALU_DEP_4)
	v_pk_fma_f32 v[26:27], v[2:3], v[14:15], v[20:21] op_sel_hi:[1,0,1]
	v_pk_mul_f32 v[22:23], v[22:23], v[6:7] op_sel:[0,1]
	v_pk_fma_f32 v[2:3], v[2:3], v[14:15], v[20:21] neg_lo:[0,0,1] neg_hi:[0,0,1]
	v_pk_fma_f32 v[20:21], v[10:11], v[8:9], v[24:25] op_sel_hi:[1,0,1]
	s_delay_alu instid0(VALU_DEP_3)
	v_pk_fma_f32 v[14:15], v[4:5], v[6:7], v[22:23] op_sel_hi:[1,0,1]
	v_mov_b32_e32 v3, v27
	v_pk_fma_f32 v[4:5], v[4:5], v[6:7], v[22:23] neg_lo:[0,0,1] neg_hi:[0,0,1]
	v_pk_mul_f32 v[26:27], v[28:29], v[18:19] op_sel:[0,1]
	v_pk_fma_f32 v[6:7], v[10:11], v[8:9], v[24:25] neg_lo:[0,0,1] neg_hi:[0,0,1]
	v_mov_b32_e32 v5, v15
	v_pk_add_f32 v[2:3], v[2:3], 0 op_sel_hi:[1,0]
	s_delay_alu instid0(VALU_DEP_4) | instskip(SKIP_1) | instid1(VALU_DEP_3)
	v_pk_fma_f32 v[8:9], v[12:13], v[18:19], v[26:27] op_sel_hi:[1,0,1]
	v_mov_b32_e32 v7, v21
	v_pk_add_f32 v[2:3], v[2:3], v[4:5]
	v_pk_fma_f32 v[4:5], v[12:13], v[18:19], v[26:27] neg_lo:[0,0,1] neg_hi:[0,0,1]
	s_delay_alu instid0(VALU_DEP_4) | instskip(NEXT) | instid1(VALU_DEP_3)
	v_mov_b32_e32 v5, v9
	v_pk_add_f32 v[2:3], v[2:3], v[6:7]
	s_delay_alu instid0(VALU_DEP_1)
	v_pk_add_f32 v[2:3], v[2:3], v[4:5]
	ds_store_b64 v99, v[2:3]
	s_wait_dscnt 0x0
	s_barrier_signal -1
	s_barrier_wait -1
	s_and_saveexec_b32 s23, s15
	s_cbranch_execz .LBB10_51
; %bb.50:                               ;   in Loop: Header=BB10_4 Depth=1
	ds_load_2addr_b64 v[2:5], v96 offset1:7
	ds_load_2addr_b64 v[6:9], v96 offset0:1 offset1:2
	ds_load_2addr_b64 v[10:13], v96 offset0:3 offset1:4
	;; [unrolled: 1-line block ×3, first 2 shown]
	s_wait_dscnt 0x2
	v_dual_add_f32 v2, v6, v2 :: v_dual_add_f32 v3, v7, v3
	s_delay_alu instid0(VALU_DEP_1) | instskip(SKIP_1) | instid1(VALU_DEP_1)
	v_dual_add_f32 v2, v8, v2 :: v_dual_add_f32 v3, v9, v3
	s_wait_dscnt 0x1
	v_dual_add_f32 v2, v2, v10 :: v_dual_add_f32 v3, v3, v11
	s_delay_alu instid0(VALU_DEP_1) | instskip(SKIP_1) | instid1(VALU_DEP_1)
	v_dual_add_f32 v2, v2, v12 :: v_dual_add_f32 v3, v3, v13
	s_wait_dscnt 0x0
	v_dual_add_f32 v2, v2, v18 :: v_dual_add_f32 v3, v3, v19
	s_delay_alu instid0(VALU_DEP_1) | instskip(NEXT) | instid1(VALU_DEP_1)
	v_dual_add_f32 v2, v2, v20 :: v_dual_add_f32 v3, v3, v21
	v_pk_add_f32 v[52:53], v[2:3], v[4:5]
.LBB10_51:                              ;   in Loop: Header=BB10_4 Depth=1
	s_or_b32 exec_lo, exec_lo, s23
	v_lshl_add_u64 v[2:3], s[54:55], 3, v[0:1]
	s_and_not1_b32 vcc_lo, exec_lo, s103
	s_mov_b32 s23, -1
	s_barrier_signal -1
	s_barrier_wait -1
	s_cbranch_vccnz .LBB10_53
; %bb.52:                               ;   in Loop: Header=BB10_4 Depth=1
	v_lshl_add_u64 v[0:1], s[42:43], 3, v[2:3]
	s_mov_b32 s23, 0
	s_delay_alu instid0(VALU_DEP_1) | instskip(NEXT) | instid1(VALU_DEP_1)
	v_add_nc_u64_e32 v[4:5], s[60:61], v[0:1]
	v_add_nc_u64_e32 v[6:7], s[60:61], v[4:5]
	s_clause 0x3
	global_load_b64 v[8:9], v[2:3], off offset:256
	global_load_b64 v[0:1], v[0:1], off offset:256
	;; [unrolled: 1-line block ×4, first 2 shown]
	s_wait_loadcnt 0x3
	ds_store_b64 v108, v[8:9]
	s_wait_loadcnt 0x2
	ds_store_b64 v108, v[0:1] offset:2112
	s_wait_loadcnt 0x1
	ds_store_b64 v108, v[4:5] offset:4224
	;; [unrolled: 2-line block ×3, first 2 shown]
.LBB10_53:                              ;   in Loop: Header=BB10_4 Depth=1
	s_wait_xcnt 0x2
	v_add_nc_u64_e32 v[0:1], 0x100, v[2:3]
	s_and_not1_b32 vcc_lo, exec_lo, s23
	s_cbranch_vccnz .LBB10_63
; %bb.54:                               ;   in Loop: Header=BB10_4 Depth=1
	v_lshl_add_u64 v[2:3], v[42:43], 3, v[2:3]
	s_wait_xcnt 0x0
	v_dual_mov_b32 v6, 0 :: v_dual_mov_b32 v4, 0
	v_mov_b32_e32 v5, 0
	s_delay_alu instid0(VALU_DEP_3) | instskip(NEXT) | instid1(VALU_DEP_1)
	v_lshl_add_u64 v[2:3], s[34:35], 3, v[2:3]
	v_add_nc_u64_e32 v[2:3], -8, v[2:3]
	s_delay_alu instid0(VALU_DEP_1) | instskip(SKIP_3) | instid1(SALU_CYCLE_1)
	v_dual_cndmask_b32 v3, v3, v1, s16 :: v_dual_cndmask_b32 v2, v2, v0, s16
	s_mov_b32 s23, exec_lo
	v_readlane_b32 s24, v140, 0
	s_and_b32 s24, s23, s24
	s_mov_b32 exec_lo, s24
	s_cbranch_execz .LBB10_56
; %bb.55:                               ;   in Loop: Header=BB10_4 Depth=1
	global_load_b64 v[4:5], v[2:3], off
.LBB10_56:                              ;   in Loop: Header=BB10_4 Depth=1
	s_wait_xcnt 0x0
	s_or_b32 exec_lo, exec_lo, s23
	v_mov_b32_e32 v7, 0
	s_wait_loadcnt 0x0
	ds_store_b64 v108, v[4:5]
	s_and_saveexec_b32 s23, s18
	s_cbranch_execz .LBB10_58
; %bb.57:                               ;   in Loop: Header=BB10_4 Depth=1
	v_lshl_add_u64 v[4:5], s[42:43], 3, v[2:3]
	global_load_b64 v[6:7], v[4:5], off
.LBB10_58:                              ;   in Loop: Header=BB10_4 Depth=1
	s_wait_xcnt 0x0
	s_or_b32 exec_lo, exec_lo, s23
	v_dual_mov_b32 v4, 0 :: v_dual_mov_b32 v8, 0
	v_mov_b32_e32 v9, 0
	s_wait_loadcnt 0x0
	ds_store_b64 v108, v[6:7] offset:2112
	s_and_saveexec_b32 s23, s19
	s_cbranch_execz .LBB10_60
; %bb.59:                               ;   in Loop: Header=BB10_4 Depth=1
	v_lshl_add_u64 v[6:7], s[50:51], 3, v[2:3]
	global_load_b64 v[8:9], v[6:7], off
.LBB10_60:                              ;   in Loop: Header=BB10_4 Depth=1
	s_wait_xcnt 0x0
	s_or_b32 exec_lo, exec_lo, s23
	v_mov_b32_e32 v5, 0
	s_wait_loadcnt 0x0
	ds_store_b64 v108, v[8:9] offset:4224
	s_and_saveexec_b32 s23, s20
	s_cbranch_execz .LBB10_62
; %bb.61:                               ;   in Loop: Header=BB10_4 Depth=1
	v_lshl_add_u64 v[4:5], s[52:53], 3, v[2:3]
	global_load_b64 v[4:5], v[4:5], off
.LBB10_62:                              ;   in Loop: Header=BB10_4 Depth=1
	s_wait_xcnt 0x0
	s_or_b32 exec_lo, exec_lo, s23
	v_add_nc_u64_e32 v[2:3], v[2:3], v[34:35]
	s_wait_loadcnt 0x0
	ds_store_b64 v108, v[4:5] offset:6336
	v_lshl_add_u64 v[2:3], s[98:99], 3, v[2:3]
	s_delay_alu instid0(VALU_DEP_1) | instskip(NEXT) | instid1(VALU_DEP_1)
	v_add_nc_u64_e32 v[2:3], 0x108, v[2:3]
	v_dual_cndmask_b32 v1, v3, v1, s16 :: v_dual_cndmask_b32 v0, v2, v0, s16
.LBB10_63:                              ;   in Loop: Header=BB10_4 Depth=1
	s_mov_b32 s23, 0
	s_wait_dscnt 0x0
	s_barrier_signal -1
	s_barrier_wait -1
	s_wait_xcnt 0x0
	s_and_saveexec_b32 s24, s7
	s_delay_alu instid0(SALU_CYCLE_1)
	s_xor_b32 s24, exec_lo, s24
; %bb.64:                               ;   in Loop: Header=BB10_4 Depth=1
	s_and_b32 s23, s8, exec_lo
; %bb.65:                               ;   in Loop: Header=BB10_4 Depth=1
	s_or_saveexec_b32 s24, s24
	v_dual_mov_b32 v2, 0 :: v_dual_mov_b32 v3, v92
	s_xor_b32 exec_lo, exec_lo, s24
	s_cbranch_execz .LBB10_67
; %bb.66:                               ;   in Loop: Header=BB10_4 Depth=1
	ds_load_b64 v[4:5], v109
	v_mov_b32_e32 v3, v93
	s_or_b32 s23, s23, exec_lo
	s_wait_dscnt 0x0
	v_xor_b32_e32 v2, 0x80000000, v5
	ds_store_b32 v93, v4
.LBB10_67:                              ;   in Loop: Header=BB10_4 Depth=1
	s_or_b32 exec_lo, exec_lo, s24
	s_and_saveexec_b32 s24, s23
; %bb.68:                               ;   in Loop: Header=BB10_4 Depth=1
	ds_store_b32 v3, v2 offset:4
; %bb.69:                               ;   in Loop: Header=BB10_4 Depth=1
	s_or_b32 exec_lo, exec_lo, s24
	s_mov_b32 s23, 0
	s_and_saveexec_b32 s24, s9
	s_delay_alu instid0(SALU_CYCLE_1)
	s_xor_b32 s24, exec_lo, s24
; %bb.70:                               ;   in Loop: Header=BB10_4 Depth=1
	s_and_b32 s23, s10, exec_lo
; %bb.71:                               ;   in Loop: Header=BB10_4 Depth=1
	s_or_saveexec_b32 s24, s24
	v_dual_mov_b32 v2, 0 :: v_dual_mov_b32 v3, v92
	s_xor_b32 exec_lo, exec_lo, s24
	s_cbranch_execz .LBB10_73
; %bb.72:                               ;   in Loop: Header=BB10_4 Depth=1
	ds_load_b64 v[4:5], v110
	v_mov_b32_e32 v3, v94
	s_or_b32 s23, s23, exec_lo
	s_wait_dscnt 0x0
	v_xor_b32_e32 v2, 0x80000000, v5
	ds_store_b32 v94, v4
.LBB10_73:                              ;   in Loop: Header=BB10_4 Depth=1
	s_or_b32 exec_lo, exec_lo, s24
	s_and_saveexec_b32 s24, s23
; %bb.74:                               ;   in Loop: Header=BB10_4 Depth=1
	ds_store_b32 v3, v2 offset:4
; %bb.75:                               ;   in Loop: Header=BB10_4 Depth=1
	s_or_b32 exec_lo, exec_lo, s24
	s_mov_b32 s23, 0
	s_and_saveexec_b32 s24, s11
	s_delay_alu instid0(SALU_CYCLE_1)
	s_xor_b32 s24, exec_lo, s24
; %bb.76:                               ;   in Loop: Header=BB10_4 Depth=1
	s_and_b32 s23, s12, exec_lo
; %bb.77:                               ;   in Loop: Header=BB10_4 Depth=1
	s_or_saveexec_b32 s24, s24
	v_dual_mov_b32 v2, 0 :: v_dual_mov_b32 v3, v92
	s_xor_b32 exec_lo, exec_lo, s24
	s_cbranch_execz .LBB10_79
; %bb.78:                               ;   in Loop: Header=BB10_4 Depth=1
	ds_load_b64 v[4:5], v110 offset:264
	v_mov_b32_e32 v3, v95
	s_or_b32 s23, s23, exec_lo
	s_wait_dscnt 0x0
	v_xor_b32_e32 v2, 0x80000000, v5
	ds_store_b32 v95, v4
.LBB10_79:                              ;   in Loop: Header=BB10_4 Depth=1
	s_or_b32 exec_lo, exec_lo, s24
	s_and_saveexec_b32 s24, s23
; %bb.80:                               ;   in Loop: Header=BB10_4 Depth=1
	ds_store_b32 v3, v2 offset:4
; %bb.81:                               ;   in Loop: Header=BB10_4 Depth=1
	s_or_b32 exec_lo, exec_lo, s24
	s_mov_b32 s23, 0
	s_and_saveexec_b32 s24, s13
	s_delay_alu instid0(SALU_CYCLE_1)
	s_xor_b32 s24, exec_lo, s24
; %bb.82:                               ;   in Loop: Header=BB10_4 Depth=1
	s_and_b32 s23, s14, exec_lo
; %bb.83:                               ;   in Loop: Header=BB10_4 Depth=1
	s_or_saveexec_b32 s24, s24
	v_dual_mov_b32 v2, 0 :: v_dual_mov_b32 v3, v92
	s_xor_b32 exec_lo, exec_lo, s24
	s_cbranch_execz .LBB10_85
; %bb.84:                               ;   in Loop: Header=BB10_4 Depth=1
	ds_load_b64 v[4:5], v110 offset:528
	v_mov_b32_e32 v3, v97
	s_or_b32 s23, s23, exec_lo
	s_wait_dscnt 0x0
	v_xor_b32_e32 v2, 0x80000000, v5
	ds_store_b32 v97, v4
.LBB10_85:                              ;   in Loop: Header=BB10_4 Depth=1
	s_or_b32 exec_lo, exec_lo, s24
	s_and_saveexec_b32 s24, s23
; %bb.86:                               ;   in Loop: Header=BB10_4 Depth=1
	ds_store_b32 v3, v2 offset:4
; %bb.87:                               ;   in Loop: Header=BB10_4 Depth=1
	s_or_b32 exec_lo, exec_lo, s24
	s_wait_dscnt 0x0
	s_barrier_signal -1
	s_barrier_wait -1
	ds_load_b64 v[14:15], v109
	ds_load_b128 v[2:5], v98 offset:256
	ds_load_2addr_b64 v[6:9], v110 offset1:33
	ds_load_b128 v[10:13], v98 offset:272
	ds_load_b64 v[18:19], v110 offset:528
	s_wait_dscnt 0x0
	s_barrier_signal -1
	s_barrier_wait -1
	v_pk_mul_f32 v[20:21], v[2:3], v[14:15] op_sel:[1,1] op_sel_hi:[0,1]
	v_dual_mov_b32 v22, v5 :: v_dual_mov_b32 v23, v4
	v_pk_mul_f32 v[24:25], v[10:11], v[8:9] op_sel:[1,1] op_sel_hi:[0,1]
	v_dual_mov_b32 v28, v13 :: v_dual_mov_b32 v29, v12
	s_delay_alu instid0(VALU_DEP_4) | instskip(NEXT) | instid1(VALU_DEP_4)
	v_pk_fma_f32 v[26:27], v[2:3], v[14:15], v[20:21] op_sel_hi:[1,0,1]
	v_pk_mul_f32 v[22:23], v[22:23], v[6:7] op_sel:[0,1]
	v_pk_fma_f32 v[2:3], v[2:3], v[14:15], v[20:21] neg_lo:[0,0,1] neg_hi:[0,0,1]
	v_pk_fma_f32 v[20:21], v[10:11], v[8:9], v[24:25] op_sel_hi:[1,0,1]
	s_delay_alu instid0(VALU_DEP_3)
	v_pk_fma_f32 v[14:15], v[4:5], v[6:7], v[22:23] op_sel_hi:[1,0,1]
	v_mov_b32_e32 v3, v27
	v_pk_fma_f32 v[4:5], v[4:5], v[6:7], v[22:23] neg_lo:[0,0,1] neg_hi:[0,0,1]
	v_pk_mul_f32 v[26:27], v[28:29], v[18:19] op_sel:[0,1]
	v_pk_fma_f32 v[6:7], v[10:11], v[8:9], v[24:25] neg_lo:[0,0,1] neg_hi:[0,0,1]
	v_mov_b32_e32 v5, v15
	v_pk_add_f32 v[2:3], v[2:3], 0 op_sel_hi:[1,0]
	s_delay_alu instid0(VALU_DEP_4) | instskip(SKIP_1) | instid1(VALU_DEP_3)
	v_pk_fma_f32 v[8:9], v[12:13], v[18:19], v[26:27] op_sel_hi:[1,0,1]
	v_mov_b32_e32 v7, v21
	v_pk_add_f32 v[2:3], v[2:3], v[4:5]
	v_pk_fma_f32 v[4:5], v[12:13], v[18:19], v[26:27] neg_lo:[0,0,1] neg_hi:[0,0,1]
	s_delay_alu instid0(VALU_DEP_4) | instskip(NEXT) | instid1(VALU_DEP_3)
	v_mov_b32_e32 v5, v9
	v_pk_add_f32 v[2:3], v[2:3], v[6:7]
	s_delay_alu instid0(VALU_DEP_1)
	v_pk_add_f32 v[2:3], v[2:3], v[4:5]
	ds_store_b64 v99, v[2:3]
	s_wait_dscnt 0x0
	s_barrier_signal -1
	s_barrier_wait -1
	s_and_saveexec_b32 s23, s21
	s_cbranch_execz .LBB10_89
; %bb.88:                               ;   in Loop: Header=BB10_4 Depth=1
	ds_load_2addr_b64 v[2:5], v96 offset1:7
	ds_load_2addr_b64 v[6:9], v96 offset0:1 offset1:2
	ds_load_2addr_b64 v[10:13], v96 offset0:3 offset1:4
	;; [unrolled: 1-line block ×3, first 2 shown]
	s_wait_dscnt 0x2
	v_dual_add_f32 v2, v6, v2 :: v_dual_add_f32 v3, v7, v3
	s_delay_alu instid0(VALU_DEP_1) | instskip(SKIP_1) | instid1(VALU_DEP_1)
	v_dual_add_f32 v2, v8, v2 :: v_dual_add_f32 v3, v9, v3
	s_wait_dscnt 0x1
	v_dual_add_f32 v2, v2, v10 :: v_dual_add_f32 v3, v3, v11
	s_delay_alu instid0(VALU_DEP_1) | instskip(SKIP_1) | instid1(VALU_DEP_1)
	v_dual_add_f32 v2, v2, v12 :: v_dual_add_f32 v3, v3, v13
	s_wait_dscnt 0x0
	v_dual_add_f32 v2, v2, v18 :: v_dual_add_f32 v3, v3, v19
	s_delay_alu instid0(VALU_DEP_1) | instskip(NEXT) | instid1(VALU_DEP_1)
	v_pk_add_f32 v[2:3], v[2:3], v[20:21]
	v_pk_add_f32 v[52:53], v[2:3], v[4:5]
.LBB10_89:                              ;   in Loop: Header=BB10_4 Depth=1
	s_or_b32 exec_lo, exec_lo, s23
	v_lshl_add_u64 v[18:19], s[96:97], 3, v[0:1]
	s_and_not1_b32 vcc_lo, exec_lo, s103
	s_mov_b32 s23, -1
	s_barrier_signal -1
	s_barrier_wait -1
	s_cbranch_vccnz .LBB10_91
; %bb.90:                               ;   in Loop: Header=BB10_4 Depth=1
	v_lshl_add_u64 v[0:1], s[42:43], 3, v[18:19]
	s_mov_b32 s23, 0
	s_delay_alu instid0(VALU_DEP_1) | instskip(NEXT) | instid1(VALU_DEP_1)
	v_add_nc_u64_e32 v[2:3], s[60:61], v[0:1]
	v_add_nc_u64_e32 v[4:5], s[60:61], v[2:3]
	s_clause 0x3
	global_load_b64 v[6:7], v[18:19], off
	global_load_b64 v[0:1], v[0:1], off
	;; [unrolled: 1-line block ×4, first 2 shown]
	s_wait_loadcnt 0x3
	ds_store_b64 v108, v[6:7]
	s_wait_loadcnt 0x2
	ds_store_b64 v108, v[0:1] offset:2112
	s_wait_loadcnt 0x1
	ds_store_b64 v108, v[2:3] offset:4224
	;; [unrolled: 2-line block ×3, first 2 shown]
.LBB10_91:                              ;   in Loop: Header=BB10_4 Depth=1
	s_and_not1_b32 vcc_lo, exec_lo, s23
	s_cbranch_vccnz .LBB10_101
; %bb.92:                               ;   in Loop: Header=BB10_4 Depth=1
	s_wait_xcnt 0x2
	v_lshl_add_u64 v[0:1], v[42:43], 3, v[18:19]
	s_wait_xcnt 0x0
	v_dual_mov_b32 v4, 0 :: v_dual_mov_b32 v2, 0
	v_mov_b32_e32 v3, 0
	s_delay_alu instid0(VALU_DEP_3) | instskip(NEXT) | instid1(VALU_DEP_1)
	v_lshl_add_u64 v[0:1], s[34:35], 3, v[0:1]
	v_add_nc_u64_e32 v[0:1], s[94:95], v[0:1]
	s_delay_alu instid0(VALU_DEP_1)
	v_dual_cndmask_b32 v1, v1, v19, s16 :: v_dual_cndmask_b32 v0, v0, v18, s16
	s_and_saveexec_b32 s23, s3
	s_cbranch_execz .LBB10_94
; %bb.93:                               ;   in Loop: Header=BB10_4 Depth=1
	global_load_b64 v[2:3], v[0:1], off
.LBB10_94:                              ;   in Loop: Header=BB10_4 Depth=1
	s_wait_xcnt 0x0
	s_or_b32 exec_lo, exec_lo, s23
	v_mov_b32_e32 v5, 0
	s_wait_loadcnt 0x0
	ds_store_b64 v108, v[2:3]
	s_and_saveexec_b32 s23, s4
	s_cbranch_execz .LBB10_96
; %bb.95:                               ;   in Loop: Header=BB10_4 Depth=1
	v_lshl_add_u64 v[2:3], s[42:43], 3, v[0:1]
	global_load_b64 v[4:5], v[2:3], off
.LBB10_96:                              ;   in Loop: Header=BB10_4 Depth=1
	s_wait_xcnt 0x0
	s_or_b32 exec_lo, exec_lo, s23
	v_dual_mov_b32 v2, 0 :: v_dual_mov_b32 v6, 0
	v_mov_b32_e32 v7, 0
	s_wait_loadcnt 0x0
	ds_store_b64 v108, v[4:5] offset:2112
	s_and_saveexec_b32 s23, s5
	s_cbranch_execz .LBB10_98
; %bb.97:                               ;   in Loop: Header=BB10_4 Depth=1
	v_lshl_add_u64 v[4:5], s[50:51], 3, v[0:1]
	global_load_b64 v[6:7], v[4:5], off
.LBB10_98:                              ;   in Loop: Header=BB10_4 Depth=1
	s_wait_xcnt 0x0
	s_or_b32 exec_lo, exec_lo, s23
	v_mov_b32_e32 v3, 0
	s_wait_loadcnt 0x0
	ds_store_b64 v108, v[6:7] offset:4224
	s_and_saveexec_b32 s23, s6
	s_cbranch_execz .LBB10_100
; %bb.99:                               ;   in Loop: Header=BB10_4 Depth=1
	v_lshl_add_u64 v[2:3], s[52:53], 3, v[0:1]
	global_load_b64 v[2:3], v[2:3], off
.LBB10_100:                             ;   in Loop: Header=BB10_4 Depth=1
	s_wait_xcnt 0x0
	s_or_b32 exec_lo, exec_lo, s23
	v_add_nc_u64_e32 v[0:1], v[0:1], v[34:35]
	s_wait_loadcnt 0x0
	ds_store_b64 v108, v[2:3] offset:6336
	v_lshl_add_u64 v[0:1], s[98:99], 3, v[0:1]
	s_delay_alu instid0(VALU_DEP_1) | instskip(NEXT) | instid1(VALU_DEP_1)
	v_add_nc_u64_e32 v[0:1], 0x108, v[0:1]
	v_dual_cndmask_b32 v19, v1, v19, s16 :: v_dual_cndmask_b32 v18, v0, v18, s16
.LBB10_101:                             ;   in Loop: Header=BB10_4 Depth=1
	s_wait_dscnt 0x0
	s_barrier_signal -1
	s_barrier_wait -1
	ds_load_b64 v[8:9], v108
	ds_load_b64 v[10:11], v111
	ds_load_2addr_b64 v[20:23], v107 offset0:8 offset1:16
	ds_load_b64 v[12:13], v108 offset:2112
	ds_load_b64 v[24:25], v108 offset:4224
	;; [unrolled: 1-line block ×4, first 2 shown]
	s_wait_xcnt 0x0
	ds_load_2addr_b64 v[4:7], v100 offset1:1
	ds_load_2addr_b64 v[0:3], v100 offset0:2 offset1:3
	s_wait_dscnt 0x7
	v_pk_mul_f32 v[14:15], v[10:11], v[8:9] op_sel:[1,1] op_sel_hi:[0,1]
	s_wait_dscnt 0x5
	v_pk_mul_f32 v[30:31], v[20:21], v[12:13] op_sel:[1,1] op_sel_hi:[0,1]
	;; [unrolled: 2-line block ×3, first 2 shown]
	v_pk_fma_f32 v[54:55], v[10:11], v[8:9], v[14:15] op_sel_hi:[1,0,1]
	v_pk_fma_f32 v[8:9], v[10:11], v[8:9], v[14:15] neg_lo:[0,0,1] neg_hi:[0,0,1]
	v_pk_fma_f32 v[10:11], v[20:21], v[12:13], v[30:31] op_sel_hi:[1,0,1]
	v_pk_fma_f32 v[20:21], v[20:21], v[12:13], v[30:31] neg_lo:[0,0,1] neg_hi:[0,0,1]
	v_pk_fma_f32 v[30:31], v[22:23], v[24:25], v[56:57] op_sel_hi:[1,0,1]
	v_mov_b32_e32 v9, v55
	s_wait_dscnt 0x2
	v_pk_mul_f32 v[54:55], v[28:29], v[26:27] op_sel:[1,1] op_sel_hi:[0,1]
	v_mov_b32_e32 v21, v11
	v_pk_fma_f32 v[22:23], v[22:23], v[24:25], v[56:57] neg_lo:[0,0,1] neg_hi:[0,0,1]
	v_pk_add_f32 v[58:59], v[8:9], 0 op_sel_hi:[1,0]
	ds_load_b128 v[12:15], v98 offset:256
	ds_load_b128 v[8:11], v98 offset:272
	v_pk_fma_f32 v[24:25], v[28:29], v[26:27], v[54:55] op_sel_hi:[1,0,1]
	v_mov_b32_e32 v23, v31
	v_pk_fma_f32 v[26:27], v[28:29], v[26:27], v[54:55] neg_lo:[0,0,1] neg_hi:[0,0,1]
	v_pk_add_f32 v[20:21], v[58:59], v[20:21]
	s_wait_dscnt 0x0
	v_mov_b32_e32 v27, v25
	s_barrier_signal -1
	s_barrier_wait -1
	v_pk_add_f32 v[20:21], v[20:21], v[22:23]
	s_delay_alu instid0(VALU_DEP_1)
	v_pk_add_f32 v[20:21], v[20:21], v[26:27]
	ds_store_b64 v99, v[20:21]
	s_wait_dscnt 0x0
	s_barrier_signal -1
	s_barrier_wait -1
	s_and_saveexec_b32 s23, s21
	s_cbranch_execz .LBB10_103
; %bb.102:                              ;   in Loop: Header=BB10_4 Depth=1
	ds_load_2addr_b64 v[20:23], v96 offset1:1
	ds_load_2addr_b64 v[24:27], v96 offset0:2 offset1:3
	ds_load_2addr_b64 v[28:31], v96 offset0:4 offset1:5
	s_wait_dscnt 0x2
	v_pk_add_f32 v[20:21], v[52:53], v[20:21]
	s_delay_alu instid0(VALU_DEP_1) | instskip(SKIP_1) | instid1(VALU_DEP_1)
	v_pk_add_f32 v[20:21], v[20:21], v[22:23]
	s_wait_dscnt 0x1
	v_pk_add_f32 v[24:25], v[20:21], v[24:25]
	ds_load_2addr_b64 v[20:23], v96 offset0:6 offset1:7
	v_pk_add_f32 v[24:25], v[24:25], v[26:27]
	s_wait_dscnt 0x1
	s_delay_alu instid0(VALU_DEP_1) | instskip(NEXT) | instid1(VALU_DEP_1)
	v_pk_add_f32 v[24:25], v[24:25], v[28:29]
	v_pk_add_f32 v[24:25], v[24:25], v[30:31]
	s_wait_dscnt 0x0
	s_delay_alu instid0(VALU_DEP_1) | instskip(NEXT) | instid1(VALU_DEP_1)
	v_pk_add_f32 v[20:21], v[24:25], v[20:21]
	v_pk_add_f32 v[52:53], v[20:21], v[22:23]
.LBB10_103:                             ;   in Loop: Header=BB10_4 Depth=1
	s_or_b32 exec_lo, exec_lo, s23
	v_pk_mul_f32 v[20:21], v[4:5], v[12:13] op_sel:[1,1] op_sel_hi:[1,0]
	v_dual_mov_b32 v22, v7 :: v_dual_mov_b32 v24, v15
	v_mov_b32_e32 v25, v14
	v_pk_mul_f32 v[26:27], v[0:1], v[8:9] op_sel:[1,1] op_sel_hi:[1,0]
	s_delay_alu instid0(VALU_DEP_4) | instskip(SKIP_3) | instid1(VALU_DEP_4)
	v_pk_fma_f32 v[28:29], v[4:5], v[12:13], v[20:21] op_sel_hi:[0,1,1] neg_lo:[0,0,1] neg_hi:[0,0,1]
	v_mov_b32_e32 v28, v3
	v_pk_fma_f32 v[4:5], v[4:5], v[12:13], v[20:21]
	v_pk_mul_f32 v[22:23], v[22:23], v[24:25] op_sel_hi:[0,1]
	v_dual_mov_b32 v24, v11 :: v_dual_mov_b32 v5, v29
	v_pk_fma_f32 v[20:21], v[0:1], v[8:9], v[26:27] op_sel_hi:[0,1,1] neg_lo:[0,0,1] neg_hi:[0,0,1]
	v_pk_fma_f32 v[0:1], v[0:1], v[8:9], v[26:27]
	s_delay_alu instid0(VALU_DEP_4) | instskip(SKIP_3) | instid1(VALU_DEP_4)
	v_pk_fma_f32 v[12:13], v[6:7], v[14:15], v[22:23] op_sel_hi:[0,1,1] neg_lo:[0,0,1] neg_hi:[0,0,1]
	v_mov_b32_e32 v25, v10
	v_pk_fma_f32 v[6:7], v[6:7], v[14:15], v[22:23]
	v_pk_add_f32 v[4:5], v[4:5], 0 op_sel_hi:[1,0]
	v_mov_b32_e32 v7, v13
	s_delay_alu instid0(VALU_DEP_4) | instskip(SKIP_2) | instid1(VALU_DEP_2)
	v_pk_mul_f32 v[14:15], v[28:29], v[24:25] op_sel_hi:[0,1]
	s_barrier_signal -1
	s_barrier_wait -1
	v_pk_add_f32 v[4:5], v[4:5], v[6:7]
	s_delay_alu instid0(VALU_DEP_2) | instskip(SKIP_2) | instid1(VALU_DEP_3)
	v_pk_fma_f32 v[8:9], v[2:3], v[10:11], v[14:15] op_sel_hi:[0,1,1] neg_lo:[0,0,1] neg_hi:[0,0,1]
	v_mov_b32_e32 v1, v21
	v_pk_fma_f32 v[2:3], v[2:3], v[10:11], v[14:15]
	v_mov_b32_e32 v3, v9
	s_delay_alu instid0(VALU_DEP_3) | instskip(NEXT) | instid1(VALU_DEP_1)
	v_pk_add_f32 v[0:1], v[4:5], v[0:1]
	v_pk_add_f32 v[0:1], v[0:1], v[2:3]
	ds_store_b64 v99, v[0:1]
	s_wait_dscnt 0x0
	s_barrier_signal -1
	s_barrier_wait -1
	s_and_saveexec_b32 s23, s15
	s_cbranch_execz .LBB10_105
; %bb.104:                              ;   in Loop: Header=BB10_4 Depth=1
	ds_load_2addr_b64 v[0:3], v96 offset1:1
	ds_load_2addr_b64 v[4:7], v96 offset0:2 offset1:3
	ds_load_2addr_b64 v[8:11], v96 offset0:4 offset1:5
	s_wait_dscnt 0x2
	v_pk_add_f32 v[0:1], v[52:53], v[0:1]
	s_delay_alu instid0(VALU_DEP_1) | instskip(SKIP_1) | instid1(VALU_DEP_1)
	v_pk_add_f32 v[0:1], v[0:1], v[2:3]
	s_wait_dscnt 0x1
	v_pk_add_f32 v[4:5], v[0:1], v[4:5]
	ds_load_2addr_b64 v[0:3], v96 offset0:6 offset1:7
	v_pk_add_f32 v[4:5], v[4:5], v[6:7]
	s_wait_dscnt 0x1
	s_delay_alu instid0(VALU_DEP_1) | instskip(NEXT) | instid1(VALU_DEP_1)
	v_pk_add_f32 v[4:5], v[4:5], v[8:9]
	v_pk_add_f32 v[4:5], v[4:5], v[10:11]
	s_wait_dscnt 0x0
	s_delay_alu instid0(VALU_DEP_1) | instskip(NEXT) | instid1(VALU_DEP_1)
	v_pk_add_f32 v[0:1], v[4:5], v[0:1]
	v_pk_add_f32 v[52:53], v[0:1], v[2:3]
.LBB10_105:                             ;   in Loop: Header=BB10_4 Depth=1
	s_or_b32 exec_lo, exec_lo, s23
	s_mul_u64 s[24:25], s[30:31], s[26:27]
	s_and_not1_b32 vcc_lo, exec_lo, s104
	s_lshl_b64 s[24:25], s[24:25], 3
	s_delay_alu instid0(SALU_CYCLE_1)
	s_add_nc_u64 s[24:25], s[40:41], s[24:25]
	s_barrier_signal -1
	s_barrier_wait -1
	s_cbranch_vccnz .LBB10_112
; %bb.106:                              ;   in Loop: Header=BB10_4 Depth=1
	v_lshl_add_u64 v[0:1], s[58:59], 3, v[18:19]
	s_mov_b64 s[100:101], 0xffffffffffffff00
	v_lshl_add_u64 v[54:55], s[56:57], 3, v[16:17]
	v_mov_b32_e32 v113, v32
	s_mov_b32 s23, s102
	v_lshl_add_u64 v[0:1], v[46:47], 3, v[0:1]
	s_delay_alu instid0(VALU_DEP_1) | instskip(NEXT) | instid1(VALU_DEP_1)
	v_lshl_add_u64 v[0:1], v[44:45], 3, v[0:1]
	v_lshl_add_u64 v[2:3], v[48:49], 3, v[0:1]
	v_add_nc_u64_e32 v[0:1], s[100:101], v[0:1]
	s_mov_b32 s100, 0
	s_delay_alu instid0(VALU_DEP_2) | instskip(NEXT) | instid1(VALU_DEP_1)
	v_lshl_add_u64 v[2:3], s[34:35], 3, v[2:3]
	v_add_nc_u64_e32 v[2:3], s[94:95], v[2:3]
	s_delay_alu instid0(VALU_DEP_1)
	v_dual_cndmask_b32 v57, v1, v3, s1 :: v_dual_cndmask_b32 v56, v0, v2, s1
	s_branch .LBB10_108
.LBB10_107:                             ;   in Loop: Header=BB10_108 Depth=2
	s_wait_xcnt 0x0
	s_or_b32 exec_lo, exec_lo, s101
	v_pk_mul_f32 v[114:115], v[64:65], v[4:5] op_sel:[1,1] op_sel_hi:[0,1]
	v_dual_mov_b32 v116, v7 :: v_dual_mov_b32 v120, v3
	v_pk_mul_f32 v[118:119], v[60:61], v[0:1] op_sel:[1,1] op_sel_hi:[0,1]
	v_pk_mul_f32 v[124:125], v[70:71], v[8:9] op_sel:[1,1] op_sel_hi:[0,1]
	s_delay_alu instid0(VALU_DEP_4) | instskip(NEXT) | instid1(VALU_DEP_4)
	v_pk_fma_f32 v[122:123], v[64:65], v[4:5], v[114:115] op_sel_hi:[1,0,1]
	v_pk_mul_f32 v[116:117], v[62:63], v[116:117] op_sel:[1,0] op_sel_hi:[0,0]
	v_pk_fma_f32 v[4:5], v[64:65], v[4:5], v[114:115] neg_lo:[0,0,1] neg_hi:[0,0,1]
	v_mov_b32_e32 v122, v11
	v_pk_mul_f32 v[114:115], v[58:59], v[120:121] op_sel:[1,0] op_sel_hi:[0,0]
	v_mov_b32_e32 v5, v123
	v_pk_fma_f32 v[64:65], v[62:63], v[6:7], v[116:117] op_sel_hi:[1,0,1]
	v_pk_fma_f32 v[6:7], v[62:63], v[6:7], v[116:117] neg_lo:[0,0,1] neg_hi:[0,0,1]
	v_pk_fma_f32 v[120:121], v[60:61], v[0:1], v[118:119] op_sel_hi:[1,0,1]
	v_pk_fma_f32 v[0:1], v[60:61], v[0:1], v[118:119] neg_lo:[0,0,1] neg_hi:[0,0,1]
	v_pk_add_f32 v[4:5], v[52:53], v[4:5]
	v_mov_b32_e32 v7, v65
	v_pk_fma_f32 v[60:61], v[58:59], v[2:3], v[114:115] op_sel_hi:[1,0,1]
	v_mov_b32_e32 v1, v121
	v_pk_fma_f32 v[2:3], v[58:59], v[2:3], v[114:115] neg_lo:[0,0,1] neg_hi:[0,0,1]
	v_pk_fma_f32 v[62:63], v[70:71], v[8:9], v[124:125] op_sel_hi:[1,0,1]
	v_pk_add_f32 v[4:5], v[4:5], v[6:7]
	v_pk_mul_f32 v[6:7], v[66:67], v[122:123] op_sel:[1,0] op_sel_hi:[0,0]
	v_mov_b32_e32 v3, v61
	v_pk_mul_f32 v[52:53], v[72:73], v[12:13] op_sel:[1,1] op_sel_hi:[0,1]
	v_pk_fma_f32 v[8:9], v[70:71], v[8:9], v[124:125] neg_lo:[0,0,1] neg_hi:[0,0,1]
	v_pk_add_f32 v[0:1], v[4:5], v[0:1]
	v_mov_b32_e32 v4, v15
	v_pk_fma_f32 v[58:59], v[66:67], v[10:11], v[6:7] op_sel_hi:[1,0,1]
	v_mov_b32_e32 v9, v63
	v_pk_fma_f32 v[6:7], v[66:67], v[10:11], v[6:7] neg_lo:[0,0,1] neg_hi:[0,0,1]
	v_pk_add_f32 v[0:1], v[0:1], v[2:3]
	v_pk_fma_f32 v[2:3], v[72:73], v[12:13], v[52:53] op_sel_hi:[1,0,1]
	v_pk_mul_f32 v[4:5], v[68:69], v[4:5] op_sel:[1,0] op_sel_hi:[0,0]
	v_mov_b32_e32 v7, v59
	v_pk_fma_f32 v[10:11], v[72:73], v[12:13], v[52:53] neg_lo:[0,0,1] neg_hi:[0,0,1]
	v_pk_add_f32 v[0:1], v[0:1], v[8:9]
	v_mov_b32_e32 v11, v3
	v_pk_fma_f32 v[2:3], v[68:69], v[14:15], v[4:5] op_sel_hi:[1,0,1]
	v_pk_mul_f32 v[8:9], v[80:81], v[16:17] op_sel:[1,1] op_sel_hi:[0,1]
	v_mov_b32_e32 v2, v19
	v_pk_add_f32 v[0:1], v[0:1], v[6:7]
	v_pk_fma_f32 v[4:5], v[68:69], v[14:15], v[4:5] neg_lo:[0,0,1] neg_hi:[0,0,1]
	v_mov_b32_e32 v5, v3
	v_pk_fma_f32 v[6:7], v[80:81], v[16:17], v[8:9] op_sel_hi:[1,0,1]
	v_pk_mul_f32 v[2:3], v[78:79], v[2:3] op_sel:[1,0] op_sel_hi:[0,0]
	v_pk_add_f32 v[0:1], v[0:1], v[10:11]
	v_pk_fma_f32 v[8:9], v[80:81], v[16:17], v[8:9] neg_lo:[0,0,1] neg_hi:[0,0,1]
	v_mov_b32_e32 v6, v23
	v_pk_mul_f32 v[10:11], v[76:77], v[20:21] op_sel:[1,1] op_sel_hi:[0,1]
	v_add_nc_u64_e32 v[56:57], s[64:65], v[56:57]
	v_pk_add_f32 v[0:1], v[0:1], v[4:5]
	v_pk_fma_f32 v[4:5], v[78:79], v[18:19], v[2:3] op_sel_hi:[1,0,1]
	v_mov_b32_e32 v9, v7
	v_pk_fma_f32 v[2:3], v[78:79], v[18:19], v[2:3] neg_lo:[0,0,1] neg_hi:[0,0,1]
	v_pk_mul_f32 v[6:7], v[74:75], v[6:7] op_sel:[1,0] op_sel_hi:[0,0]
	s_delay_alu instid0(VALU_DEP_4) | instskip(NEXT) | instid1(VALU_DEP_4)
	v_dual_add_nc_u32 v113, 64, v113 :: v_dual_mov_b32 v3, v5
	v_pk_add_f32 v[0:1], v[0:1], v[8:9]
	v_pk_fma_f32 v[4:5], v[76:77], v[20:21], v[10:11] op_sel_hi:[1,0,1]
	v_pk_fma_f32 v[10:11], v[76:77], v[20:21], v[10:11] neg_lo:[0,0,1] neg_hi:[0,0,1]
	v_pk_fma_f32 v[8:9], v[74:75], v[22:23], v[6:7] op_sel_hi:[1,0,1]
	v_dual_mov_b32 v4, v27 :: v_dual_mov_b32 v8, v31
	v_pk_add_f32 v[0:1], v[0:1], v[2:3]
	v_mov_b32_e32 v11, v5
	v_pk_fma_f32 v[2:3], v[74:75], v[22:23], v[6:7] neg_lo:[0,0,1] neg_hi:[0,0,1]
	v_pk_mul_f32 v[6:7], v[88:89], v[24:25] op_sel:[1,1] op_sel_hi:[0,1]
	v_mov_b32_e32 v3, v9
	v_pk_mul_f32 v[4:5], v[82:83], v[4:5] op_sel:[1,0] op_sel_hi:[0,0]
	v_pk_add_f32 v[0:1], v[0:1], v[10:11]
	v_pk_mul_f32 v[8:9], v[84:85], v[8:9] op_sel:[1,0] op_sel_hi:[0,0]
	v_pk_fma_f32 v[10:11], v[88:89], v[24:25], v[6:7] op_sel_hi:[1,0,1]
	v_pk_fma_f32 v[6:7], v[88:89], v[24:25], v[6:7] neg_lo:[0,0,1] neg_hi:[0,0,1]
	v_pk_fma_f32 v[12:13], v[82:83], v[26:27], v[4:5] op_sel_hi:[1,0,1]
	v_pk_add_f32 v[0:1], v[0:1], v[2:3]
	v_pk_mul_f32 v[2:3], v[86:87], v[28:29] op_sel:[1,1] op_sel_hi:[0,1]
	v_mov_b32_e32 v7, v11
	v_pk_fma_f32 v[4:5], v[82:83], v[26:27], v[4:5] neg_lo:[0,0,1] neg_hi:[0,0,1]
	v_mov_b32_e32 v5, v13
	s_add_co_i32 s23, s23, -1
	v_pk_fma_f32 v[10:11], v[86:87], v[28:29], v[2:3] op_sel_hi:[1,0,1]
	v_pk_add_f32 v[0:1], v[0:1], v[6:7]
	v_pk_fma_f32 v[2:3], v[86:87], v[28:29], v[2:3] neg_lo:[0,0,1] neg_hi:[0,0,1]
	v_pk_fma_f32 v[6:7], v[84:85], v[30:31], v[8:9] op_sel_hi:[1,0,1]
	s_add_co_i32 s100, s100, vcc_hi
	v_mov_b32_e32 v3, v11
	v_pk_add_f32 v[0:1], v[0:1], v[4:5]
	v_pk_fma_f32 v[4:5], v[84:85], v[30:31], v[8:9] neg_lo:[0,0,1] neg_hi:[0,0,1]
	v_mov_b32_e32 v5, v7
	s_cmp_eq_u32 s23, 0
	s_wait_storecnt 0x0
	v_pk_add_f32 v[0:1], v[0:1], v[2:3]
	s_barrier_signal -1
	s_barrier_wait -1
	s_delay_alu instid0(VALU_DEP_1)
	v_pk_add_f32 v[52:53], v[0:1], v[4:5]
	s_cbranch_scc1 .LBB10_112
.LBB10_108:                             ;   Parent Loop BB10_4 Depth=1
                                        ; =>  This Inner Loop Header: Depth=2
	s_and_saveexec_b32 vcc_lo, s0
	s_cbranch_execz .LBB10_110
; %bb.109:                              ;   in Loop: Header=BB10_108 Depth=2
	s_ashr_i32 s101, s100, 31
	s_delay_alu instid0(SALU_CYCLE_1)
	v_lshl_add_u64 v[0:1], s[100:101], 3, v[54:55]
	global_load_b64 v[0:1], v[0:1], off
	s_wait_loadcnt 0x0
	ds_store_b64 v33, v[0:1]
.LBB10_110:                             ;   in Loop: Header=BB10_108 Depth=2
	s_wait_xcnt 0x0
	s_or_b32 exec_lo, exec_lo, vcc_lo
	v_add_nc_u64_e32 v[0:1], s[62:63], v[56:57]
	v_add_nc_u64_e32 v[2:3], s[66:67], v[56:57]
	;; [unrolled: 1-line block ×3, first 2 shown]
	s_wait_dscnt 0x0
	s_barrier_signal -1
	s_barrier_wait -1
	s_clause 0x3
	global_load_b64 v[64:65], v[56:57], off
	global_load_b64 v[62:63], v[0:1], off
	;; [unrolled: 1-line block ×4, first 2 shown]
	ds_load_b64 v[8:9], v91
	s_wait_xcnt 0x0
	ds_load_b128 v[4:7], v101
	v_add_nc_u64_e32 v[12:13], s[92:93], v[56:57]
	v_add_nc_u64_e32 v[20:21], s[70:71], v[56:57]
	;; [unrolled: 1-line block ×3, first 2 shown]
	ds_load_b128 v[0:3], v101 offset:16
	v_add_nc_u64_e32 v[74:75], s[74:75], v[56:57]
	v_add_nc_u64_e32 v[82:83], s[76:77], v[56:57]
	;; [unrolled: 1-line block ×4, first 2 shown]
	s_wait_loadcnt_dscnt 0x202
	v_dual_mul_f32 v14, v63, v9 :: v_dual_mul_f32 v15, v63, v8
	v_dual_mul_f32 v10, v65, v9 :: v_dual_mul_f32 v11, v65, v8
	s_wait_loadcnt 0x1
	v_dual_mul_f32 v16, v61, v9 :: v_dual_mul_f32 v17, v61, v8
	s_wait_loadcnt 0x0
	v_dual_mul_f32 v18, v59, v9 :: v_dual_mul_f32 v19, v59, v8
	v_dual_fmac_f32 v10, v64, v8 :: v_dual_fma_f32 v11, v64, v9, -v11
	v_dual_fmac_f32 v14, v62, v8 :: v_dual_fma_f32 v15, v62, v9, -v15
	;; [unrolled: 1-line block ×3, first 2 shown]
	s_delay_alu instid0(VALU_DEP_4)
	v_dual_fmac_f32 v18, v58, v8 :: v_dual_fma_f32 v19, v58, v9, -v19
	v_add_nc_u64_e32 v[8:9], s[90:91], v[56:57]
	ds_store_2addr_b64 v102, v[10:11], v[14:15] offset1:67
	ds_store_2addr_b64 v102, v[16:17], v[18:19] offset0:134 offset1:201
	s_wait_dscnt 0x0
	s_barrier_signal -1
	s_barrier_wait -1
	ds_load_2addr_b64 v[24:27], v103 offset1:1
	ds_load_2addr_b64 v[114:117], v103 offset0:2 offset1:3
	s_wait_dscnt 0x0
	s_barrier_signal -1
	s_barrier_wait -1
	s_clause 0x3
	global_load_b64 v[70:71], v[12:13], off
	global_load_b64 v[66:67], v[8:9], off
	;; [unrolled: 1-line block ×4, first 2 shown]
	s_wait_xcnt 0x3
	ds_load_b64 v[12:13], v91
	s_wait_xcnt 0x2
	ds_load_b128 v[8:11], v101 offset:128
	v_add_nc_u64_e32 v[16:17], s[88:89], v[56:57]
	v_add_nc_u64_e32 v[18:19], s[86:87], v[56:57]
	v_pk_add_f32 v[24:25], v[24:25], 0 op_sel_hi:[1,0]
	s_delay_alu instid0(VALU_DEP_1) | instskip(NEXT) | instid1(VALU_DEP_1)
	v_pk_add_f32 v[134:135], v[24:25], v[26:27]
	v_pk_add_f32 v[114:115], v[134:135], v[114:115]
	s_delay_alu instid0(VALU_DEP_1)
	v_pk_add_f32 v[114:115], v[114:115], v[116:117]
	s_wait_loadcnt_dscnt 0x301
	s_wait_xcnt 0x1
	v_dual_mul_f32 v20, v71, v13 :: v_dual_mul_f32 v14, v71, v12
	s_wait_loadcnt 0x2
	s_wait_xcnt 0x0
	v_dual_mul_f32 v22, v67, v13 :: v_dual_mul_f32 v15, v67, v12
	s_wait_loadcnt 0x1
	v_dual_mul_f32 v28, v73, v13 :: v_dual_mul_f32 v29, v73, v12
	s_wait_loadcnt 0x0
	v_dual_mul_f32 v30, v69, v13 :: v_dual_mul_f32 v31, v69, v12
	v_dual_fmac_f32 v20, v70, v12 :: v_dual_fma_f32 v21, v70, v13, -v14
	v_dual_fmac_f32 v22, v66, v12 :: v_dual_fma_f32 v23, v66, v13, -v15
	v_dual_fmac_f32 v28, v72, v12 :: v_dual_fma_f32 v29, v72, v13, -v29
	s_delay_alu instid0(VALU_DEP_4)
	v_dual_fmac_f32 v30, v68, v12 :: v_dual_fma_f32 v31, v68, v13, -v31
	ds_load_b128 v[12:15], v101 offset:144
	ds_store_2addr_b64 v102, v[20:21], v[22:23] offset1:67
	ds_store_2addr_b64 v102, v[28:29], v[30:31] offset0:134 offset1:201
	s_wait_dscnt 0x0
	s_barrier_signal -1
	s_barrier_wait -1
	ds_load_2addr_b64 v[28:31], v103 offset1:1
	ds_load_2addr_b64 v[118:121], v103 offset0:2 offset1:3
	s_wait_dscnt 0x0
	s_barrier_signal -1
	s_barrier_wait -1
	s_clause 0x3
	global_load_b64 v[80:81], v[16:17], off
	global_load_b64 v[78:79], v[18:19], off
	;; [unrolled: 1-line block ×4, first 2 shown]
	ds_load_b64 v[20:21], v91
	ds_load_b128 v[16:19], v101 offset:256
	v_pk_add_f32 v[24:25], v[28:29], 0 op_sel_hi:[1,0]
	s_delay_alu instid0(VALU_DEP_1) | instskip(NEXT) | instid1(VALU_DEP_1)
	v_pk_add_f32 v[136:137], v[24:25], v[30:31]
	v_pk_add_f32 v[116:117], v[136:137], v[118:119]
	s_delay_alu instid0(VALU_DEP_1)
	v_pk_add_f32 v[116:117], v[116:117], v[120:121]
	s_wait_loadcnt_dscnt 0x301
	s_wait_xcnt 0x0
	v_dual_mul_f32 v82, v81, v21 :: v_dual_mul_f32 v22, v81, v20
	s_wait_loadcnt 0x2
	v_dual_mul_f32 v84, v79, v21 :: v_dual_mul_f32 v23, v79, v20
	s_wait_loadcnt 0x1
	;; [unrolled: 2-line block ×3, first 2 shown]
	v_dual_mul_f32 v88, v75, v21 :: v_dual_mul_f32 v89, v75, v20
	v_dual_fmac_f32 v82, v80, v20 :: v_dual_fmac_f32 v84, v78, v20
	v_dual_fma_f32 v83, v80, v21, -v22 :: v_dual_fma_f32 v85, v78, v21, -v23
	v_dual_fmac_f32 v86, v76, v20 :: v_dual_fma_f32 v87, v76, v21, -v87
	s_delay_alu instid0(VALU_DEP_4)
	v_dual_fmac_f32 v88, v74, v20 :: v_dual_fma_f32 v89, v74, v21, -v89
	ds_load_b128 v[20:23], v101 offset:272
	ds_store_2addr_b64 v102, v[82:83], v[84:85] offset1:67
	ds_store_2addr_b64 v102, v[86:87], v[88:89] offset0:134 offset1:201
	s_wait_dscnt 0x0
	s_barrier_signal -1
	s_barrier_wait -1
	ds_load_2addr_b64 v[122:125], v103 offset1:1
	ds_load_2addr_b64 v[126:129], v103 offset0:2 offset1:3
	s_wait_dscnt 0x0
	s_barrier_signal -1
	s_barrier_wait -1
	s_clause 0x1
	global_load_b64 v[88:89], v[130:131], off
	global_load_b64 v[82:83], v[132:133], off
	v_add_nc_u64_e32 v[84:85], s[78:79], v[56:57]
	s_wait_xcnt 0x1
	v_add_nc_u64_e32 v[130:131], s[80:81], v[56:57]
	s_clause 0x1
	global_load_b64 v[86:87], v[84:85], off
	global_load_b64 v[84:85], v[130:131], off
	s_wait_xcnt 0x0
	ds_load_b64 v[130:131], v91
	ds_load_b128 v[24:27], v101 offset:384
	v_pk_add_f32 v[28:29], v[122:123], 0 op_sel_hi:[1,0]
	s_delay_alu instid0(VALU_DEP_1) | instskip(NEXT) | instid1(VALU_DEP_1)
	v_pk_add_f32 v[138:139], v[28:29], v[124:125]
	v_pk_add_f32 v[118:119], v[138:139], v[126:127]
	s_delay_alu instid0(VALU_DEP_1) | instskip(SKIP_3) | instid1(VALU_DEP_1)
	v_pk_add_f32 v[118:119], v[118:119], v[128:129]
	s_wait_loadcnt_dscnt 0x301
	v_dual_mul_f32 v31, v89, v130 :: v_dual_mul_f32 v28, v89, v131
	s_wait_loadcnt 0x2
	v_dual_mul_f32 v30, v83, v131 :: v_dual_fma_f32 v29, v88, v131, -v31
	s_delay_alu instid0(VALU_DEP_2) | instskip(SKIP_1) | instid1(VALU_DEP_2)
	v_dual_mul_f32 v31, v83, v130 :: v_dual_fmac_f32 v28, v88, v130
	s_wait_loadcnt 0x1
	v_dual_fmac_f32 v30, v82, v130 :: v_dual_mul_f32 v122, v87, v130
	s_delay_alu instid0(VALU_DEP_2) | instskip(SKIP_4) | instid1(VALU_DEP_2)
	v_fma_f32 v31, v82, v131, -v31
	ds_store_2addr_b64 v102, v[28:29], v[30:31] offset1:67
	s_wait_loadcnt 0x0
	v_dual_mul_f32 v28, v87, v131 :: v_dual_mul_f32 v30, v85, v131
	v_dual_fma_f32 v29, v86, v131, -v122 :: v_dual_mul_f32 v31, v85, v130
	v_dual_fmac_f32 v28, v86, v130 :: v_dual_fmac_f32 v30, v84, v130
	s_delay_alu instid0(VALU_DEP_2)
	v_fma_f32 v31, v84, v131, -v31
	ds_store_2addr_b64 v102, v[28:29], v[30:31] offset0:134 offset1:201
	ds_load_b128 v[28:31], v101 offset:400
	s_wait_dscnt 0x0
	s_barrier_signal -1
	s_barrier_wait -1
	ds_load_2addr_b64 v[122:125], v103 offset1:1
	ds_load_2addr_b64 v[130:133], v103 offset0:2 offset1:3
	s_wait_dscnt 0x0
	s_barrier_signal -1
	s_barrier_wait -1
	v_pk_add_f32 v[122:123], v[122:123], 0 op_sel_hi:[1,0]
	s_delay_alu instid0(VALU_DEP_1) | instskip(NEXT) | instid1(VALU_DEP_1)
	v_pk_add_f32 v[122:123], v[122:123], v[124:125]
	v_pk_add_f32 v[122:123], v[122:123], v[130:131]
	s_delay_alu instid0(VALU_DEP_1)
	v_pk_add_f32 v[120:121], v[122:123], v[132:133]
	ds_store_2addr_b64 v112, v[114:115], v[116:117] offset1:16
	ds_store_2addr_b64 v112, v[118:119], v[120:121] offset0:32 offset1:48
	s_wait_dscnt 0x0
	s_barrier_signal -1
	s_barrier_wait -1
	s_and_saveexec_b32 s101, s22
	s_cbranch_execz .LBB10_107
; %bb.111:                              ;   in Loop: Header=BB10_108 Depth=2
	ds_load_b64 v[126:127], v104
	ds_load_2addr_b64 v[114:117], v104 offset0:1 offset1:2
	ds_load_2addr_b64 v[118:121], v104 offset0:3 offset1:4
	;; [unrolled: 1-line block ×3, first 2 shown]
	s_wait_dscnt 0x2
	v_dual_add_f32 v114, v114, v126 :: v_dual_add_f32 v115, v115, v127
	s_delay_alu instid0(VALU_DEP_1) | instskip(SKIP_3) | instid1(VALU_DEP_1)
	v_dual_add_f32 v126, v116, v114 :: v_dual_add_f32 v127, v117, v115
	ds_load_2addr_b64 v[114:117], v104 offset0:7 offset1:8
	s_wait_dscnt 0x2
	v_dual_add_f32 v118, v126, v118 :: v_dual_add_f32 v119, v127, v119
	v_dual_add_f32 v126, v118, v120 :: v_dual_add_f32 v127, v119, v121
	ds_load_2addr_b64 v[118:121], v104 offset0:9 offset1:10
	s_wait_dscnt 0x2
	v_pk_add_f32 v[122:123], v[126:127], v[122:123]
	s_delay_alu instid0(VALU_DEP_1) | instskip(SKIP_3) | instid1(VALU_DEP_1)
	v_pk_add_f32 v[126:127], v[122:123], v[124:125]
	ds_load_2addr_b64 v[122:125], v104 offset0:11 offset1:12
	s_wait_dscnt 0x2
	v_pk_add_f32 v[114:115], v[126:127], v[114:115]
	v_pk_add_f32 v[114:115], v[114:115], v[116:117]
	s_wait_dscnt 0x1
	s_delay_alu instid0(VALU_DEP_1)
	v_pk_add_f32 v[118:119], v[114:115], v[118:119]
	ds_load_2addr_b64 v[114:117], v104 offset0:13 offset1:14
	v_pk_add_f32 v[118:119], v[118:119], v[120:121]
	ds_load_b64 v[120:121], v105
	s_wait_dscnt 0x2
	v_pk_add_f32 v[118:119], v[118:119], v[122:123]
	s_delay_alu instid0(VALU_DEP_1) | instskip(SKIP_1) | instid1(VALU_DEP_1)
	v_pk_add_f32 v[118:119], v[118:119], v[124:125]
	s_wait_dscnt 0x1
	v_pk_add_f32 v[114:115], v[118:119], v[114:115]
	s_delay_alu instid0(VALU_DEP_1) | instskip(SKIP_1) | instid1(VALU_DEP_1)
	v_pk_add_f32 v[114:115], v[114:115], v[116:117]
	s_wait_dscnt 0x0
	v_pk_add_f32 v[114:115], v[114:115], v[120:121]
	global_store_b64 v113, v[114:115], s[24:25] scale_offset
	s_branch .LBB10_107
.LBB10_112:                             ;   in Loop: Header=BB10_4 Depth=1
	ds_store_b64 v106, v[52:53]
	s_wait_dscnt 0x0
	s_barrier_signal -1
	s_barrier_wait -1
	s_and_saveexec_b32 s23, s17
	s_cbranch_execz .LBB10_2
; %bb.113:                              ;   in Loop: Header=BB10_4 Depth=1
	ds_load_2addr_b64 v[0:3], v90 offset1:67
	ds_load_2addr_b64 v[4:7], v90 offset0:134 offset1:201
	s_wait_dscnt 0x1
	v_pk_add_f32 v[0:1], v[2:3], v[0:1]
	v_lshl_add_u64 v[2:3], v[36:37], 3, s[24:25]
	s_wait_dscnt 0x0
	s_delay_alu instid0(VALU_DEP_2) | instskip(NEXT) | instid1(VALU_DEP_1)
	v_pk_add_f32 v[0:1], v[4:5], v[0:1]
	v_pk_add_f32 v[0:1], v[0:1], v[6:7]
	global_store_b64 v[2:3], v[0:1], off
	s_branch .LBB10_2
.LBB10_114:
	s_sendmsg sendmsg(MSG_DEALLOC_VGPRS)
	s_endpgm
	.section	.rodata,"a",@progbits
	.p2align	6, 0x0
	.amdhsa_kernel _ZL26rocblas_hemvn_kernel_lowerILb1ELi64ELi4ELi33ELi32ELi16EiPK19rocblas_complex_numIfES3_PS1_EviT6_lT7_lT5_lS6_lS7_lS5_lT8_i
		.amdhsa_group_segment_fixed_size 9600
		.amdhsa_private_segment_fixed_size 0
		.amdhsa_kernarg_size 376
		.amdhsa_user_sgpr_count 2
		.amdhsa_user_sgpr_dispatch_ptr 0
		.amdhsa_user_sgpr_queue_ptr 0
		.amdhsa_user_sgpr_kernarg_segment_ptr 1
		.amdhsa_user_sgpr_dispatch_id 0
		.amdhsa_user_sgpr_kernarg_preload_length 0
		.amdhsa_user_sgpr_kernarg_preload_offset 0
		.amdhsa_user_sgpr_private_segment_size 0
		.amdhsa_wavefront_size32 1
		.amdhsa_uses_dynamic_stack 0
		.amdhsa_enable_private_segment 0
		.amdhsa_system_sgpr_workgroup_id_x 1
		.amdhsa_system_sgpr_workgroup_id_y 0
		.amdhsa_system_sgpr_workgroup_id_z 1
		.amdhsa_system_sgpr_workgroup_info 0
		.amdhsa_system_vgpr_workitem_id 1
		.amdhsa_next_free_vgpr 141
		.amdhsa_next_free_sgpr 105
		.amdhsa_named_barrier_count 0
		.amdhsa_reserve_vcc 1
		.amdhsa_float_round_mode_32 0
		.amdhsa_float_round_mode_16_64 0
		.amdhsa_float_denorm_mode_32 3
		.amdhsa_float_denorm_mode_16_64 3
		.amdhsa_fp16_overflow 0
		.amdhsa_memory_ordered 1
		.amdhsa_forward_progress 1
		.amdhsa_inst_pref_size 61
		.amdhsa_round_robin_scheduling 0
		.amdhsa_exception_fp_ieee_invalid_op 0
		.amdhsa_exception_fp_denorm_src 0
		.amdhsa_exception_fp_ieee_div_zero 0
		.amdhsa_exception_fp_ieee_overflow 0
		.amdhsa_exception_fp_ieee_underflow 0
		.amdhsa_exception_fp_ieee_inexact 0
		.amdhsa_exception_int_div_zero 0
	.end_amdhsa_kernel
	.section	.text._ZL26rocblas_hemvn_kernel_lowerILb1ELi64ELi4ELi33ELi32ELi16EiPK19rocblas_complex_numIfES3_PS1_EviT6_lT7_lT5_lS6_lS7_lS5_lT8_i,"axG",@progbits,_ZL26rocblas_hemvn_kernel_lowerILb1ELi64ELi4ELi33ELi32ELi16EiPK19rocblas_complex_numIfES3_PS1_EviT6_lT7_lT5_lS6_lS7_lS5_lT8_i,comdat
.Lfunc_end10:
	.size	_ZL26rocblas_hemvn_kernel_lowerILb1ELi64ELi4ELi33ELi32ELi16EiPK19rocblas_complex_numIfES3_PS1_EviT6_lT7_lT5_lS6_lS7_lS5_lT8_i, .Lfunc_end10-_ZL26rocblas_hemvn_kernel_lowerILb1ELi64ELi4ELi33ELi32ELi16EiPK19rocblas_complex_numIfES3_PS1_EviT6_lT7_lT5_lS6_lS7_lS5_lT8_i
                                        ; -- End function
	.set _ZL26rocblas_hemvn_kernel_lowerILb1ELi64ELi4ELi33ELi32ELi16EiPK19rocblas_complex_numIfES3_PS1_EviT6_lT7_lT5_lS6_lS7_lS5_lT8_i.num_vgpr, 141
	.set _ZL26rocblas_hemvn_kernel_lowerILb1ELi64ELi4ELi33ELi32ELi16EiPK19rocblas_complex_numIfES3_PS1_EviT6_lT7_lT5_lS6_lS7_lS5_lT8_i.num_agpr, 0
	.set _ZL26rocblas_hemvn_kernel_lowerILb1ELi64ELi4ELi33ELi32ELi16EiPK19rocblas_complex_numIfES3_PS1_EviT6_lT7_lT5_lS6_lS7_lS5_lT8_i.numbered_sgpr, 105
	.set _ZL26rocblas_hemvn_kernel_lowerILb1ELi64ELi4ELi33ELi32ELi16EiPK19rocblas_complex_numIfES3_PS1_EviT6_lT7_lT5_lS6_lS7_lS5_lT8_i.num_named_barrier, 0
	.set _ZL26rocblas_hemvn_kernel_lowerILb1ELi64ELi4ELi33ELi32ELi16EiPK19rocblas_complex_numIfES3_PS1_EviT6_lT7_lT5_lS6_lS7_lS5_lT8_i.private_seg_size, 0
	.set _ZL26rocblas_hemvn_kernel_lowerILb1ELi64ELi4ELi33ELi32ELi16EiPK19rocblas_complex_numIfES3_PS1_EviT6_lT7_lT5_lS6_lS7_lS5_lT8_i.uses_vcc, 1
	.set _ZL26rocblas_hemvn_kernel_lowerILb1ELi64ELi4ELi33ELi32ELi16EiPK19rocblas_complex_numIfES3_PS1_EviT6_lT7_lT5_lS6_lS7_lS5_lT8_i.uses_flat_scratch, 0
	.set _ZL26rocblas_hemvn_kernel_lowerILb1ELi64ELi4ELi33ELi32ELi16EiPK19rocblas_complex_numIfES3_PS1_EviT6_lT7_lT5_lS6_lS7_lS5_lT8_i.has_dyn_sized_stack, 0
	.set _ZL26rocblas_hemvn_kernel_lowerILb1ELi64ELi4ELi33ELi32ELi16EiPK19rocblas_complex_numIfES3_PS1_EviT6_lT7_lT5_lS6_lS7_lS5_lT8_i.has_recursion, 0
	.set _ZL26rocblas_hemvn_kernel_lowerILb1ELi64ELi4ELi33ELi32ELi16EiPK19rocblas_complex_numIfES3_PS1_EviT6_lT7_lT5_lS6_lS7_lS5_lT8_i.has_indirect_call, 0
	.section	.AMDGPU.csdata,"",@progbits
; Kernel info:
; codeLenInByte = 7804
; TotalNumSgprs: 107
; NumVgprs: 141
; ScratchSize: 0
; MemoryBound: 1
; FloatMode: 240
; IeeeMode: 1
; LDSByteSize: 9600 bytes/workgroup (compile time only)
; SGPRBlocks: 0
; VGPRBlocks: 8
; NumSGPRsForWavesPerEU: 107
; NumVGPRsForWavesPerEU: 141
; NamedBarCnt: 0
; Occupancy: 7
; WaveLimiterHint : 0
; COMPUTE_PGM_RSRC2:SCRATCH_EN: 0
; COMPUTE_PGM_RSRC2:USER_SGPR: 2
; COMPUTE_PGM_RSRC2:TRAP_HANDLER: 0
; COMPUTE_PGM_RSRC2:TGID_X_EN: 1
; COMPUTE_PGM_RSRC2:TGID_Y_EN: 0
; COMPUTE_PGM_RSRC2:TGID_Z_EN: 1
; COMPUTE_PGM_RSRC2:TIDIG_COMP_CNT: 1
	.section	.text._ZL36rocblas_hemvn_kernel_lower_block_sumILi64EiPK19rocblas_complex_numIfEPS1_S1_EviT1_lS5_lT2_lT0_lPT3_i,"axG",@progbits,_ZL36rocblas_hemvn_kernel_lower_block_sumILi64EiPK19rocblas_complex_numIfEPS1_S1_EviT1_lS5_lT2_lT0_lPT3_i,comdat
	.globl	_ZL36rocblas_hemvn_kernel_lower_block_sumILi64EiPK19rocblas_complex_numIfEPS1_S1_EviT1_lS5_lT2_lT0_lPT3_i ; -- Begin function _ZL36rocblas_hemvn_kernel_lower_block_sumILi64EiPK19rocblas_complex_numIfEPS1_S1_EviT1_lS5_lT2_lT0_lPT3_i
	.p2align	8
	.type	_ZL36rocblas_hemvn_kernel_lower_block_sumILi64EiPK19rocblas_complex_numIfEPS1_S1_EviT1_lS5_lT2_lT0_lPT3_i,@function
_ZL36rocblas_hemvn_kernel_lower_block_sumILi64EiPK19rocblas_complex_numIfEPS1_S1_EviT1_lS5_lT2_lT0_lPT3_i: ; @_ZL36rocblas_hemvn_kernel_lower_block_sumILi64EiPK19rocblas_complex_numIfEPS1_S1_EviT1_lS5_lT2_lT0_lPT3_i
; %bb.0:
	s_load_b32 s3, s[0:1], 0x50
	s_bfe_u32 s2, ttmp6, 0x40014
	s_lshr_b32 s4, ttmp7, 16
	s_add_co_i32 s2, s2, 1
	s_bfe_u32 s6, ttmp6, 0x40008
	s_mul_i32 s5, s4, s2
	s_getreg_b32 s2, hwreg(HW_REG_IB_STS2, 6, 4)
	s_add_co_i32 s6, s6, s5
	s_cmp_eq_u32 s2, 0
	s_mov_b32 s17, 0
	s_cselect_b32 s16, s4, s6
	s_wait_kmcnt 0x0
	s_cmp_ge_u32 s16, s3
	s_cbranch_scc1 .LBB11_21
; %bb.1:
	s_clause 0x1
	s_load_b128 s[20:23], s[0:1], 0x28
	s_load_b32 s24, s[0:1], 0x0
	s_bfe_u32 s4, ttmp6, 0x4000c
	s_clause 0x1
	s_load_b32 s25, s[0:1], 0x38
	s_load_b128 s[12:15], s[0:1], 0x40
	s_add_co_i32 s4, s4, 1
	s_and_b32 s5, ttmp6, 15
	s_mul_i32 s4, ttmp9, s4
	s_delay_alu instid0(SALU_CYCLE_1)
	s_add_co_i32 s5, s5, s4
	s_wait_kmcnt 0x0
	s_lshl_b64 s[18:19], s[22:23], 3
	s_cmp_eq_u32 s2, 0
	s_add_nc_u64 s[18:19], s[20:21], s[18:19]
	s_cselect_b32 s28, ttmp9, s5
	s_load_b256 s[4:11], s[0:1], 0x8
	v_lshl_or_b32 v1, s28, 6, v0
	s_wait_xcnt 0x0
	s_add_nc_u64 s[0:1], s[0:1], 0x58
	s_delay_alu instid0(VALU_DEP_1) | instskip(SKIP_4) | instid1(VALU_DEP_1)
	v_mad_u32 v2, s24, s28, v1
	v_mul_lo_u32 v0, s25, v1
	v_cmp_gt_i32_e64 s2, s24, v1
	s_ashr_i32 s25, s24, 31
	v_dual_ashrrev_i32 v3, 31, v2 :: v_dual_ashrrev_i32 v1, 31, v0
	v_lshl_add_u64 v[2:3], v[2:3], 3, s[14:15]
	s_lshl_b64 s[14:15], s[24:25], 3
	s_branch .LBB11_5
.LBB11_2:                               ;   in Loop: Header=BB11_5 Depth=1
	global_store_b64 v[6:7], v[8:9], off
.LBB11_3:                               ;   in Loop: Header=BB11_5 Depth=1
	s_wait_xcnt 0x0
	s_or_b32 exec_lo, exec_lo, s29
.LBB11_4:                               ;   in Loop: Header=BB11_5 Depth=1
	s_add_co_i32 s16, s16, 0x10000
	s_delay_alu instid0(SALU_CYCLE_1)
	s_cmp_lt_u32 s16, s3
	s_cbranch_scc0 .LBB11_21
.LBB11_5:                               ; =>This Loop Header: Depth=1
                                        ;     Child Loop BB11_16 Depth 2
	s_wait_kmcnt 0x0
	s_mul_u64 s[20:21], s[6:7], s[16:17]
	s_delay_alu instid0(SALU_CYCLE_1) | instskip(NEXT) | instid1(SALU_CYCLE_1)
	s_lshl_b64 s[20:21], s[20:21], 3
	s_add_nc_u64 s[22:23], s[4:5], s[20:21]
	s_load_b64 s[20:21], s[22:23], 0x0
	s_wait_xcnt 0x0
	s_mul_u64 s[22:23], s[10:11], s[16:17]
	s_delay_alu instid0(SALU_CYCLE_1) | instskip(NEXT) | instid1(SALU_CYCLE_1)
	s_lshl_b64 s[22:23], s[22:23], 3
	s_add_nc_u64 s[24:25], s[8:9], s[22:23]
	s_load_b64 s[22:23], s[24:25], 0x0
	s_wait_kmcnt 0x0
	s_wait_xcnt 0x0
	s_or_b32 s24, s20, s21
	s_delay_alu instid0(SALU_CYCLE_1) | instskip(NEXT) | instid1(SALU_CYCLE_1)
	s_bitset0_b32 s24, 31
	s_cmp_eq_u32 s24, 0
	s_cselect_b32 s26, -1, 0
	s_cmp_eq_f32 s22, 1.0
	s_cselect_b32 s24, -1, 0
	s_cmp_eq_f32 s23, 0
	s_cselect_b32 s25, -1, 0
	s_delay_alu instid0(SALU_CYCLE_1) | instskip(NEXT) | instid1(SALU_CYCLE_1)
	s_and_b32 s24, s24, s25
	s_and_b32 s24, s26, s24
	s_delay_alu instid0(SALU_CYCLE_1)
	s_and_b32 vcc_lo, exec_lo, s24
	s_cbranch_vccnz .LBB11_4
; %bb.6:                                ;   in Loop: Header=BB11_5 Depth=1
	s_mul_u64 s[24:25], s[12:13], s[16:17]
	s_and_not1_b32 vcc_lo, exec_lo, s26
	s_lshl_b64 s[24:25], s[24:25], 3
	s_mov_b32 s26, -1
	s_add_nc_u64 s[24:25], s[18:19], s[24:25]
	s_cbranch_vccnz .LBB11_12
; %bb.7:                                ;   in Loop: Header=BB11_5 Depth=1
	s_and_saveexec_b32 s26, s2
	s_cbranch_execz .LBB11_11
; %bb.8:                                ;   in Loop: Header=BB11_5 Depth=1
	s_cmp_neq_f32 s22, 0
	v_dual_mov_b32 v4, 0 :: v_dual_mov_b32 v5, 0
	s_cselect_b32 s27, -1, 0
	s_cmp_neq_f32 s23, 0
	s_cselect_b32 s29, -1, 0
	s_delay_alu instid0(SALU_CYCLE_1) | instskip(NEXT) | instid1(SALU_CYCLE_1)
	s_or_b32 s27, s27, s29
	s_and_not1_b32 vcc_lo, exec_lo, s27
	s_cbranch_vccnz .LBB11_10
; %bb.9:                                ;   in Loop: Header=BB11_5 Depth=1
	v_lshl_add_u64 v[4:5], v[0:1], 3, s[24:25]
	v_mov_b64_e32 v[6:7], s[22:23]
	global_load_b64 v[4:5], v[4:5], off
	s_wait_loadcnt 0x0
	v_pk_mul_f32 v[8:9], v[4:5], v[6:7] op_sel:[1,1] op_sel_hi:[1,0]
	s_delay_alu instid0(VALU_DEP_1) | instskip(SKIP_2) | instid1(VALU_DEP_2)
	v_pk_fma_f32 v[10:11], v[4:5], v[6:7], v[8:9] op_sel_hi:[0,1,1]
	s_wait_xcnt 0x0
	v_pk_fma_f32 v[4:5], v[4:5], v[6:7], v[8:9] neg_lo:[0,0,1] neg_hi:[0,0,1]
	v_mov_b32_e32 v5, v11
.LBB11_10:                              ;   in Loop: Header=BB11_5 Depth=1
	v_lshl_add_u64 v[6:7], v[0:1], 3, s[24:25]
	global_store_b64 v[6:7], v[4:5], off
.LBB11_11:                              ;   in Loop: Header=BB11_5 Depth=1
	s_wait_xcnt 0x0
	s_or_b32 exec_lo, exec_lo, s26
	s_mov_b32 s26, 0
.LBB11_12:                              ;   in Loop: Header=BB11_5 Depth=1
	s_delay_alu instid0(SALU_CYCLE_1)
	s_and_not1_b32 vcc_lo, exec_lo, s26
	s_cbranch_vccnz .LBB11_4
; %bb.13:                               ;   in Loop: Header=BB11_5 Depth=1
	s_and_saveexec_b32 s29, s2
	s_cbranch_execz .LBB11_3
; %bb.14:                               ;   in Loop: Header=BB11_5 Depth=1
	s_load_b32 s26, s[0:1], 0x0
	v_mov_b32_e32 v5, 0
	s_delay_alu instid0(VALU_DEP_1)
	v_mov_b32_e32 v4, v5
	s_wait_kmcnt 0x0
	s_cmp_ge_i32 s28, s26
	s_cbranch_scc1 .LBB11_17
; %bb.15:                               ;   in Loop: Header=BB11_5 Depth=1
	s_mov_b32 s27, s17
	v_mov_b32_e32 v4, 0
	s_mul_u64 s[30:31], s[14:15], s[26:27]
	s_mov_b32 s27, s28
	v_mad_nc_u64_u32 v[6:7], s30, s16, v[2:3]
	s_delay_alu instid0(VALU_DEP_2) | instskip(NEXT) | instid1(VALU_DEP_2)
	v_mov_b32_e32 v5, v4
	v_mad_u32 v7, s31, s16, v7
.LBB11_16:                              ;   Parent Loop BB11_5 Depth=1
                                        ; =>  This Inner Loop Header: Depth=2
	global_load_b64 v[8:9], v[6:7], off
	s_wait_xcnt 0x0
	v_add_nc_u64_e32 v[6:7], s[14:15], v[6:7]
	s_add_co_i32 s27, s27, 1
	s_delay_alu instid0(SALU_CYCLE_1)
	s_cmp_ge_i32 s27, s26
	s_wait_loadcnt 0x0
	v_pk_add_f32 v[4:5], v[4:5], v[8:9]
	s_cbranch_scc0 .LBB11_16
.LBB11_17:                              ;   in Loop: Header=BB11_5 Depth=1
	s_cmp_neq_f32 s22, 0
                                        ; implicit-def: $vgpr9
	s_cselect_b32 s26, -1, 0
	s_cmp_neq_f32 s23, 0
	s_cselect_b32 s27, -1, 0
	s_delay_alu instid0(SALU_CYCLE_1) | instskip(NEXT) | instid1(SALU_CYCLE_1)
	s_or_b32 s26, s26, s27
	s_and_not1_b32 vcc_lo, exec_lo, s26
	s_mov_b32 s26, -1
	s_cbranch_vccz .LBB11_19
; %bb.18:                               ;   in Loop: Header=BB11_5 Depth=1
	v_mov_b64_e32 v[6:7], s[20:21]
	s_mov_b32 s26, 0
	s_delay_alu instid0(VALU_DEP_1) | instskip(SKIP_1) | instid1(VALU_DEP_2)
	v_pk_mul_f32 v[10:11], v[4:5], v[6:7] op_sel:[1,1] op_sel_hi:[1,0]
	v_pk_mul_f32 v[12:13], v[4:5], v[6:7] op_sel_hi:[0,1]
	v_pk_fma_f32 v[8:9], v[4:5], v[6:7], v[10:11] op_sel_hi:[0,1,1]
	s_delay_alu instid0(VALU_DEP_2)
	v_sub_f32_e32 v8, v12, v10
.LBB11_19:                              ;   in Loop: Header=BB11_5 Depth=1
	v_lshl_add_u64 v[6:7], v[0:1], 3, s[24:25]
	s_and_not1_b32 vcc_lo, exec_lo, s26
	s_cbranch_vccnz .LBB11_2
; %bb.20:                               ;   in Loop: Header=BB11_5 Depth=1
	global_load_b64 v[8:9], v[6:7], off
	v_mov_b64_e32 v[10:11], s[22:23]
	v_mov_b64_e32 v[12:13], s[20:21]
	s_delay_alu instid0(VALU_DEP_1) | instskip(NEXT) | instid1(VALU_DEP_1)
	v_pk_mul_f32 v[16:17], v[4:5], v[12:13] op_sel:[1,1] op_sel_hi:[1,0]
	v_pk_fma_f32 v[20:21], v[4:5], v[12:13], v[16:17] op_sel_hi:[0,1,1]
	v_pk_fma_f32 v[4:5], v[4:5], v[12:13], v[16:17] neg_lo:[0,0,1] neg_hi:[0,0,1]
	s_delay_alu instid0(VALU_DEP_2) | instskip(SKIP_2) | instid1(VALU_DEP_1)
	v_mov_b32_e32 v5, v21
	s_wait_loadcnt 0x0
	v_pk_mul_f32 v[14:15], v[8:9], v[10:11] op_sel:[1,1] op_sel_hi:[1,0]
	v_pk_fma_f32 v[18:19], v[8:9], v[10:11], v[14:15] op_sel_hi:[0,1,1]
	v_pk_fma_f32 v[8:9], v[8:9], v[10:11], v[14:15] neg_lo:[0,0,1] neg_hi:[0,0,1]
	s_delay_alu instid0(VALU_DEP_2) | instskip(NEXT) | instid1(VALU_DEP_1)
	v_mov_b32_e32 v9, v19
	v_pk_add_f32 v[8:9], v[4:5], v[8:9]
	s_branch .LBB11_2
.LBB11_21:
	s_endpgm
	.section	.rodata,"a",@progbits
	.p2align	6, 0x0
	.amdhsa_kernel _ZL36rocblas_hemvn_kernel_lower_block_sumILi64EiPK19rocblas_complex_numIfEPS1_S1_EviT1_lS5_lT2_lT0_lPT3_i
		.amdhsa_group_segment_fixed_size 0
		.amdhsa_private_segment_fixed_size 0
		.amdhsa_kernarg_size 344
		.amdhsa_user_sgpr_count 2
		.amdhsa_user_sgpr_dispatch_ptr 0
		.amdhsa_user_sgpr_queue_ptr 0
		.amdhsa_user_sgpr_kernarg_segment_ptr 1
		.amdhsa_user_sgpr_dispatch_id 0
		.amdhsa_user_sgpr_kernarg_preload_length 0
		.amdhsa_user_sgpr_kernarg_preload_offset 0
		.amdhsa_user_sgpr_private_segment_size 0
		.amdhsa_wavefront_size32 1
		.amdhsa_uses_dynamic_stack 0
		.amdhsa_enable_private_segment 0
		.amdhsa_system_sgpr_workgroup_id_x 1
		.amdhsa_system_sgpr_workgroup_id_y 0
		.amdhsa_system_sgpr_workgroup_id_z 1
		.amdhsa_system_sgpr_workgroup_info 0
		.amdhsa_system_vgpr_workitem_id 0
		.amdhsa_next_free_vgpr 22
		.amdhsa_next_free_sgpr 32
		.amdhsa_named_barrier_count 0
		.amdhsa_reserve_vcc 1
		.amdhsa_float_round_mode_32 0
		.amdhsa_float_round_mode_16_64 0
		.amdhsa_float_denorm_mode_32 3
		.amdhsa_float_denorm_mode_16_64 3
		.amdhsa_fp16_overflow 0
		.amdhsa_memory_ordered 1
		.amdhsa_forward_progress 1
		.amdhsa_inst_pref_size 8
		.amdhsa_round_robin_scheduling 0
		.amdhsa_exception_fp_ieee_invalid_op 0
		.amdhsa_exception_fp_denorm_src 0
		.amdhsa_exception_fp_ieee_div_zero 0
		.amdhsa_exception_fp_ieee_overflow 0
		.amdhsa_exception_fp_ieee_underflow 0
		.amdhsa_exception_fp_ieee_inexact 0
		.amdhsa_exception_int_div_zero 0
	.end_amdhsa_kernel
	.section	.text._ZL36rocblas_hemvn_kernel_lower_block_sumILi64EiPK19rocblas_complex_numIfEPS1_S1_EviT1_lS5_lT2_lT0_lPT3_i,"axG",@progbits,_ZL36rocblas_hemvn_kernel_lower_block_sumILi64EiPK19rocblas_complex_numIfEPS1_S1_EviT1_lS5_lT2_lT0_lPT3_i,comdat
.Lfunc_end11:
	.size	_ZL36rocblas_hemvn_kernel_lower_block_sumILi64EiPK19rocblas_complex_numIfEPS1_S1_EviT1_lS5_lT2_lT0_lPT3_i, .Lfunc_end11-_ZL36rocblas_hemvn_kernel_lower_block_sumILi64EiPK19rocblas_complex_numIfEPS1_S1_EviT1_lS5_lT2_lT0_lPT3_i
                                        ; -- End function
	.set _ZL36rocblas_hemvn_kernel_lower_block_sumILi64EiPK19rocblas_complex_numIfEPS1_S1_EviT1_lS5_lT2_lT0_lPT3_i.num_vgpr, 22
	.set _ZL36rocblas_hemvn_kernel_lower_block_sumILi64EiPK19rocblas_complex_numIfEPS1_S1_EviT1_lS5_lT2_lT0_lPT3_i.num_agpr, 0
	.set _ZL36rocblas_hemvn_kernel_lower_block_sumILi64EiPK19rocblas_complex_numIfEPS1_S1_EviT1_lS5_lT2_lT0_lPT3_i.numbered_sgpr, 32
	.set _ZL36rocblas_hemvn_kernel_lower_block_sumILi64EiPK19rocblas_complex_numIfEPS1_S1_EviT1_lS5_lT2_lT0_lPT3_i.num_named_barrier, 0
	.set _ZL36rocblas_hemvn_kernel_lower_block_sumILi64EiPK19rocblas_complex_numIfEPS1_S1_EviT1_lS5_lT2_lT0_lPT3_i.private_seg_size, 0
	.set _ZL36rocblas_hemvn_kernel_lower_block_sumILi64EiPK19rocblas_complex_numIfEPS1_S1_EviT1_lS5_lT2_lT0_lPT3_i.uses_vcc, 1
	.set _ZL36rocblas_hemvn_kernel_lower_block_sumILi64EiPK19rocblas_complex_numIfEPS1_S1_EviT1_lS5_lT2_lT0_lPT3_i.uses_flat_scratch, 0
	.set _ZL36rocblas_hemvn_kernel_lower_block_sumILi64EiPK19rocblas_complex_numIfEPS1_S1_EviT1_lS5_lT2_lT0_lPT3_i.has_dyn_sized_stack, 0
	.set _ZL36rocblas_hemvn_kernel_lower_block_sumILi64EiPK19rocblas_complex_numIfEPS1_S1_EviT1_lS5_lT2_lT0_lPT3_i.has_recursion, 0
	.set _ZL36rocblas_hemvn_kernel_lower_block_sumILi64EiPK19rocblas_complex_numIfEPS1_S1_EviT1_lS5_lT2_lT0_lPT3_i.has_indirect_call, 0
	.section	.AMDGPU.csdata,"",@progbits
; Kernel info:
; codeLenInByte = 920
; TotalNumSgprs: 34
; NumVgprs: 22
; ScratchSize: 0
; MemoryBound: 0
; FloatMode: 240
; IeeeMode: 1
; LDSByteSize: 0 bytes/workgroup (compile time only)
; SGPRBlocks: 0
; VGPRBlocks: 1
; NumSGPRsForWavesPerEU: 34
; NumVGPRsForWavesPerEU: 22
; NamedBarCnt: 0
; Occupancy: 16
; WaveLimiterHint : 0
; COMPUTE_PGM_RSRC2:SCRATCH_EN: 0
; COMPUTE_PGM_RSRC2:USER_SGPR: 2
; COMPUTE_PGM_RSRC2:TRAP_HANDLER: 0
; COMPUTE_PGM_RSRC2:TGID_X_EN: 1
; COMPUTE_PGM_RSRC2:TGID_Y_EN: 0
; COMPUTE_PGM_RSRC2:TGID_Z_EN: 1
; COMPUTE_PGM_RSRC2:TIDIG_COMP_CNT: 0
	.section	.text._ZL26rocblas_hemvn_kernel_lowerILb1ELi64ELi4ELi33ELi32ELi16El19rocblas_complex_numIfEPKS1_PS1_EviT6_lT7_lT5_lS6_lS7_lS5_lT8_i,"axG",@progbits,_ZL26rocblas_hemvn_kernel_lowerILb1ELi64ELi4ELi33ELi32ELi16El19rocblas_complex_numIfEPKS1_PS1_EviT6_lT7_lT5_lS6_lS7_lS5_lT8_i,comdat
	.globl	_ZL26rocblas_hemvn_kernel_lowerILb1ELi64ELi4ELi33ELi32ELi16El19rocblas_complex_numIfEPKS1_PS1_EviT6_lT7_lT5_lS6_lS7_lS5_lT8_i ; -- Begin function _ZL26rocblas_hemvn_kernel_lowerILb1ELi64ELi4ELi33ELi32ELi16El19rocblas_complex_numIfEPKS1_PS1_EviT6_lT7_lT5_lS6_lS7_lS5_lT8_i
	.p2align	8
	.type	_ZL26rocblas_hemvn_kernel_lowerILb1ELi64ELi4ELi33ELi32ELi16El19rocblas_complex_numIfEPKS1_PS1_EviT6_lT7_lT5_lS6_lS7_lS5_lT8_i,@function
_ZL26rocblas_hemvn_kernel_lowerILb1ELi64ELi4ELi33ELi32ELi16El19rocblas_complex_numIfEPKS1_PS1_EviT6_lT7_lT5_lS6_lS7_lS5_lT8_i: ; @_ZL26rocblas_hemvn_kernel_lowerILb1ELi64ELi4ELi33ELi32ELi16El19rocblas_complex_numIfEPKS1_PS1_EviT6_lT7_lT5_lS6_lS7_lS5_lT8_i
; %bb.0:
	s_clause 0x1
	s_load_b64 s[2:3], s[0:1], 0x84
	s_load_b32 s33, s[0:1], 0x70
	s_bfe_u32 s4, ttmp6, 0x40014
	s_lshr_b32 s5, ttmp7, 16
	s_add_co_i32 s4, s4, 1
	s_bfe_u32 s6, ttmp6, 0x40008
	s_mul_i32 s7, s5, s4
	s_getreg_b32 s4, hwreg(HW_REG_IB_STS2, 6, 4)
	s_add_co_i32 s6, s6, s7
	s_mov_b32 s27, 0
	s_wait_kmcnt 0x0
	s_lshr_b32 s7, s2, 16
	s_and_b32 s2, s2, 0xffff
	s_and_b32 s3, s3, 0xffff
	s_mul_i32 s2, s7, s2
	s_cmp_eq_u32 s4, 0
	s_mul_i32 s2, s2, s3
	s_cselect_b32 s24, s5, s6
	s_cmp_lg_u32 s2, 0x100
	s_cselect_b32 s2, -1, 0
	s_cmp_ge_u32 s24, s33
	s_cselect_b32 s3, -1, 0
	s_delay_alu instid0(SALU_CYCLE_1) | instskip(NEXT) | instid1(SALU_CYCLE_1)
	s_or_b32 s2, s2, s3
	s_and_b32 vcc_lo, exec_lo, s2
	s_cbranch_vccnz .LBB12_112
; %bb.1:
	s_clause 0x4
	s_load_b32 s2, s[0:1], 0x0
	s_load_b64 s[8:9], s[0:1], 0x4
	s_load_b512 s[36:51], s[0:1], 0x18
	s_load_b64 s[6:7], s[0:1], 0x68
	s_load_b64 s[12:13], s[0:1], 0x58
	s_bfe_u32 s5, ttmp6, 0x4000c
	s_add_nc_u64 s[10:11], s[0:1], 0x78
	s_add_co_i32 s5, s5, 1
	s_and_b32 s3, ttmp6, 15
	s_wait_xcnt 0x0
	s_mul_i32 s0, ttmp9, s5
	v_and_b32_e32 v32, 0x3ff, v0
	s_add_co_i32 s0, s3, s0
	v_bfe_u32 v1, v0, 10, 10
	s_load_b32 s26, s[10:11], 0x0
	v_dual_mov_b32 v35, 0 :: v_dual_bitop2_b32 v34, 31, v0 bitop3:0x40
	v_lshlrev_b32_e32 v33, 3, v32
	s_delay_alu instid0(VALU_DEP_3) | instskip(SKIP_1) | instid1(VALU_DEP_4)
	v_lshl_add_u32 v8, v1, 6, v32
	v_mov_b64_e32 v[48:49], 0
	v_lshlrev_b32_e32 v9, 3, v34
	v_mul_u32_u24_e32 v16, 33, v34
	s_wait_kmcnt 0x0
	s_ashr_i32 s3, s2, 31
	s_cmp_eq_u32 s4, 0
	v_add_nc_u32_e32 v88, 0x2380, v33
	s_cselect_b32 s94, ttmp9, s0
	s_or_b32 s0, s8, s9
	s_lshl_b64 s[4:5], s[46:47], 3
	s_bitset0_b32 s0, 31
	s_lshl_b64 s[8:9], s[38:39], 3
	s_cmp_lg_u32 s0, 0
	s_add_nc_u64 s[10:11], s[44:45], s[4:5]
	s_cselect_b32 s25, -1, 0
	s_cmp_neq_f32 s12, 1.0
	s_mul_u64 s[30:31], s[26:27], s[2:3]
	s_add_nc_u64 s[8:9], s[36:37], s[8:9]
	s_mul_i32 s12, s2, s94
	s_cselect_b32 s58, -1, 0
	s_cmp_neq_f32 s13, 0
	v_cmp_eq_u32_e64 s0, 0, v1
	v_sub_nc_u64_e32 v[36:37], 0, v[34:35]
	v_mad_u32_u24 v89, 0x108, v34, v9
	s_cselect_b32 s59, -1, 0
	s_lshl_b32 s22, s94, 6
	s_lshr_b32 s1, s3, 26
	v_add_nc_u32_e32 v38, s22, v32
	v_lshrrev_b32_e32 v10, 5, v8
	s_add_co_i32 s1, s2, s1
	s_add_co_i32 s3, s26, -1
	s_and_not1_b32 s1, s1, 63
	v_ashrrev_i32_e32 v39, 31, v38
	v_add_nc_u32_e32 v14, 24, v10
	v_mad_nc_u64_u32 v[2:3], s40, v10, v[34:35]
	s_sub_co_i32 s1, s2, s1
	s_cmp_eq_u32 s94, s3
	v_mul_u64_e32 v[4:5], s[48:49], v[38:39]
	s_cselect_b32 s34, s1, 0
	v_dual_add_nc_u32 v12, 8, v10 :: v_dual_add_nc_u32 v13, 16, v10
	s_cmp_eq_u32 s34, 0
	v_mul_u32_u24_e32 v11, 0x108, v10
	s_cselect_b32 s95, -1, 0
	s_cmp_lg_u32 s34, 0
	s_delay_alu instid0(VALU_DEP_4)
	v_mad_u32 v3, s41, v10, v3
	s_cselect_b32 s5, -1, 0
	s_ashr_i32 s23, s22, 31
	s_ashr_i32 s13, s12, 31
	s_lshl_b64 s[14:15], s[22:23], 3
	s_mul_u64 s[56:57], s[40:41], s[22:23]
	s_add_nc_u64 s[8:9], s[8:9], s[14:15]
	s_sub_co_i32 s20, s34, 32
	v_cmp_gt_i32_e64 s2, s34, v10
	v_cmp_gt_i32_e64 s3, s34, v12
	;; [unrolled: 1-line block ×3, first 2 shown]
	v_lshl_add_u64 v[6:7], v[2:3], 3, s[8:9]
	s_lshl_b64 s[8:9], s[12:13], 3
	v_cmp_gt_i32_e64 s18, s20, v12
	s_add_nc_u64 s[44:45], s[6:7], s[8:9]
	v_cmp_eq_u32_e64 s21, 1, v10
	v_lshl_add_u64 v[40:41], s[56:57], 3, v[6:7]
	v_mul_u32_u24_e32 v7, 0x420, v10
	v_mul_i32_i24_e32 v12, 0xffffffe8, v10
	v_cmp_gt_i32_e64 s4, s34, v13
	v_cmp_gt_i32_e64 s19, s20, v13
	v_sub_nc_u64_e32 v[44:45], 0, v[2:3]
	v_cmp_le_i32_e32 vcc_lo, s34, v32
	v_or_b32_e32 v3, 0x78, v33
	v_lshl_add_u64 v[42:43], v[4:5], 3, s[10:11]
	v_lshl_or_b32 v4, v34, 8, v9
	v_and_b32_e32 v5, 0x7fe0, v8
	v_dual_lshlrev_b32 v15, 2, v10 :: v_dual_lshlrev_b32 v17, 3, v10
	s_and_b32 s5, s5, vcc_lo
	s_lshl_b64 s[36:37], s[40:41], 6
	s_delay_alu instid0(VALU_DEP_1) | instskip(SKIP_3) | instid1(VALU_DEP_4)
	v_dual_add_nc_u32 v90, v4, v5 :: v_dual_bitop2_b32 v4, 2, v15 bitop3:0x54
	v_cmp_ge_u32_e64 s7, v15, v34
	v_or_b32_e32 v6, 1, v15
	v_cmp_eq_u32_e64 s8, v15, v34
	v_dual_add_nc_u32 v92, 16, v90 :: v_dual_bitop2_b32 v15, 3, v15 bitop3:0x54
	v_cmp_ge_u32_e64 s11, v4, v34
	v_cmp_eq_u32_e64 s12, v4, v34
	v_dual_lshlrev_b32 v93, 3, v16 :: v_dual_add_nc_u32 v94, 24, v90
	v_or_b32_e32 v4, 32, v34
	v_add_nc_u32_e32 v95, 0x2380, v5
	s_delay_alu instid0(VALU_DEP_3) | instskip(SKIP_1) | instid1(VALU_DEP_4)
	v_dual_mov_b32 v5, v35 :: v_dual_add_nc_u32 v96, v93, v17
	v_add_nc_u32_e32 v91, 8, v90
	v_cmp_gt_i32_e64 s16, s34, v4
	v_lshlrev_b32_e32 v4, 2, v1
	v_cmp_ge_u32_e64 s9, v6, v34
	v_mad_u32_u24 v97, v10, 24, v96
	v_lshrrev_b32_e32 v10, 4, v8
	v_and_b32_e32 v13, 15, v0
	v_mul_u64_e32 v[46:47], s[40:41], v[4:5]
	v_dual_add_nc_u32 v107, v9, v11 :: v_dual_bitop2_b32 v0, 48, v0 bitop3:0x40
	s_delay_alu instid0(VALU_DEP_4) | instskip(SKIP_2) | instid1(VALU_DEP_4)
	v_lshlrev_b32_e32 v2, 5, v10
	v_cmp_eq_u32_e64 s10, v6, v34
	v_mul_u32_u24_e32 v6, 0x108, v6
	v_dual_lshlrev_b32 v0, 3, v0 :: v_dual_add_nc_u32 v108, v9, v7
	s_delay_alu instid0(VALU_DEP_4)
	v_mad_u32_u24 v101, 0x218, v13, v2
	v_mul_i32_i24_e32 v2, 0xffffffe8, v10
	s_lshl_b64 s[38:39], s[40:41], 7
	s_ashr_i32 s35, s34, 31
	s_lshl_b64 s[46:47], s[40:41], 5
	s_xor_b32 s26, s5, -1
	s_mul_u64 s[22:23], s[48:49], s[22:23]
	s_cmp_gt_i32 s94, 0
	v_cmp_gt_i32_e64 s1, s34, v34
	v_cmp_gt_i32_e64 s6, s34, v14
	v_cmp_ge_u32_e64 s13, v15, v34
	v_cmp_eq_u32_e64 s14, v15, v34
	v_cmp_gt_u32_e64 s15, 32, v8
	v_cmp_gt_i32_e64 s20, s20, v14
	s_sub_nc_u64 s[54:55], 0, s[22:23]
	v_add_nc_u32_e32 v98, 0x2180, v33
	v_lshl_add_u32 v99, v1, 5, 0x2180
	v_mad_u32_u24 v100, 0x860, v1, v33
	v_cmp_gt_u32_e64 s22, 64, v8
	v_mad_u32_u24 v102, 0x218, v13, v0
	v_mad_u32_u24 v103, 0x218, v13, v3
	v_mad_u32_u24 v104, 0x218, v1, v33
	v_add_nc_u32_e32 v105, 0x2380, v17
	v_cndmask_b32_e64 v106, 0, 1, s25
	v_dual_add_nc_u32 v109, v9, v6 :: v_dual_add_nc_u32 v110, v95, v12
	v_add_nc_u32_e32 v111, v101, v2
	v_lshlrev_b32_e32 v34, 3, v34
	s_cselect_b32 s23, -1, 0
	s_and_b32 s96, s0, s26
	s_or_b32 s26, s58, s59
	s_mul_u64 s[28:29], s[40:41], 0xc0
	s_sub_nc_u64 s[52:53], 0, s[46:47]
	s_sub_nc_u64 s[56:57], 0, s[56:57]
	;; [unrolled: 1-line block ×3, first 2 shown]
	s_lshl_b64 s[60:61], s[40:41], 3
	s_lshl_b64 s[62:63], s[40:41], 9
	s_lshl_b64 s[64:65], s[40:41], 4
	s_mul_u64 s[66:67], s[40:41], 24
	s_mul_u64 s[68:69], s[40:41], 0x90
	;; [unrolled: 1-line block ×9, first 2 shown]
	s_or_b32 s97, s26, s25
	s_mov_b64 s[84:85], 0xfffffffffffffef8
	s_mov_b64 s[86:87], 0xffffffffffffff00
	s_mul_u64 s[88:89], s[40:41], 0x108
	s_lshl_b64 s[90:91], s[40:41], 8
	s_mul_u64 s[40:41], s[40:41], 0x88
	s_branch .LBB12_4
.LBB12_2:                               ;   in Loop: Header=BB12_4 Depth=1
	s_wait_xcnt 0x0
	s_or_b32 exec_lo, exec_lo, s25
.LBB12_3:                               ;   in Loop: Header=BB12_4 Depth=1
	s_add_co_i32 s24, s24, 0x10000
	s_delay_alu instid0(SALU_CYCLE_1)
	s_cmp_lt_u32 s24, s33
	s_cbranch_scc0 .LBB12_112
.LBB12_4:                               ; =>This Loop Header: Depth=1
                                        ;     Child Loop BB12_106 Depth 2
	s_and_not1_b32 vcc_lo, exec_lo, s97
	s_cbranch_vccnz .LBB12_3
; %bb.5:                                ;   in Loop: Header=BB12_4 Depth=1
	v_cmp_ne_u32_e32 vcc_lo, 1, v106
	s_cbranch_vccnz .LBB12_3
; %bb.6:                                ;   in Loop: Header=BB12_4 Depth=1
	s_mov_b32 s25, s27
	s_delay_alu instid0(SALU_CYCLE_1) | instskip(NEXT) | instid1(SALU_CYCLE_1)
	s_mul_u64 s[92:93], s[50:51], s[24:25]
	v_lshl_add_u64 v[16:17], s[92:93], 3, v[42:43]
	s_and_saveexec_b32 s26, s0
	s_cbranch_execz .LBB12_11
; %bb.7:                                ;   in Loop: Header=BB12_4 Depth=1
	s_and_saveexec_b32 s92, s5
	s_delay_alu instid0(SALU_CYCLE_1)
	s_xor_b32 s92, exec_lo, s92
; %bb.8:                                ;   in Loop: Header=BB12_4 Depth=1
	ds_store_b64 v88, v[48:49]
; %bb.9:                                ;   in Loop: Header=BB12_4 Depth=1
	s_and_not1_saveexec_b32 s92, s92
	s_cbranch_execz .LBB12_11
; %bb.10:                               ;   in Loop: Header=BB12_4 Depth=1
	global_load_b64 v[0:1], v[16:17], off
	s_wait_loadcnt 0x0
	ds_store_b64 v88, v[0:1]
.LBB12_11:                              ;   in Loop: Header=BB12_4 Depth=1
	s_wait_xcnt 0x0
	s_or_b32 exec_lo, exec_lo, s26
	s_mul_u64 s[92:93], s[42:43], s[24:25]
	s_and_not1_b32 vcc_lo, exec_lo, s95
	v_lshl_add_u64 v[0:1], s[92:93], 3, v[40:41]
	s_mov_b32 s26, -1
	s_cbranch_vccnz .LBB12_13
; %bb.12:                               ;   in Loop: Header=BB12_4 Depth=1
	s_delay_alu instid0(VALU_DEP_1) | instskip(SKIP_1) | instid1(VALU_DEP_1)
	v_add_nc_u64_e32 v[2:3], s[36:37], v[0:1]
	s_mov_b32 s26, 0
	v_add_nc_u64_e32 v[4:5], s[36:37], v[2:3]
	s_delay_alu instid0(VALU_DEP_1)
	v_add_nc_u64_e32 v[6:7], s[36:37], v[4:5]
	s_clause 0x3
	global_load_b64 v[8:9], v[0:1], off
	global_load_b64 v[2:3], v[2:3], off
	;; [unrolled: 1-line block ×4, first 2 shown]
	s_wait_loadcnt 0x3
	ds_store_b64 v107, v[8:9]
	s_wait_loadcnt 0x2
	ds_store_b64 v107, v[2:3] offset:2112
	s_wait_loadcnt 0x1
	ds_store_b64 v107, v[4:5] offset:4224
	;; [unrolled: 2-line block ×3, first 2 shown]
.LBB12_13:                              ;   in Loop: Header=BB12_4 Depth=1
	s_and_not1_b32 vcc_lo, exec_lo, s26
	s_cbranch_vccnz .LBB12_23
; %bb.14:                               ;   in Loop: Header=BB12_4 Depth=1
	s_wait_xcnt 0x2
	v_lshl_add_u64 v[2:3], v[36:37], 3, v[0:1]
	s_wait_xcnt 0x0
	v_dual_mov_b32 v6, 0 :: v_dual_mov_b32 v4, 0
	v_mov_b32_e32 v5, 0
	s_delay_alu instid0(VALU_DEP_3) | instskip(NEXT) | instid1(VALU_DEP_1)
	v_lshl_add_u64 v[2:3], s[34:35], 3, v[2:3]
	v_add_nc_u64_e32 v[2:3], -8, v[2:3]
	s_delay_alu instid0(VALU_DEP_1)
	v_dual_cndmask_b32 v3, v3, v1, s1 :: v_dual_cndmask_b32 v2, v2, v0, s1
	s_and_saveexec_b32 s26, s2
	s_cbranch_execz .LBB12_16
; %bb.15:                               ;   in Loop: Header=BB12_4 Depth=1
	global_load_b64 v[4:5], v[2:3], off
.LBB12_16:                              ;   in Loop: Header=BB12_4 Depth=1
	s_wait_xcnt 0x0
	s_or_b32 exec_lo, exec_lo, s26
	v_mov_b32_e32 v7, 0
	s_wait_loadcnt 0x0
	ds_store_b64 v107, v[4:5]
	s_and_saveexec_b32 s26, s3
	s_cbranch_execz .LBB12_18
; %bb.17:                               ;   in Loop: Header=BB12_4 Depth=1
	v_add_nc_u64_e32 v[4:5], s[36:37], v[2:3]
	global_load_b64 v[6:7], v[4:5], off
.LBB12_18:                              ;   in Loop: Header=BB12_4 Depth=1
	s_wait_xcnt 0x0
	s_or_b32 exec_lo, exec_lo, s26
	v_dual_mov_b32 v4, 0 :: v_dual_mov_b32 v8, 0
	v_mov_b32_e32 v9, 0
	s_wait_loadcnt 0x0
	ds_store_b64 v107, v[6:7] offset:2112
	s_and_saveexec_b32 s26, s4
	s_cbranch_execz .LBB12_20
; %bb.19:                               ;   in Loop: Header=BB12_4 Depth=1
	v_add_nc_u64_e32 v[6:7], s[38:39], v[2:3]
	global_load_b64 v[8:9], v[6:7], off
.LBB12_20:                              ;   in Loop: Header=BB12_4 Depth=1
	s_wait_xcnt 0x0
	s_or_b32 exec_lo, exec_lo, s26
	v_mov_b32_e32 v5, 0
	s_wait_loadcnt 0x0
	ds_store_b64 v107, v[8:9] offset:4224
	s_and_saveexec_b32 s26, s6
	s_cbranch_execz .LBB12_22
; %bb.21:                               ;   in Loop: Header=BB12_4 Depth=1
	v_add_nc_u64_e32 v[4:5], s[28:29], v[2:3]
	global_load_b64 v[4:5], v[4:5], off
.LBB12_22:                              ;   in Loop: Header=BB12_4 Depth=1
	s_wait_xcnt 0x0
	s_or_b32 exec_lo, exec_lo, s26
	v_add_nc_u64_e32 v[2:3], v[2:3], v[34:35]
	s_wait_loadcnt 0x0
	ds_store_b64 v107, v[4:5] offset:6336
	v_lshl_add_u64 v[2:3], s[58:59], 3, v[2:3]
	s_delay_alu instid0(VALU_DEP_1) | instskip(NEXT) | instid1(VALU_DEP_1)
	v_add_nc_u64_e32 v[2:3], 8, v[2:3]
	v_dual_cndmask_b32 v1, v3, v1, s1 :: v_dual_cndmask_b32 v0, v2, v0, s1
.LBB12_23:                              ;   in Loop: Header=BB12_4 Depth=1
	s_mov_b32 s26, 0
	s_wait_dscnt 0x0
	s_barrier_signal -1
	s_barrier_wait -1
	s_wait_xcnt 0x0
	s_and_saveexec_b32 s92, s7
	s_delay_alu instid0(SALU_CYCLE_1)
	s_xor_b32 s92, exec_lo, s92
; %bb.24:                               ;   in Loop: Header=BB12_4 Depth=1
	s_and_b32 s26, s8, exec_lo
; %bb.25:                               ;   in Loop: Header=BB12_4 Depth=1
	s_or_saveexec_b32 s92, s92
	v_dual_mov_b32 v2, 0 :: v_dual_mov_b32 v3, v89
	s_xor_b32 exec_lo, exec_lo, s92
	s_cbranch_execz .LBB12_27
; %bb.26:                               ;   in Loop: Header=BB12_4 Depth=1
	ds_load_b64 v[4:5], v108
	v_mov_b32_e32 v3, v90
	s_or_b32 s26, s26, exec_lo
	s_wait_dscnt 0x0
	v_xor_b32_e32 v2, 0x80000000, v5
	ds_store_b32 v90, v4
.LBB12_27:                              ;   in Loop: Header=BB12_4 Depth=1
	s_or_b32 exec_lo, exec_lo, s92
	s_and_saveexec_b32 s92, s26
; %bb.28:                               ;   in Loop: Header=BB12_4 Depth=1
	ds_store_b32 v3, v2 offset:4
; %bb.29:                               ;   in Loop: Header=BB12_4 Depth=1
	s_or_b32 exec_lo, exec_lo, s92
	s_mov_b32 s26, 0
	s_and_saveexec_b32 s92, s9
	s_delay_alu instid0(SALU_CYCLE_1)
	s_xor_b32 s92, exec_lo, s92
; %bb.30:                               ;   in Loop: Header=BB12_4 Depth=1
	s_and_b32 s26, s10, exec_lo
; %bb.31:                               ;   in Loop: Header=BB12_4 Depth=1
	s_or_saveexec_b32 s92, s92
	v_dual_mov_b32 v2, 0 :: v_dual_mov_b32 v3, v89
	s_xor_b32 exec_lo, exec_lo, s92
	s_cbranch_execz .LBB12_33
; %bb.32:                               ;   in Loop: Header=BB12_4 Depth=1
	ds_load_b64 v[4:5], v109
	v_mov_b32_e32 v3, v91
	s_or_b32 s26, s26, exec_lo
	s_wait_dscnt 0x0
	v_xor_b32_e32 v2, 0x80000000, v5
	ds_store_b32 v91, v4
.LBB12_33:                              ;   in Loop: Header=BB12_4 Depth=1
	s_or_b32 exec_lo, exec_lo, s92
	s_and_saveexec_b32 s92, s26
; %bb.34:                               ;   in Loop: Header=BB12_4 Depth=1
	ds_store_b32 v3, v2 offset:4
; %bb.35:                               ;   in Loop: Header=BB12_4 Depth=1
	s_or_b32 exec_lo, exec_lo, s92
	s_mov_b32 s26, 0
	s_and_saveexec_b32 s92, s11
	s_delay_alu instid0(SALU_CYCLE_1)
	s_xor_b32 s92, exec_lo, s92
; %bb.36:                               ;   in Loop: Header=BB12_4 Depth=1
	s_and_b32 s26, s12, exec_lo
; %bb.37:                               ;   in Loop: Header=BB12_4 Depth=1
	s_or_saveexec_b32 s92, s92
	v_dual_mov_b32 v2, 0 :: v_dual_mov_b32 v3, v89
	s_xor_b32 exec_lo, exec_lo, s92
	s_cbranch_execz .LBB12_39
; %bb.38:                               ;   in Loop: Header=BB12_4 Depth=1
	ds_load_b64 v[4:5], v109 offset:264
	v_mov_b32_e32 v3, v92
	s_or_b32 s26, s26, exec_lo
	s_wait_dscnt 0x0
	v_xor_b32_e32 v2, 0x80000000, v5
	ds_store_b32 v92, v4
.LBB12_39:                              ;   in Loop: Header=BB12_4 Depth=1
	s_or_b32 exec_lo, exec_lo, s92
	s_and_saveexec_b32 s92, s26
; %bb.40:                               ;   in Loop: Header=BB12_4 Depth=1
	ds_store_b32 v3, v2 offset:4
; %bb.41:                               ;   in Loop: Header=BB12_4 Depth=1
	s_or_b32 exec_lo, exec_lo, s92
	s_mov_b32 s26, 0
	s_and_saveexec_b32 s92, s13
	s_delay_alu instid0(SALU_CYCLE_1)
	s_xor_b32 s92, exec_lo, s92
; %bb.42:                               ;   in Loop: Header=BB12_4 Depth=1
	s_and_b32 s26, s14, exec_lo
; %bb.43:                               ;   in Loop: Header=BB12_4 Depth=1
	s_or_saveexec_b32 s92, s92
	v_dual_mov_b32 v2, 0 :: v_dual_mov_b32 v3, v89
	s_xor_b32 exec_lo, exec_lo, s92
	s_cbranch_execz .LBB12_45
; %bb.44:                               ;   in Loop: Header=BB12_4 Depth=1
	ds_load_b64 v[4:5], v109 offset:528
	v_mov_b32_e32 v3, v94
	s_or_b32 s26, s26, exec_lo
	s_wait_dscnt 0x0
	v_xor_b32_e32 v2, 0x80000000, v5
	ds_store_b32 v94, v4
.LBB12_45:                              ;   in Loop: Header=BB12_4 Depth=1
	s_or_b32 exec_lo, exec_lo, s92
	s_and_saveexec_b32 s92, s26
; %bb.46:                               ;   in Loop: Header=BB12_4 Depth=1
	ds_store_b32 v3, v2 offset:4
; %bb.47:                               ;   in Loop: Header=BB12_4 Depth=1
	s_or_b32 exec_lo, exec_lo, s92
	s_wait_dscnt 0x0
	s_barrier_signal -1
	s_barrier_wait -1
	ds_load_b64 v[14:15], v108
	ds_load_b128 v[2:5], v95
	ds_load_2addr_b64 v[6:9], v109 offset1:33
	ds_load_b128 v[10:13], v95 offset:16
	ds_load_b64 v[18:19], v109 offset:528
	v_mov_b64_e32 v[50:51], 0
	s_wait_dscnt 0x0
	s_barrier_signal -1
	s_barrier_wait -1
	v_pk_mul_f32 v[20:21], v[2:3], v[14:15] op_sel:[1,1] op_sel_hi:[0,1]
	v_dual_mov_b32 v22, v5 :: v_dual_mov_b32 v23, v4
	v_pk_mul_f32 v[24:25], v[10:11], v[8:9] op_sel:[1,1] op_sel_hi:[0,1]
	v_dual_mov_b32 v28, v13 :: v_dual_mov_b32 v29, v12
	s_delay_alu instid0(VALU_DEP_4) | instskip(NEXT) | instid1(VALU_DEP_4)
	v_pk_fma_f32 v[26:27], v[2:3], v[14:15], v[20:21] op_sel_hi:[1,0,1]
	v_pk_mul_f32 v[22:23], v[22:23], v[6:7] op_sel:[0,1]
	v_pk_fma_f32 v[2:3], v[2:3], v[14:15], v[20:21] neg_lo:[0,0,1] neg_hi:[0,0,1]
	v_pk_fma_f32 v[20:21], v[10:11], v[8:9], v[24:25] op_sel_hi:[1,0,1]
	s_delay_alu instid0(VALU_DEP_3)
	v_pk_fma_f32 v[14:15], v[4:5], v[6:7], v[22:23] op_sel_hi:[1,0,1]
	v_mov_b32_e32 v3, v27
	v_pk_fma_f32 v[4:5], v[4:5], v[6:7], v[22:23] neg_lo:[0,0,1] neg_hi:[0,0,1]
	v_pk_mul_f32 v[26:27], v[28:29], v[18:19] op_sel:[0,1]
	v_pk_fma_f32 v[6:7], v[10:11], v[8:9], v[24:25] neg_lo:[0,0,1] neg_hi:[0,0,1]
	v_mov_b32_e32 v5, v15
	v_pk_add_f32 v[2:3], v[2:3], 0 op_sel_hi:[1,0]
	s_delay_alu instid0(VALU_DEP_4) | instskip(SKIP_1) | instid1(VALU_DEP_3)
	v_pk_fma_f32 v[8:9], v[12:13], v[18:19], v[26:27] op_sel_hi:[1,0,1]
	v_mov_b32_e32 v7, v21
	v_pk_add_f32 v[2:3], v[2:3], v[4:5]
	v_pk_fma_f32 v[4:5], v[12:13], v[18:19], v[26:27] neg_lo:[0,0,1] neg_hi:[0,0,1]
	s_delay_alu instid0(VALU_DEP_4) | instskip(NEXT) | instid1(VALU_DEP_3)
	v_mov_b32_e32 v5, v9
	v_pk_add_f32 v[2:3], v[2:3], v[6:7]
	s_delay_alu instid0(VALU_DEP_1)
	v_pk_add_f32 v[2:3], v[2:3], v[4:5]
	ds_store_b64 v96, v[2:3]
	s_wait_dscnt 0x0
	s_barrier_signal -1
	s_barrier_wait -1
	s_and_saveexec_b32 s26, s15
	s_cbranch_execz .LBB12_49
; %bb.48:                               ;   in Loop: Header=BB12_4 Depth=1
	ds_load_2addr_b64 v[2:5], v93 offset1:7
	ds_load_2addr_b64 v[6:9], v93 offset0:1 offset1:2
	ds_load_2addr_b64 v[10:13], v93 offset0:3 offset1:4
	;; [unrolled: 1-line block ×3, first 2 shown]
	s_wait_dscnt 0x2
	v_dual_add_f32 v2, v6, v2 :: v_dual_add_f32 v3, v7, v3
	s_delay_alu instid0(VALU_DEP_1) | instskip(SKIP_1) | instid1(VALU_DEP_1)
	v_dual_add_f32 v2, v8, v2 :: v_dual_add_f32 v3, v9, v3
	s_wait_dscnt 0x1
	v_dual_add_f32 v2, v2, v10 :: v_dual_add_f32 v3, v3, v11
	s_delay_alu instid0(VALU_DEP_1) | instskip(SKIP_1) | instid1(VALU_DEP_1)
	v_dual_add_f32 v2, v2, v12 :: v_dual_add_f32 v3, v3, v13
	s_wait_dscnt 0x0
	v_dual_add_f32 v2, v2, v18 :: v_dual_add_f32 v3, v3, v19
	s_delay_alu instid0(VALU_DEP_1) | instskip(NEXT) | instid1(VALU_DEP_1)
	v_dual_add_f32 v2, v2, v20 :: v_dual_add_f32 v3, v3, v21
	v_pk_add_f32 v[50:51], v[2:3], v[4:5]
.LBB12_49:                              ;   in Loop: Header=BB12_4 Depth=1
	s_or_b32 exec_lo, exec_lo, s26
	v_lshl_add_u64 v[2:3], s[46:47], 3, v[0:1]
	s_and_not1_b32 vcc_lo, exec_lo, s95
	s_mov_b32 s26, -1
	s_barrier_signal -1
	s_barrier_wait -1
	s_cbranch_vccnz .LBB12_51
; %bb.50:                               ;   in Loop: Header=BB12_4 Depth=1
	v_add_nc_u64_e32 v[0:1], s[36:37], v[2:3]
	s_mov_b32 s26, 0
	s_delay_alu instid0(VALU_DEP_1) | instskip(NEXT) | instid1(VALU_DEP_1)
	v_add_nc_u64_e32 v[4:5], s[36:37], v[0:1]
	v_add_nc_u64_e32 v[6:7], s[36:37], v[4:5]
	s_clause 0x3
	global_load_b64 v[8:9], v[2:3], off offset:256
	global_load_b64 v[0:1], v[0:1], off offset:256
	;; [unrolled: 1-line block ×4, first 2 shown]
	s_wait_loadcnt 0x3
	ds_store_b64 v107, v[8:9]
	s_wait_loadcnt 0x2
	ds_store_b64 v107, v[0:1] offset:2112
	s_wait_loadcnt 0x1
	ds_store_b64 v107, v[4:5] offset:4224
	s_wait_loadcnt 0x0
	ds_store_b64 v107, v[6:7] offset:6336
.LBB12_51:                              ;   in Loop: Header=BB12_4 Depth=1
	s_wait_xcnt 0x2
	v_add_nc_u64_e32 v[0:1], 0x100, v[2:3]
	s_and_not1_b32 vcc_lo, exec_lo, s26
	s_cbranch_vccnz .LBB12_61
; %bb.52:                               ;   in Loop: Header=BB12_4 Depth=1
	v_lshl_add_u64 v[2:3], v[36:37], 3, v[2:3]
	s_wait_xcnt 0x0
	v_dual_mov_b32 v6, 0 :: v_dual_mov_b32 v4, 0
	v_mov_b32_e32 v5, 0
	s_delay_alu instid0(VALU_DEP_3) | instskip(NEXT) | instid1(VALU_DEP_1)
	v_lshl_add_u64 v[2:3], s[34:35], 3, v[2:3]
	v_add_nc_u64_e32 v[2:3], -8, v[2:3]
	s_delay_alu instid0(VALU_DEP_1)
	v_dual_cndmask_b32 v3, v3, v1, s16 :: v_dual_cndmask_b32 v2, v2, v0, s16
	s_and_saveexec_b32 s26, s17
	s_cbranch_execz .LBB12_54
; %bb.53:                               ;   in Loop: Header=BB12_4 Depth=1
	global_load_b64 v[4:5], v[2:3], off
.LBB12_54:                              ;   in Loop: Header=BB12_4 Depth=1
	s_wait_xcnt 0x0
	s_or_b32 exec_lo, exec_lo, s26
	v_mov_b32_e32 v7, 0
	s_wait_loadcnt 0x0
	ds_store_b64 v107, v[4:5]
	s_and_saveexec_b32 s26, s18
	s_cbranch_execz .LBB12_56
; %bb.55:                               ;   in Loop: Header=BB12_4 Depth=1
	v_add_nc_u64_e32 v[4:5], s[36:37], v[2:3]
	global_load_b64 v[6:7], v[4:5], off
.LBB12_56:                              ;   in Loop: Header=BB12_4 Depth=1
	s_wait_xcnt 0x0
	s_or_b32 exec_lo, exec_lo, s26
	v_dual_mov_b32 v4, 0 :: v_dual_mov_b32 v8, 0
	v_mov_b32_e32 v9, 0
	s_wait_loadcnt 0x0
	ds_store_b64 v107, v[6:7] offset:2112
	s_and_saveexec_b32 s26, s19
	s_cbranch_execz .LBB12_58
; %bb.57:                               ;   in Loop: Header=BB12_4 Depth=1
	v_add_nc_u64_e32 v[6:7], s[38:39], v[2:3]
	global_load_b64 v[8:9], v[6:7], off
.LBB12_58:                              ;   in Loop: Header=BB12_4 Depth=1
	s_wait_xcnt 0x0
	s_or_b32 exec_lo, exec_lo, s26
	v_mov_b32_e32 v5, 0
	s_wait_loadcnt 0x0
	ds_store_b64 v107, v[8:9] offset:4224
	s_and_saveexec_b32 s26, s20
	s_cbranch_execz .LBB12_60
; %bb.59:                               ;   in Loop: Header=BB12_4 Depth=1
	v_add_nc_u64_e32 v[4:5], s[28:29], v[2:3]
	global_load_b64 v[4:5], v[4:5], off
.LBB12_60:                              ;   in Loop: Header=BB12_4 Depth=1
	s_wait_xcnt 0x0
	s_or_b32 exec_lo, exec_lo, s26
	v_add_nc_u64_e32 v[2:3], v[2:3], v[34:35]
	s_wait_loadcnt 0x0
	ds_store_b64 v107, v[4:5] offset:6336
	v_lshl_add_u64 v[2:3], s[58:59], 3, v[2:3]
	s_delay_alu instid0(VALU_DEP_1) | instskip(NEXT) | instid1(VALU_DEP_1)
	v_add_nc_u64_e32 v[2:3], 0x108, v[2:3]
	v_dual_cndmask_b32 v1, v3, v1, s16 :: v_dual_cndmask_b32 v0, v2, v0, s16
.LBB12_61:                              ;   in Loop: Header=BB12_4 Depth=1
	s_mov_b32 s26, 0
	s_wait_dscnt 0x0
	s_barrier_signal -1
	s_barrier_wait -1
	s_wait_xcnt 0x0
	s_and_saveexec_b32 s92, s7
	s_delay_alu instid0(SALU_CYCLE_1)
	s_xor_b32 s92, exec_lo, s92
; %bb.62:                               ;   in Loop: Header=BB12_4 Depth=1
	s_and_b32 s26, s8, exec_lo
; %bb.63:                               ;   in Loop: Header=BB12_4 Depth=1
	s_or_saveexec_b32 s92, s92
	v_dual_mov_b32 v2, 0 :: v_dual_mov_b32 v3, v89
	s_xor_b32 exec_lo, exec_lo, s92
	s_cbranch_execz .LBB12_65
; %bb.64:                               ;   in Loop: Header=BB12_4 Depth=1
	ds_load_b64 v[4:5], v108
	v_mov_b32_e32 v3, v90
	s_or_b32 s26, s26, exec_lo
	s_wait_dscnt 0x0
	v_xor_b32_e32 v2, 0x80000000, v5
	ds_store_b32 v90, v4
.LBB12_65:                              ;   in Loop: Header=BB12_4 Depth=1
	s_or_b32 exec_lo, exec_lo, s92
	s_and_saveexec_b32 s92, s26
; %bb.66:                               ;   in Loop: Header=BB12_4 Depth=1
	ds_store_b32 v3, v2 offset:4
; %bb.67:                               ;   in Loop: Header=BB12_4 Depth=1
	s_or_b32 exec_lo, exec_lo, s92
	s_mov_b32 s26, 0
	s_and_saveexec_b32 s92, s9
	s_delay_alu instid0(SALU_CYCLE_1)
	s_xor_b32 s92, exec_lo, s92
; %bb.68:                               ;   in Loop: Header=BB12_4 Depth=1
	s_and_b32 s26, s10, exec_lo
; %bb.69:                               ;   in Loop: Header=BB12_4 Depth=1
	s_or_saveexec_b32 s92, s92
	v_dual_mov_b32 v2, 0 :: v_dual_mov_b32 v3, v89
	s_xor_b32 exec_lo, exec_lo, s92
	s_cbranch_execz .LBB12_71
; %bb.70:                               ;   in Loop: Header=BB12_4 Depth=1
	ds_load_b64 v[4:5], v109
	v_mov_b32_e32 v3, v91
	s_or_b32 s26, s26, exec_lo
	s_wait_dscnt 0x0
	v_xor_b32_e32 v2, 0x80000000, v5
	ds_store_b32 v91, v4
.LBB12_71:                              ;   in Loop: Header=BB12_4 Depth=1
	s_or_b32 exec_lo, exec_lo, s92
	s_and_saveexec_b32 s92, s26
; %bb.72:                               ;   in Loop: Header=BB12_4 Depth=1
	ds_store_b32 v3, v2 offset:4
; %bb.73:                               ;   in Loop: Header=BB12_4 Depth=1
	s_or_b32 exec_lo, exec_lo, s92
	s_mov_b32 s26, 0
	s_and_saveexec_b32 s92, s11
	s_delay_alu instid0(SALU_CYCLE_1)
	s_xor_b32 s92, exec_lo, s92
; %bb.74:                               ;   in Loop: Header=BB12_4 Depth=1
	s_and_b32 s26, s12, exec_lo
; %bb.75:                               ;   in Loop: Header=BB12_4 Depth=1
	s_or_saveexec_b32 s92, s92
	v_dual_mov_b32 v2, 0 :: v_dual_mov_b32 v3, v89
	s_xor_b32 exec_lo, exec_lo, s92
	s_cbranch_execz .LBB12_77
; %bb.76:                               ;   in Loop: Header=BB12_4 Depth=1
	ds_load_b64 v[4:5], v109 offset:264
	v_mov_b32_e32 v3, v92
	s_or_b32 s26, s26, exec_lo
	s_wait_dscnt 0x0
	v_xor_b32_e32 v2, 0x80000000, v5
	ds_store_b32 v92, v4
.LBB12_77:                              ;   in Loop: Header=BB12_4 Depth=1
	s_or_b32 exec_lo, exec_lo, s92
	s_and_saveexec_b32 s92, s26
; %bb.78:                               ;   in Loop: Header=BB12_4 Depth=1
	ds_store_b32 v3, v2 offset:4
; %bb.79:                               ;   in Loop: Header=BB12_4 Depth=1
	s_or_b32 exec_lo, exec_lo, s92
	s_mov_b32 s26, 0
	s_and_saveexec_b32 s92, s13
	s_delay_alu instid0(SALU_CYCLE_1)
	s_xor_b32 s92, exec_lo, s92
; %bb.80:                               ;   in Loop: Header=BB12_4 Depth=1
	s_and_b32 s26, s14, exec_lo
; %bb.81:                               ;   in Loop: Header=BB12_4 Depth=1
	s_or_saveexec_b32 s92, s92
	v_dual_mov_b32 v2, 0 :: v_dual_mov_b32 v3, v89
	s_xor_b32 exec_lo, exec_lo, s92
	s_cbranch_execz .LBB12_83
; %bb.82:                               ;   in Loop: Header=BB12_4 Depth=1
	ds_load_b64 v[4:5], v109 offset:528
	v_mov_b32_e32 v3, v94
	s_or_b32 s26, s26, exec_lo
	s_wait_dscnt 0x0
	v_xor_b32_e32 v2, 0x80000000, v5
	ds_store_b32 v94, v4
.LBB12_83:                              ;   in Loop: Header=BB12_4 Depth=1
	s_or_b32 exec_lo, exec_lo, s92
	s_and_saveexec_b32 s92, s26
; %bb.84:                               ;   in Loop: Header=BB12_4 Depth=1
	ds_store_b32 v3, v2 offset:4
; %bb.85:                               ;   in Loop: Header=BB12_4 Depth=1
	s_or_b32 exec_lo, exec_lo, s92
	s_wait_dscnt 0x0
	s_barrier_signal -1
	s_barrier_wait -1
	ds_load_b64 v[14:15], v108
	ds_load_b128 v[2:5], v95 offset:256
	ds_load_2addr_b64 v[6:9], v109 offset1:33
	ds_load_b128 v[10:13], v95 offset:272
	ds_load_b64 v[18:19], v109 offset:528
	s_wait_dscnt 0x0
	s_barrier_signal -1
	s_barrier_wait -1
	v_pk_mul_f32 v[20:21], v[2:3], v[14:15] op_sel:[1,1] op_sel_hi:[0,1]
	v_dual_mov_b32 v22, v5 :: v_dual_mov_b32 v23, v4
	v_pk_mul_f32 v[24:25], v[10:11], v[8:9] op_sel:[1,1] op_sel_hi:[0,1]
	v_dual_mov_b32 v28, v13 :: v_dual_mov_b32 v29, v12
	s_delay_alu instid0(VALU_DEP_4) | instskip(NEXT) | instid1(VALU_DEP_4)
	v_pk_fma_f32 v[26:27], v[2:3], v[14:15], v[20:21] op_sel_hi:[1,0,1]
	v_pk_mul_f32 v[22:23], v[22:23], v[6:7] op_sel:[0,1]
	v_pk_fma_f32 v[2:3], v[2:3], v[14:15], v[20:21] neg_lo:[0,0,1] neg_hi:[0,0,1]
	v_pk_fma_f32 v[20:21], v[10:11], v[8:9], v[24:25] op_sel_hi:[1,0,1]
	s_delay_alu instid0(VALU_DEP_3)
	v_pk_fma_f32 v[14:15], v[4:5], v[6:7], v[22:23] op_sel_hi:[1,0,1]
	v_mov_b32_e32 v3, v27
	v_pk_fma_f32 v[4:5], v[4:5], v[6:7], v[22:23] neg_lo:[0,0,1] neg_hi:[0,0,1]
	v_pk_mul_f32 v[26:27], v[28:29], v[18:19] op_sel:[0,1]
	v_pk_fma_f32 v[6:7], v[10:11], v[8:9], v[24:25] neg_lo:[0,0,1] neg_hi:[0,0,1]
	v_mov_b32_e32 v5, v15
	v_pk_add_f32 v[2:3], v[2:3], 0 op_sel_hi:[1,0]
	s_delay_alu instid0(VALU_DEP_4) | instskip(SKIP_1) | instid1(VALU_DEP_3)
	v_pk_fma_f32 v[8:9], v[12:13], v[18:19], v[26:27] op_sel_hi:[1,0,1]
	v_mov_b32_e32 v7, v21
	v_pk_add_f32 v[2:3], v[2:3], v[4:5]
	v_pk_fma_f32 v[4:5], v[12:13], v[18:19], v[26:27] neg_lo:[0,0,1] neg_hi:[0,0,1]
	s_delay_alu instid0(VALU_DEP_4) | instskip(NEXT) | instid1(VALU_DEP_3)
	v_mov_b32_e32 v5, v9
	v_pk_add_f32 v[2:3], v[2:3], v[6:7]
	s_delay_alu instid0(VALU_DEP_1)
	v_pk_add_f32 v[2:3], v[2:3], v[4:5]
	ds_store_b64 v96, v[2:3]
	s_wait_dscnt 0x0
	s_barrier_signal -1
	s_barrier_wait -1
	s_and_saveexec_b32 s26, s21
	s_cbranch_execz .LBB12_87
; %bb.86:                               ;   in Loop: Header=BB12_4 Depth=1
	ds_load_2addr_b64 v[2:5], v93 offset1:7
	ds_load_2addr_b64 v[6:9], v93 offset0:1 offset1:2
	ds_load_2addr_b64 v[10:13], v93 offset0:3 offset1:4
	;; [unrolled: 1-line block ×3, first 2 shown]
	s_wait_dscnt 0x2
	v_dual_add_f32 v2, v6, v2 :: v_dual_add_f32 v3, v7, v3
	s_delay_alu instid0(VALU_DEP_1) | instskip(SKIP_1) | instid1(VALU_DEP_1)
	v_dual_add_f32 v2, v8, v2 :: v_dual_add_f32 v3, v9, v3
	s_wait_dscnt 0x1
	v_dual_add_f32 v2, v2, v10 :: v_dual_add_f32 v3, v3, v11
	s_delay_alu instid0(VALU_DEP_1) | instskip(SKIP_1) | instid1(VALU_DEP_1)
	v_dual_add_f32 v2, v2, v12 :: v_dual_add_f32 v3, v3, v13
	s_wait_dscnt 0x0
	v_dual_add_f32 v2, v2, v18 :: v_dual_add_f32 v3, v3, v19
	s_delay_alu instid0(VALU_DEP_1) | instskip(NEXT) | instid1(VALU_DEP_1)
	v_pk_add_f32 v[2:3], v[2:3], v[20:21]
	v_pk_add_f32 v[50:51], v[2:3], v[4:5]
.LBB12_87:                              ;   in Loop: Header=BB12_4 Depth=1
	s_or_b32 exec_lo, exec_lo, s26
	v_lshl_add_u64 v[18:19], s[52:53], 3, v[0:1]
	s_and_not1_b32 vcc_lo, exec_lo, s95
	s_mov_b32 s26, -1
	s_barrier_signal -1
	s_barrier_wait -1
	s_cbranch_vccnz .LBB12_89
; %bb.88:                               ;   in Loop: Header=BB12_4 Depth=1
	v_add_nc_u64_e32 v[0:1], s[36:37], v[18:19]
	s_mov_b32 s26, 0
	s_delay_alu instid0(VALU_DEP_1) | instskip(NEXT) | instid1(VALU_DEP_1)
	v_add_nc_u64_e32 v[2:3], s[36:37], v[0:1]
	v_add_nc_u64_e32 v[4:5], s[36:37], v[2:3]
	s_clause 0x3
	global_load_b64 v[6:7], v[18:19], off
	global_load_b64 v[0:1], v[0:1], off
	;; [unrolled: 1-line block ×4, first 2 shown]
	s_wait_loadcnt 0x3
	ds_store_b64 v107, v[6:7]
	s_wait_loadcnt 0x2
	ds_store_b64 v107, v[0:1] offset:2112
	s_wait_loadcnt 0x1
	ds_store_b64 v107, v[2:3] offset:4224
	;; [unrolled: 2-line block ×3, first 2 shown]
.LBB12_89:                              ;   in Loop: Header=BB12_4 Depth=1
	s_and_not1_b32 vcc_lo, exec_lo, s26
	s_cbranch_vccnz .LBB12_99
; %bb.90:                               ;   in Loop: Header=BB12_4 Depth=1
	s_wait_xcnt 0x2
	v_lshl_add_u64 v[0:1], v[36:37], 3, v[18:19]
	s_wait_xcnt 0x0
	v_dual_mov_b32 v4, 0 :: v_dual_mov_b32 v2, 0
	v_mov_b32_e32 v3, 0
	s_delay_alu instid0(VALU_DEP_3) | instskip(NEXT) | instid1(VALU_DEP_1)
	v_lshl_add_u64 v[0:1], s[34:35], 3, v[0:1]
	v_add_nc_u64_e32 v[0:1], s[84:85], v[0:1]
	s_delay_alu instid0(VALU_DEP_1)
	v_dual_cndmask_b32 v1, v1, v19, s16 :: v_dual_cndmask_b32 v0, v0, v18, s16
	s_and_saveexec_b32 s26, s2
	s_cbranch_execz .LBB12_92
; %bb.91:                               ;   in Loop: Header=BB12_4 Depth=1
	global_load_b64 v[2:3], v[0:1], off
.LBB12_92:                              ;   in Loop: Header=BB12_4 Depth=1
	s_wait_xcnt 0x0
	s_or_b32 exec_lo, exec_lo, s26
	v_mov_b32_e32 v5, 0
	s_wait_loadcnt 0x0
	ds_store_b64 v107, v[2:3]
	s_and_saveexec_b32 s26, s3
	s_cbranch_execz .LBB12_94
; %bb.93:                               ;   in Loop: Header=BB12_4 Depth=1
	v_add_nc_u64_e32 v[2:3], s[36:37], v[0:1]
	global_load_b64 v[4:5], v[2:3], off
.LBB12_94:                              ;   in Loop: Header=BB12_4 Depth=1
	s_wait_xcnt 0x0
	s_or_b32 exec_lo, exec_lo, s26
	v_dual_mov_b32 v2, 0 :: v_dual_mov_b32 v6, 0
	v_mov_b32_e32 v7, 0
	s_wait_loadcnt 0x0
	ds_store_b64 v107, v[4:5] offset:2112
	s_and_saveexec_b32 s26, s4
	s_cbranch_execz .LBB12_96
; %bb.95:                               ;   in Loop: Header=BB12_4 Depth=1
	v_add_nc_u64_e32 v[4:5], s[38:39], v[0:1]
	global_load_b64 v[6:7], v[4:5], off
.LBB12_96:                              ;   in Loop: Header=BB12_4 Depth=1
	s_wait_xcnt 0x0
	s_or_b32 exec_lo, exec_lo, s26
	v_mov_b32_e32 v3, 0
	s_wait_loadcnt 0x0
	ds_store_b64 v107, v[6:7] offset:4224
	s_and_saveexec_b32 s26, s6
	s_cbranch_execz .LBB12_98
; %bb.97:                               ;   in Loop: Header=BB12_4 Depth=1
	v_add_nc_u64_e32 v[2:3], s[28:29], v[0:1]
	global_load_b64 v[2:3], v[2:3], off
.LBB12_98:                              ;   in Loop: Header=BB12_4 Depth=1
	s_wait_xcnt 0x0
	s_or_b32 exec_lo, exec_lo, s26
	v_add_nc_u64_e32 v[0:1], v[0:1], v[34:35]
	s_wait_loadcnt 0x0
	ds_store_b64 v107, v[2:3] offset:6336
	v_lshl_add_u64 v[0:1], s[58:59], 3, v[0:1]
	s_delay_alu instid0(VALU_DEP_1) | instskip(NEXT) | instid1(VALU_DEP_1)
	v_add_nc_u64_e32 v[0:1], 0x108, v[0:1]
	v_dual_cndmask_b32 v19, v1, v19, s16 :: v_dual_cndmask_b32 v18, v0, v18, s16
.LBB12_99:                              ;   in Loop: Header=BB12_4 Depth=1
	s_wait_dscnt 0x0
	s_barrier_signal -1
	s_barrier_wait -1
	ds_load_b64 v[8:9], v107
	ds_load_b64 v[10:11], v110
	ds_load_2addr_b64 v[20:23], v105 offset0:8 offset1:16
	ds_load_b64 v[12:13], v107 offset:2112
	ds_load_b64 v[24:25], v107 offset:4224
	;; [unrolled: 1-line block ×4, first 2 shown]
	s_wait_xcnt 0x0
	ds_load_2addr_b64 v[4:7], v97 offset1:1
	ds_load_2addr_b64 v[0:3], v97 offset0:2 offset1:3
	s_wait_dscnt 0x7
	v_pk_mul_f32 v[14:15], v[10:11], v[8:9] op_sel:[1,1] op_sel_hi:[0,1]
	s_wait_dscnt 0x5
	v_pk_mul_f32 v[30:31], v[20:21], v[12:13] op_sel:[1,1] op_sel_hi:[0,1]
	;; [unrolled: 2-line block ×3, first 2 shown]
	v_pk_fma_f32 v[52:53], v[10:11], v[8:9], v[14:15] op_sel_hi:[1,0,1]
	v_pk_fma_f32 v[8:9], v[10:11], v[8:9], v[14:15] neg_lo:[0,0,1] neg_hi:[0,0,1]
	v_pk_fma_f32 v[10:11], v[20:21], v[12:13], v[30:31] op_sel_hi:[1,0,1]
	v_pk_fma_f32 v[20:21], v[20:21], v[12:13], v[30:31] neg_lo:[0,0,1] neg_hi:[0,0,1]
	v_pk_fma_f32 v[30:31], v[22:23], v[24:25], v[54:55] op_sel_hi:[1,0,1]
	v_mov_b32_e32 v9, v53
	s_wait_dscnt 0x2
	v_pk_mul_f32 v[52:53], v[28:29], v[26:27] op_sel:[1,1] op_sel_hi:[0,1]
	v_mov_b32_e32 v21, v11
	v_pk_fma_f32 v[22:23], v[22:23], v[24:25], v[54:55] neg_lo:[0,0,1] neg_hi:[0,0,1]
	v_pk_add_f32 v[56:57], v[8:9], 0 op_sel_hi:[1,0]
	ds_load_b128 v[12:15], v95 offset:256
	ds_load_b128 v[8:11], v95 offset:272
	v_pk_fma_f32 v[24:25], v[28:29], v[26:27], v[52:53] op_sel_hi:[1,0,1]
	v_mov_b32_e32 v23, v31
	v_pk_fma_f32 v[26:27], v[28:29], v[26:27], v[52:53] neg_lo:[0,0,1] neg_hi:[0,0,1]
	v_pk_add_f32 v[20:21], v[56:57], v[20:21]
	s_wait_dscnt 0x0
	v_mov_b32_e32 v27, v25
	s_barrier_signal -1
	s_barrier_wait -1
	v_pk_add_f32 v[20:21], v[20:21], v[22:23]
	s_delay_alu instid0(VALU_DEP_1)
	v_pk_add_f32 v[20:21], v[20:21], v[26:27]
	ds_store_b64 v96, v[20:21]
	s_wait_dscnt 0x0
	s_barrier_signal -1
	s_barrier_wait -1
	s_and_saveexec_b32 s26, s21
	s_cbranch_execz .LBB12_101
; %bb.100:                              ;   in Loop: Header=BB12_4 Depth=1
	ds_load_2addr_b64 v[20:23], v93 offset1:1
	ds_load_2addr_b64 v[24:27], v93 offset0:2 offset1:3
	ds_load_2addr_b64 v[28:31], v93 offset0:4 offset1:5
	s_wait_dscnt 0x2
	v_pk_add_f32 v[20:21], v[50:51], v[20:21]
	s_delay_alu instid0(VALU_DEP_1) | instskip(SKIP_1) | instid1(VALU_DEP_1)
	v_pk_add_f32 v[20:21], v[20:21], v[22:23]
	s_wait_dscnt 0x1
	v_pk_add_f32 v[24:25], v[20:21], v[24:25]
	ds_load_2addr_b64 v[20:23], v93 offset0:6 offset1:7
	v_pk_add_f32 v[24:25], v[24:25], v[26:27]
	s_wait_dscnt 0x1
	s_delay_alu instid0(VALU_DEP_1) | instskip(NEXT) | instid1(VALU_DEP_1)
	v_pk_add_f32 v[24:25], v[24:25], v[28:29]
	v_pk_add_f32 v[24:25], v[24:25], v[30:31]
	s_wait_dscnt 0x0
	s_delay_alu instid0(VALU_DEP_1) | instskip(NEXT) | instid1(VALU_DEP_1)
	v_pk_add_f32 v[20:21], v[24:25], v[20:21]
	v_pk_add_f32 v[50:51], v[20:21], v[22:23]
.LBB12_101:                             ;   in Loop: Header=BB12_4 Depth=1
	s_or_b32 exec_lo, exec_lo, s26
	v_pk_mul_f32 v[20:21], v[4:5], v[12:13] op_sel:[1,1] op_sel_hi:[1,0]
	v_dual_mov_b32 v22, v7 :: v_dual_mov_b32 v24, v15
	v_mov_b32_e32 v25, v14
	v_pk_mul_f32 v[26:27], v[0:1], v[8:9] op_sel:[1,1] op_sel_hi:[1,0]
	s_delay_alu instid0(VALU_DEP_4) | instskip(SKIP_3) | instid1(VALU_DEP_4)
	v_pk_fma_f32 v[28:29], v[4:5], v[12:13], v[20:21] op_sel_hi:[0,1,1] neg_lo:[0,0,1] neg_hi:[0,0,1]
	v_mov_b32_e32 v28, v3
	v_pk_fma_f32 v[4:5], v[4:5], v[12:13], v[20:21]
	v_pk_mul_f32 v[22:23], v[22:23], v[24:25] op_sel_hi:[0,1]
	v_dual_mov_b32 v24, v11 :: v_dual_mov_b32 v5, v29
	v_pk_fma_f32 v[20:21], v[0:1], v[8:9], v[26:27] op_sel_hi:[0,1,1] neg_lo:[0,0,1] neg_hi:[0,0,1]
	v_pk_fma_f32 v[0:1], v[0:1], v[8:9], v[26:27]
	s_delay_alu instid0(VALU_DEP_4) | instskip(SKIP_3) | instid1(VALU_DEP_4)
	v_pk_fma_f32 v[12:13], v[6:7], v[14:15], v[22:23] op_sel_hi:[0,1,1] neg_lo:[0,0,1] neg_hi:[0,0,1]
	v_mov_b32_e32 v25, v10
	v_pk_fma_f32 v[6:7], v[6:7], v[14:15], v[22:23]
	v_pk_add_f32 v[4:5], v[4:5], 0 op_sel_hi:[1,0]
	v_mov_b32_e32 v7, v13
	s_delay_alu instid0(VALU_DEP_4) | instskip(SKIP_2) | instid1(VALU_DEP_2)
	v_pk_mul_f32 v[14:15], v[28:29], v[24:25] op_sel_hi:[0,1]
	s_barrier_signal -1
	s_barrier_wait -1
	v_pk_add_f32 v[4:5], v[4:5], v[6:7]
	s_delay_alu instid0(VALU_DEP_2) | instskip(SKIP_2) | instid1(VALU_DEP_3)
	v_pk_fma_f32 v[8:9], v[2:3], v[10:11], v[14:15] op_sel_hi:[0,1,1] neg_lo:[0,0,1] neg_hi:[0,0,1]
	v_mov_b32_e32 v1, v21
	v_pk_fma_f32 v[2:3], v[2:3], v[10:11], v[14:15]
	v_mov_b32_e32 v3, v9
	s_delay_alu instid0(VALU_DEP_3) | instskip(NEXT) | instid1(VALU_DEP_1)
	v_pk_add_f32 v[0:1], v[4:5], v[0:1]
	v_pk_add_f32 v[0:1], v[0:1], v[2:3]
	ds_store_b64 v96, v[0:1]
	s_wait_dscnt 0x0
	s_barrier_signal -1
	s_barrier_wait -1
	s_and_saveexec_b32 s26, s15
	s_cbranch_execz .LBB12_103
; %bb.102:                              ;   in Loop: Header=BB12_4 Depth=1
	ds_load_2addr_b64 v[0:3], v93 offset1:1
	ds_load_2addr_b64 v[4:7], v93 offset0:2 offset1:3
	ds_load_2addr_b64 v[8:11], v93 offset0:4 offset1:5
	s_wait_dscnt 0x2
	v_pk_add_f32 v[0:1], v[50:51], v[0:1]
	s_delay_alu instid0(VALU_DEP_1) | instskip(SKIP_1) | instid1(VALU_DEP_1)
	v_pk_add_f32 v[0:1], v[0:1], v[2:3]
	s_wait_dscnt 0x1
	v_pk_add_f32 v[4:5], v[0:1], v[4:5]
	ds_load_2addr_b64 v[0:3], v93 offset0:6 offset1:7
	v_pk_add_f32 v[4:5], v[4:5], v[6:7]
	s_wait_dscnt 0x1
	s_delay_alu instid0(VALU_DEP_1) | instskip(NEXT) | instid1(VALU_DEP_1)
	v_pk_add_f32 v[4:5], v[4:5], v[8:9]
	v_pk_add_f32 v[4:5], v[4:5], v[10:11]
	s_wait_dscnt 0x0
	s_delay_alu instid0(VALU_DEP_1) | instskip(NEXT) | instid1(VALU_DEP_1)
	v_pk_add_f32 v[0:1], v[4:5], v[0:1]
	v_pk_add_f32 v[50:51], v[0:1], v[2:3]
.LBB12_103:                             ;   in Loop: Header=BB12_4 Depth=1
	s_or_b32 exec_lo, exec_lo, s26
	s_mul_u64 s[92:93], s[30:31], s[24:25]
	s_and_not1_b32 vcc_lo, exec_lo, s23
	s_lshl_b64 s[92:93], s[92:93], 3
	s_delay_alu instid0(SALU_CYCLE_1)
	s_add_nc_u64 s[92:93], s[44:45], s[92:93]
	s_barrier_signal -1
	s_barrier_wait -1
	s_cbranch_vccnz .LBB12_110
; %bb.104:                              ;   in Loop: Header=BB12_4 Depth=1
	v_lshl_add_u64 v[0:1], s[56:57], 3, v[18:19]
	v_dual_mov_b32 v3, v35 :: v_dual_lshlrev_b32 v2, 3, v32
	v_lshl_add_u64 v[52:53], s[54:55], 3, v[16:17]
	s_mov_b32 s26, 0
	s_delay_alu instid0(VALU_DEP_3) | instskip(SKIP_1) | instid1(VALU_DEP_1)
	v_lshl_add_u64 v[0:1], v[44:45], 3, v[0:1]
	s_mov_b32 s25, s94
	v_lshl_add_u64 v[0:1], v[46:47], 3, v[0:1]
	s_delay_alu instid0(VALU_DEP_1) | instskip(SKIP_1) | instid1(VALU_DEP_1)
	v_add_nc_u64_e32 v[2:3], v[0:1], v[2:3]
	v_lshl_add_u64 v[0:1], s[34:35], 3, v[0:1]
	v_add_nc_u64_e32 v[0:1], s[84:85], v[0:1]
	s_delay_alu instid0(VALU_DEP_3) | instskip(NEXT) | instid1(VALU_DEP_1)
	v_add_nc_u64_e32 v[2:3], s[86:87], v[2:3]
	v_dual_cndmask_b32 v55, v3, v1, s5 :: v_dual_cndmask_b32 v54, v2, v0, s5
	s_branch .LBB12_106
.LBB12_105:                             ;   in Loop: Header=BB12_106 Depth=2
	s_wait_xcnt 0x0
	s_or_b32 exec_lo, exec_lo, s98
	v_pk_mul_f32 v[112:113], v[62:63], v[4:5] op_sel:[1,1] op_sel_hi:[0,1]
	v_dual_mov_b32 v114, v7 :: v_dual_mov_b32 v118, v3
	v_pk_mul_f32 v[116:117], v[58:59], v[0:1] op_sel:[1,1] op_sel_hi:[0,1]
	v_pk_mul_f32 v[122:123], v[68:69], v[8:9] op_sel:[1,1] op_sel_hi:[0,1]
	s_delay_alu instid0(VALU_DEP_4) | instskip(NEXT) | instid1(VALU_DEP_4)
	v_pk_fma_f32 v[120:121], v[62:63], v[4:5], v[112:113] op_sel_hi:[1,0,1]
	v_pk_mul_f32 v[114:115], v[60:61], v[114:115] op_sel:[1,0] op_sel_hi:[0,0]
	v_pk_fma_f32 v[4:5], v[62:63], v[4:5], v[112:113] neg_lo:[0,0,1] neg_hi:[0,0,1]
	v_mov_b32_e32 v120, v11
	v_pk_mul_f32 v[112:113], v[56:57], v[118:119] op_sel:[1,0] op_sel_hi:[0,0]
	v_mov_b32_e32 v5, v121
	v_pk_fma_f32 v[62:63], v[60:61], v[6:7], v[114:115] op_sel_hi:[1,0,1]
	v_pk_fma_f32 v[6:7], v[60:61], v[6:7], v[114:115] neg_lo:[0,0,1] neg_hi:[0,0,1]
	v_pk_fma_f32 v[118:119], v[58:59], v[0:1], v[116:117] op_sel_hi:[1,0,1]
	v_pk_fma_f32 v[0:1], v[58:59], v[0:1], v[116:117] neg_lo:[0,0,1] neg_hi:[0,0,1]
	v_pk_add_f32 v[4:5], v[50:51], v[4:5]
	v_mov_b32_e32 v7, v63
	v_pk_fma_f32 v[58:59], v[56:57], v[2:3], v[112:113] op_sel_hi:[1,0,1]
	v_mov_b32_e32 v1, v119
	v_pk_fma_f32 v[2:3], v[56:57], v[2:3], v[112:113] neg_lo:[0,0,1] neg_hi:[0,0,1]
	v_pk_fma_f32 v[60:61], v[68:69], v[8:9], v[122:123] op_sel_hi:[1,0,1]
	v_pk_add_f32 v[4:5], v[4:5], v[6:7]
	v_pk_mul_f32 v[6:7], v[64:65], v[120:121] op_sel:[1,0] op_sel_hi:[0,0]
	v_mov_b32_e32 v3, v59
	v_pk_mul_f32 v[50:51], v[70:71], v[12:13] op_sel:[1,1] op_sel_hi:[0,1]
	v_pk_fma_f32 v[8:9], v[68:69], v[8:9], v[122:123] neg_lo:[0,0,1] neg_hi:[0,0,1]
	v_pk_add_f32 v[0:1], v[4:5], v[0:1]
	v_mov_b32_e32 v4, v15
	v_pk_fma_f32 v[56:57], v[64:65], v[10:11], v[6:7] op_sel_hi:[1,0,1]
	v_mov_b32_e32 v9, v61
	v_pk_fma_f32 v[6:7], v[64:65], v[10:11], v[6:7] neg_lo:[0,0,1] neg_hi:[0,0,1]
	v_pk_add_f32 v[0:1], v[0:1], v[2:3]
	v_pk_fma_f32 v[2:3], v[70:71], v[12:13], v[50:51] op_sel_hi:[1,0,1]
	v_pk_mul_f32 v[4:5], v[66:67], v[4:5] op_sel:[1,0] op_sel_hi:[0,0]
	v_mov_b32_e32 v7, v57
	v_pk_fma_f32 v[10:11], v[70:71], v[12:13], v[50:51] neg_lo:[0,0,1] neg_hi:[0,0,1]
	v_pk_add_f32 v[0:1], v[0:1], v[8:9]
	v_mov_b32_e32 v11, v3
	v_pk_fma_f32 v[2:3], v[66:67], v[14:15], v[4:5] op_sel_hi:[1,0,1]
	v_pk_mul_f32 v[8:9], v[78:79], v[16:17] op_sel:[1,1] op_sel_hi:[0,1]
	v_mov_b32_e32 v2, v19
	v_pk_add_f32 v[0:1], v[0:1], v[6:7]
	v_pk_fma_f32 v[4:5], v[66:67], v[14:15], v[4:5] neg_lo:[0,0,1] neg_hi:[0,0,1]
	v_mov_b32_e32 v5, v3
	v_pk_fma_f32 v[6:7], v[78:79], v[16:17], v[8:9] op_sel_hi:[1,0,1]
	v_pk_mul_f32 v[2:3], v[76:77], v[2:3] op_sel:[1,0] op_sel_hi:[0,0]
	v_pk_add_f32 v[0:1], v[0:1], v[10:11]
	v_pk_fma_f32 v[8:9], v[78:79], v[16:17], v[8:9] neg_lo:[0,0,1] neg_hi:[0,0,1]
	v_mov_b32_e32 v6, v23
	v_pk_mul_f32 v[10:11], v[74:75], v[20:21] op_sel:[1,1] op_sel_hi:[0,1]
	v_add_nc_u64_e32 v[54:55], s[62:63], v[54:55]
	v_pk_add_f32 v[0:1], v[0:1], v[4:5]
	v_pk_fma_f32 v[4:5], v[76:77], v[18:19], v[2:3] op_sel_hi:[1,0,1]
	v_mov_b32_e32 v9, v7
	v_pk_fma_f32 v[2:3], v[76:77], v[18:19], v[2:3] neg_lo:[0,0,1] neg_hi:[0,0,1]
	v_pk_mul_f32 v[6:7], v[72:73], v[6:7] op_sel:[1,0] op_sel_hi:[0,0]
	s_add_co_i32 s25, s25, -1
	v_mov_b32_e32 v3, v5
	v_pk_add_f32 v[0:1], v[0:1], v[8:9]
	v_pk_fma_f32 v[4:5], v[74:75], v[20:21], v[10:11] op_sel_hi:[1,0,1]
	v_pk_fma_f32 v[10:11], v[74:75], v[20:21], v[10:11] neg_lo:[0,0,1] neg_hi:[0,0,1]
	v_pk_fma_f32 v[8:9], v[72:73], v[22:23], v[6:7] op_sel_hi:[1,0,1]
	v_dual_mov_b32 v4, v27 :: v_dual_mov_b32 v8, v31
	v_pk_add_f32 v[0:1], v[0:1], v[2:3]
	v_mov_b32_e32 v11, v5
	v_pk_fma_f32 v[2:3], v[72:73], v[22:23], v[6:7] neg_lo:[0,0,1] neg_hi:[0,0,1]
	v_pk_mul_f32 v[6:7], v[86:87], v[24:25] op_sel:[1,1] op_sel_hi:[0,1]
	v_mov_b32_e32 v3, v9
	v_pk_mul_f32 v[4:5], v[82:83], v[4:5] op_sel:[1,0] op_sel_hi:[0,0]
	v_pk_add_f32 v[0:1], v[0:1], v[10:11]
	v_pk_mul_f32 v[8:9], v[80:81], v[8:9] op_sel:[1,0] op_sel_hi:[0,0]
	v_pk_fma_f32 v[10:11], v[86:87], v[24:25], v[6:7] op_sel_hi:[1,0,1]
	v_pk_fma_f32 v[6:7], v[86:87], v[24:25], v[6:7] neg_lo:[0,0,1] neg_hi:[0,0,1]
	v_pk_fma_f32 v[12:13], v[82:83], v[26:27], v[4:5] op_sel_hi:[1,0,1]
	v_pk_add_f32 v[0:1], v[0:1], v[2:3]
	v_pk_mul_f32 v[2:3], v[84:85], v[28:29] op_sel:[1,1] op_sel_hi:[0,1]
	v_mov_b32_e32 v7, v11
	v_pk_fma_f32 v[4:5], v[82:83], v[26:27], v[4:5] neg_lo:[0,0,1] neg_hi:[0,0,1]
	v_mov_b32_e32 v5, v13
	s_add_co_i32 s26, s26, 64
	v_pk_fma_f32 v[10:11], v[84:85], v[28:29], v[2:3] op_sel_hi:[1,0,1]
	v_pk_add_f32 v[0:1], v[0:1], v[6:7]
	v_pk_fma_f32 v[2:3], v[84:85], v[28:29], v[2:3] neg_lo:[0,0,1] neg_hi:[0,0,1]
	v_pk_fma_f32 v[6:7], v[80:81], v[30:31], v[8:9] op_sel_hi:[1,0,1]
	s_cmp_eq_u32 s25, 0
	v_mov_b32_e32 v3, v11
	v_pk_add_f32 v[0:1], v[0:1], v[4:5]
	v_pk_fma_f32 v[4:5], v[80:81], v[30:31], v[8:9] neg_lo:[0,0,1] neg_hi:[0,0,1]
	v_mov_b32_e32 v5, v7
	s_wait_storecnt 0x0
	s_barrier_signal -1
	v_pk_add_f32 v[0:1], v[0:1], v[2:3]
	s_barrier_wait -1
	s_delay_alu instid0(VALU_DEP_1)
	v_pk_add_f32 v[50:51], v[0:1], v[4:5]
	s_cbranch_scc1 .LBB12_110
.LBB12_106:                             ;   Parent Loop BB12_4 Depth=1
                                        ; =>  This Inner Loop Header: Depth=2
	s_and_saveexec_b32 s98, s0
	s_cbranch_execz .LBB12_108
; %bb.107:                              ;   in Loop: Header=BB12_106 Depth=2
	s_mul_u64 s[100:101], s[48:49], s[26:27]
	s_delay_alu instid0(SALU_CYCLE_1)
	v_lshl_add_u64 v[0:1], s[100:101], 3, v[52:53]
	global_load_b64 v[0:1], v[0:1], off
	s_wait_loadcnt 0x0
	ds_store_b64 v98, v[0:1]
.LBB12_108:                             ;   in Loop: Header=BB12_106 Depth=2
	s_wait_xcnt 0x0
	s_or_b32 exec_lo, exec_lo, s98
	v_add_nc_u64_e32 v[0:1], s[60:61], v[54:55]
	v_add_nc_u64_e32 v[2:3], s[64:65], v[54:55]
	;; [unrolled: 1-line block ×3, first 2 shown]
	s_wait_dscnt 0x0
	s_barrier_signal -1
	s_barrier_wait -1
	s_clause 0x3
	global_load_b64 v[62:63], v[54:55], off
	global_load_b64 v[60:61], v[0:1], off
	;; [unrolled: 1-line block ×4, first 2 shown]
	ds_load_b64 v[8:9], v88
	s_wait_xcnt 0x0
	ds_load_b128 v[4:7], v99
	v_add_nc_u64_e32 v[12:13], s[38:39], v[54:55]
	v_add_nc_u64_e32 v[20:21], s[68:69], v[54:55]
	;; [unrolled: 1-line block ×3, first 2 shown]
	ds_load_b128 v[0:3], v99 offset:16
	v_add_nc_u64_e32 v[28:29], s[72:73], v[54:55]
	v_add_nc_u64_e32 v[30:31], s[74:75], v[54:55]
	v_add_nc_u64_e32 v[84:85], s[76:77], v[54:55]
	v_add_nc_u64_e32 v[136:137], s[78:79], v[54:55]
	s_wait_loadcnt_dscnt 0x202
	v_dual_mul_f32 v14, v61, v9 :: v_dual_mul_f32 v15, v61, v8
	v_dual_mul_f32 v10, v63, v9 :: v_dual_mul_f32 v11, v63, v8
	s_wait_loadcnt 0x1
	v_dual_mul_f32 v16, v59, v9 :: v_dual_mul_f32 v17, v59, v8
	s_wait_loadcnt 0x0
	v_dual_mul_f32 v18, v57, v9 :: v_dual_mul_f32 v19, v57, v8
	v_dual_fmac_f32 v10, v62, v8 :: v_dual_fma_f32 v11, v62, v9, -v11
	v_dual_fmac_f32 v14, v60, v8 :: v_dual_fma_f32 v15, v60, v9, -v15
	;; [unrolled: 1-line block ×3, first 2 shown]
	s_delay_alu instid0(VALU_DEP_4)
	v_dual_fmac_f32 v18, v56, v8 :: v_dual_fma_f32 v19, v56, v9, -v19
	v_add_nc_u64_e32 v[8:9], s[40:41], v[54:55]
	ds_store_2addr_b64 v100, v[10:11], v[14:15] offset1:67
	ds_store_2addr_b64 v100, v[16:17], v[18:19] offset0:134 offset1:201
	s_wait_dscnt 0x0
	s_barrier_signal -1
	s_barrier_wait -1
	ds_load_2addr_b64 v[112:115], v101 offset1:1
	ds_load_2addr_b64 v[116:119], v101 offset0:2 offset1:3
	s_wait_dscnt 0x0
	s_barrier_signal -1
	s_barrier_wait -1
	s_clause 0x3
	global_load_b64 v[68:69], v[12:13], off
	global_load_b64 v[64:65], v[8:9], off
	;; [unrolled: 1-line block ×4, first 2 shown]
	s_wait_xcnt 0x3
	ds_load_b64 v[12:13], v88
	s_wait_xcnt 0x2
	ds_load_b128 v[8:11], v99 offset:128
	v_add_nc_u64_e32 v[16:17], s[90:91], v[54:55]
	v_add_nc_u64_e32 v[18:19], s[88:89], v[54:55]
	v_pk_add_f32 v[112:113], v[112:113], 0 op_sel_hi:[1,0]
	s_delay_alu instid0(VALU_DEP_1) | instskip(NEXT) | instid1(VALU_DEP_1)
	v_pk_add_f32 v[112:113], v[112:113], v[114:115]
	v_pk_add_f32 v[112:113], v[112:113], v[116:117]
	s_delay_alu instid0(VALU_DEP_1)
	v_pk_add_f32 v[112:113], v[112:113], v[118:119]
	s_wait_loadcnt_dscnt 0x301
	s_wait_xcnt 0x1
	v_dual_mul_f32 v20, v69, v13 :: v_dual_mul_f32 v14, v69, v12
	s_wait_loadcnt 0x2
	s_wait_xcnt 0x0
	v_dual_mul_f32 v22, v65, v13 :: v_dual_mul_f32 v15, v65, v12
	s_wait_loadcnt 0x1
	v_dual_mul_f32 v24, v71, v13 :: v_dual_mul_f32 v25, v71, v12
	s_wait_loadcnt 0x0
	v_dual_mul_f32 v26, v67, v13 :: v_dual_mul_f32 v27, v67, v12
	v_dual_fmac_f32 v20, v68, v12 :: v_dual_fma_f32 v21, v68, v13, -v14
	v_dual_fmac_f32 v22, v64, v12 :: v_dual_fma_f32 v23, v64, v13, -v15
	;; [unrolled: 1-line block ×3, first 2 shown]
	s_delay_alu instid0(VALU_DEP_4)
	v_dual_fmac_f32 v26, v66, v12 :: v_dual_fma_f32 v27, v66, v13, -v27
	ds_load_b128 v[12:15], v99 offset:144
	ds_store_2addr_b64 v100, v[20:21], v[22:23] offset1:67
	ds_store_2addr_b64 v100, v[24:25], v[26:27] offset0:134 offset1:201
	s_wait_dscnt 0x0
	s_barrier_signal -1
	s_barrier_wait -1
	ds_load_2addr_b64 v[120:123], v101 offset1:1
	ds_load_2addr_b64 v[124:127], v101 offset0:2 offset1:3
	s_wait_dscnt 0x0
	s_barrier_signal -1
	s_barrier_wait -1
	s_clause 0x3
	global_load_b64 v[78:79], v[16:17], off
	global_load_b64 v[76:77], v[18:19], off
	;; [unrolled: 1-line block ×4, first 2 shown]
	ds_load_b64 v[20:21], v88
	s_wait_xcnt 0x2
	ds_load_b128 v[16:19], v99 offset:256
	v_add_nc_u64_e32 v[24:25], s[82:83], v[54:55]
	v_add_nc_u64_e32 v[26:27], s[80:81], v[54:55]
	v_pk_add_f32 v[120:121], v[120:121], 0 op_sel_hi:[1,0]
	s_delay_alu instid0(VALU_DEP_1) | instskip(NEXT) | instid1(VALU_DEP_1)
	v_pk_add_f32 v[114:115], v[120:121], v[122:123]
	v_pk_add_f32 v[114:115], v[114:115], v[124:125]
	s_delay_alu instid0(VALU_DEP_1)
	v_pk_add_f32 v[114:115], v[114:115], v[126:127]
	s_wait_loadcnt_dscnt 0x301
	s_wait_xcnt 0x1
	v_dual_mul_f32 v28, v79, v21 :: v_dual_mul_f32 v22, v79, v20
	s_wait_loadcnt 0x2
	s_wait_xcnt 0x0
	v_dual_mul_f32 v30, v77, v21 :: v_dual_mul_f32 v23, v77, v20
	s_wait_loadcnt 0x1
	v_dual_mul_f32 v80, v75, v21 :: v_dual_mul_f32 v81, v75, v20
	s_wait_loadcnt 0x0
	v_dual_mul_f32 v82, v73, v21 :: v_dual_mul_f32 v83, v73, v20
	v_dual_fmac_f32 v28, v78, v20 :: v_dual_fma_f32 v29, v78, v21, -v22
	v_dual_fmac_f32 v30, v76, v20 :: v_dual_fma_f32 v31, v76, v21, -v23
	;; [unrolled: 1-line block ×3, first 2 shown]
	s_delay_alu instid0(VALU_DEP_4)
	v_dual_fmac_f32 v82, v72, v20 :: v_dual_fma_f32 v83, v72, v21, -v83
	ds_load_b128 v[20:23], v99 offset:272
	ds_store_2addr_b64 v100, v[28:29], v[30:31] offset1:67
	ds_store_2addr_b64 v100, v[80:81], v[82:83] offset0:134 offset1:201
	s_wait_dscnt 0x0
	s_barrier_signal -1
	s_barrier_wait -1
	ds_load_2addr_b64 v[128:131], v101 offset1:1
	ds_load_2addr_b64 v[132:135], v101 offset0:2 offset1:3
	s_wait_dscnt 0x0
	s_barrier_signal -1
	s_barrier_wait -1
	s_clause 0x3
	global_load_b64 v[86:87], v[24:25], off
	global_load_b64 v[82:83], v[26:27], off
	;; [unrolled: 1-line block ×4, first 2 shown]
	ds_load_b64 v[28:29], v88
	s_wait_xcnt 0x2
	ds_load_b128 v[24:27], v99 offset:384
	v_pk_add_f32 v[128:129], v[128:129], 0 op_sel_hi:[1,0]
	s_delay_alu instid0(VALU_DEP_1) | instskip(NEXT) | instid1(VALU_DEP_1)
	v_pk_add_f32 v[120:121], v[128:129], v[130:131]
	v_pk_add_f32 v[116:117], v[120:121], v[132:133]
	s_delay_alu instid0(VALU_DEP_1)
	v_pk_add_f32 v[116:117], v[116:117], v[134:135]
	s_wait_loadcnt_dscnt 0x301
	s_wait_xcnt 0x0
	v_dual_mul_f32 v30, v87, v28 :: v_dual_mul_f32 v136, v87, v29
	s_wait_loadcnt 0x2
	v_dual_mul_f32 v138, v83, v29 :: v_dual_mul_f32 v31, v83, v28
	s_wait_loadcnt 0x1
	;; [unrolled: 2-line block ×3, first 2 shown]
	v_dual_mul_f32 v142, v81, v29 :: v_dual_mul_f32 v143, v81, v28
	v_dual_fma_f32 v137, v86, v29, -v30 :: v_dual_fmac_f32 v136, v86, v28
	v_dual_fmac_f32 v138, v82, v28 :: v_dual_fma_f32 v139, v82, v29, -v31
	v_dual_fma_f32 v141, v84, v29, -v141 :: v_dual_fmac_f32 v140, v84, v28
	s_delay_alu instid0(VALU_DEP_4)
	v_dual_fmac_f32 v142, v80, v28 :: v_dual_fma_f32 v143, v80, v29, -v143
	ds_load_b128 v[28:31], v99 offset:400
	ds_store_2addr_b64 v100, v[136:137], v[138:139] offset1:67
	ds_store_2addr_b64 v100, v[140:141], v[142:143] offset0:134 offset1:201
	s_wait_dscnt 0x0
	s_barrier_signal -1
	s_barrier_wait -1
	ds_load_2addr_b64 v[136:139], v101 offset1:1
	ds_load_2addr_b64 v[140:143], v101 offset0:2 offset1:3
	s_wait_dscnt 0x0
	s_barrier_signal -1
	s_barrier_wait -1
	v_pk_add_f32 v[136:137], v[136:137], 0 op_sel_hi:[1,0]
	s_delay_alu instid0(VALU_DEP_1) | instskip(NEXT) | instid1(VALU_DEP_1)
	v_pk_add_f32 v[122:123], v[136:137], v[138:139]
	v_pk_add_f32 v[120:121], v[122:123], v[140:141]
	s_delay_alu instid0(VALU_DEP_1)
	v_pk_add_f32 v[118:119], v[120:121], v[142:143]
	ds_store_2addr_b64 v111, v[112:113], v[114:115] offset1:16
	ds_store_2addr_b64 v111, v[116:117], v[118:119] offset0:32 offset1:48
	s_wait_dscnt 0x0
	s_barrier_signal -1
	s_barrier_wait -1
	s_and_saveexec_b32 s98, s22
	s_cbranch_execz .LBB12_105
; %bb.109:                              ;   in Loop: Header=BB12_106 Depth=2
	ds_load_b64 v[124:125], v102
	ds_load_2addr_b64 v[112:115], v102 offset0:1 offset1:2
	ds_load_2addr_b64 v[116:119], v102 offset0:3 offset1:4
	;; [unrolled: 1-line block ×3, first 2 shown]
	s_wait_dscnt 0x2
	v_dual_add_f32 v112, v112, v124 :: v_dual_add_f32 v113, v113, v125
	s_delay_alu instid0(VALU_DEP_1) | instskip(SKIP_3) | instid1(VALU_DEP_1)
	v_dual_add_f32 v124, v114, v112 :: v_dual_add_f32 v125, v115, v113
	ds_load_2addr_b64 v[112:115], v102 offset0:7 offset1:8
	s_wait_dscnt 0x2
	v_dual_add_f32 v116, v124, v116 :: v_dual_add_f32 v117, v125, v117
	v_dual_add_f32 v124, v116, v118 :: v_dual_add_f32 v125, v117, v119
	ds_load_2addr_b64 v[116:119], v102 offset0:9 offset1:10
	s_wait_dscnt 0x2
	v_pk_add_f32 v[120:121], v[124:125], v[120:121]
	s_delay_alu instid0(VALU_DEP_1) | instskip(SKIP_3) | instid1(VALU_DEP_1)
	v_pk_add_f32 v[124:125], v[120:121], v[122:123]
	ds_load_2addr_b64 v[120:123], v102 offset0:11 offset1:12
	s_wait_dscnt 0x2
	v_pk_add_f32 v[112:113], v[124:125], v[112:113]
	v_pk_add_f32 v[112:113], v[112:113], v[114:115]
	s_wait_dscnt 0x1
	s_delay_alu instid0(VALU_DEP_1)
	v_pk_add_f32 v[116:117], v[112:113], v[116:117]
	ds_load_2addr_b64 v[112:115], v102 offset0:13 offset1:14
	v_pk_add_f32 v[116:117], v[116:117], v[118:119]
	ds_load_b64 v[118:119], v103
	s_wait_dscnt 0x2
	v_pk_add_f32 v[116:117], v[116:117], v[120:121]
	s_delay_alu instid0(VALU_DEP_1) | instskip(SKIP_1) | instid1(VALU_DEP_1)
	v_pk_add_f32 v[116:117], v[116:117], v[122:123]
	s_wait_dscnt 0x1
	v_pk_add_f32 v[112:113], v[116:117], v[112:113]
	s_delay_alu instid0(VALU_DEP_1) | instskip(SKIP_2) | instid1(VALU_DEP_2)
	v_pk_add_f32 v[112:113], v[112:113], v[114:115]
	v_add_nc_u32_e32 v114, s26, v32
	s_wait_dscnt 0x0
	v_pk_add_f32 v[112:113], v[112:113], v[118:119]
	global_store_b64 v114, v[112:113], s[92:93] scale_offset
	s_branch .LBB12_105
.LBB12_110:                             ;   in Loop: Header=BB12_4 Depth=1
	ds_store_b64 v104, v[50:51]
	s_wait_dscnt 0x0
	s_barrier_signal -1
	s_barrier_wait -1
	s_and_saveexec_b32 s25, s96
	s_cbranch_execz .LBB12_2
; %bb.111:                              ;   in Loop: Header=BB12_4 Depth=1
	ds_load_2addr_b64 v[0:3], v33 offset1:67
	ds_load_2addr_b64 v[4:7], v33 offset0:134 offset1:201
	s_wait_dscnt 0x1
	v_pk_add_f32 v[0:1], v[2:3], v[0:1]
	v_lshl_add_u64 v[2:3], v[38:39], 3, s[92:93]
	s_wait_dscnt 0x0
	s_delay_alu instid0(VALU_DEP_2) | instskip(NEXT) | instid1(VALU_DEP_1)
	v_pk_add_f32 v[0:1], v[4:5], v[0:1]
	v_pk_add_f32 v[0:1], v[0:1], v[6:7]
	global_store_b64 v[2:3], v[0:1], off
	s_branch .LBB12_2
.LBB12_112:
	s_sendmsg sendmsg(MSG_DEALLOC_VGPRS)
	s_endpgm
	.section	.rodata,"a",@progbits
	.p2align	6, 0x0
	.amdhsa_kernel _ZL26rocblas_hemvn_kernel_lowerILb1ELi64ELi4ELi33ELi32ELi16El19rocblas_complex_numIfEPKS1_PS1_EviT6_lT7_lT5_lS6_lS7_lS5_lT8_i
		.amdhsa_group_segment_fixed_size 9600
		.amdhsa_private_segment_fixed_size 0
		.amdhsa_kernarg_size 376
		.amdhsa_user_sgpr_count 2
		.amdhsa_user_sgpr_dispatch_ptr 0
		.amdhsa_user_sgpr_queue_ptr 0
		.amdhsa_user_sgpr_kernarg_segment_ptr 1
		.amdhsa_user_sgpr_dispatch_id 0
		.amdhsa_user_sgpr_kernarg_preload_length 0
		.amdhsa_user_sgpr_kernarg_preload_offset 0
		.amdhsa_user_sgpr_private_segment_size 0
		.amdhsa_wavefront_size32 1
		.amdhsa_uses_dynamic_stack 0
		.amdhsa_enable_private_segment 0
		.amdhsa_system_sgpr_workgroup_id_x 1
		.amdhsa_system_sgpr_workgroup_id_y 0
		.amdhsa_system_sgpr_workgroup_id_z 1
		.amdhsa_system_sgpr_workgroup_info 0
		.amdhsa_system_vgpr_workitem_id 1
		.amdhsa_next_free_vgpr 144
		.amdhsa_next_free_sgpr 102
		.amdhsa_named_barrier_count 0
		.amdhsa_reserve_vcc 1
		.amdhsa_float_round_mode_32 0
		.amdhsa_float_round_mode_16_64 0
		.amdhsa_float_denorm_mode_32 3
		.amdhsa_float_denorm_mode_16_64 3
		.amdhsa_fp16_overflow 0
		.amdhsa_memory_ordered 1
		.amdhsa_forward_progress 1
		.amdhsa_inst_pref_size 60
		.amdhsa_round_robin_scheduling 0
		.amdhsa_exception_fp_ieee_invalid_op 0
		.amdhsa_exception_fp_denorm_src 0
		.amdhsa_exception_fp_ieee_div_zero 0
		.amdhsa_exception_fp_ieee_overflow 0
		.amdhsa_exception_fp_ieee_underflow 0
		.amdhsa_exception_fp_ieee_inexact 0
		.amdhsa_exception_int_div_zero 0
	.end_amdhsa_kernel
	.section	.text._ZL26rocblas_hemvn_kernel_lowerILb1ELi64ELi4ELi33ELi32ELi16El19rocblas_complex_numIfEPKS1_PS1_EviT6_lT7_lT5_lS6_lS7_lS5_lT8_i,"axG",@progbits,_ZL26rocblas_hemvn_kernel_lowerILb1ELi64ELi4ELi33ELi32ELi16El19rocblas_complex_numIfEPKS1_PS1_EviT6_lT7_lT5_lS6_lS7_lS5_lT8_i,comdat
.Lfunc_end12:
	.size	_ZL26rocblas_hemvn_kernel_lowerILb1ELi64ELi4ELi33ELi32ELi16El19rocblas_complex_numIfEPKS1_PS1_EviT6_lT7_lT5_lS6_lS7_lS5_lT8_i, .Lfunc_end12-_ZL26rocblas_hemvn_kernel_lowerILb1ELi64ELi4ELi33ELi32ELi16El19rocblas_complex_numIfEPKS1_PS1_EviT6_lT7_lT5_lS6_lS7_lS5_lT8_i
                                        ; -- End function
	.set _ZL26rocblas_hemvn_kernel_lowerILb1ELi64ELi4ELi33ELi32ELi16El19rocblas_complex_numIfEPKS1_PS1_EviT6_lT7_lT5_lS6_lS7_lS5_lT8_i.num_vgpr, 144
	.set _ZL26rocblas_hemvn_kernel_lowerILb1ELi64ELi4ELi33ELi32ELi16El19rocblas_complex_numIfEPKS1_PS1_EviT6_lT7_lT5_lS6_lS7_lS5_lT8_i.num_agpr, 0
	.set _ZL26rocblas_hemvn_kernel_lowerILb1ELi64ELi4ELi33ELi32ELi16El19rocblas_complex_numIfEPKS1_PS1_EviT6_lT7_lT5_lS6_lS7_lS5_lT8_i.numbered_sgpr, 102
	.set _ZL26rocblas_hemvn_kernel_lowerILb1ELi64ELi4ELi33ELi32ELi16El19rocblas_complex_numIfEPKS1_PS1_EviT6_lT7_lT5_lS6_lS7_lS5_lT8_i.num_named_barrier, 0
	.set _ZL26rocblas_hemvn_kernel_lowerILb1ELi64ELi4ELi33ELi32ELi16El19rocblas_complex_numIfEPKS1_PS1_EviT6_lT7_lT5_lS6_lS7_lS5_lT8_i.private_seg_size, 0
	.set _ZL26rocblas_hemvn_kernel_lowerILb1ELi64ELi4ELi33ELi32ELi16El19rocblas_complex_numIfEPKS1_PS1_EviT6_lT7_lT5_lS6_lS7_lS5_lT8_i.uses_vcc, 1
	.set _ZL26rocblas_hemvn_kernel_lowerILb1ELi64ELi4ELi33ELi32ELi16El19rocblas_complex_numIfEPKS1_PS1_EviT6_lT7_lT5_lS6_lS7_lS5_lT8_i.uses_flat_scratch, 0
	.set _ZL26rocblas_hemvn_kernel_lowerILb1ELi64ELi4ELi33ELi32ELi16El19rocblas_complex_numIfEPKS1_PS1_EviT6_lT7_lT5_lS6_lS7_lS5_lT8_i.has_dyn_sized_stack, 0
	.set _ZL26rocblas_hemvn_kernel_lowerILb1ELi64ELi4ELi33ELi32ELi16El19rocblas_complex_numIfEPKS1_PS1_EviT6_lT7_lT5_lS6_lS7_lS5_lT8_i.has_recursion, 0
	.set _ZL26rocblas_hemvn_kernel_lowerILb1ELi64ELi4ELi33ELi32ELi16El19rocblas_complex_numIfEPKS1_PS1_EviT6_lT7_lT5_lS6_lS7_lS5_lT8_i.has_indirect_call, 0
	.section	.AMDGPU.csdata,"",@progbits
; Kernel info:
; codeLenInByte = 7564
; TotalNumSgprs: 104
; NumVgprs: 144
; ScratchSize: 0
; MemoryBound: 1
; FloatMode: 240
; IeeeMode: 1
; LDSByteSize: 9600 bytes/workgroup (compile time only)
; SGPRBlocks: 0
; VGPRBlocks: 8
; NumSGPRsForWavesPerEU: 104
; NumVGPRsForWavesPerEU: 144
; NamedBarCnt: 0
; Occupancy: 7
; WaveLimiterHint : 1
; COMPUTE_PGM_RSRC2:SCRATCH_EN: 0
; COMPUTE_PGM_RSRC2:USER_SGPR: 2
; COMPUTE_PGM_RSRC2:TRAP_HANDLER: 0
; COMPUTE_PGM_RSRC2:TGID_X_EN: 1
; COMPUTE_PGM_RSRC2:TGID_Y_EN: 0
; COMPUTE_PGM_RSRC2:TGID_Z_EN: 1
; COMPUTE_PGM_RSRC2:TIDIG_COMP_CNT: 1
	.section	.text._ZL36rocblas_hemvn_kernel_lower_block_sumILi64El19rocblas_complex_numIfEPS1_S1_EviT1_lS3_lT2_lT0_lPT3_i,"axG",@progbits,_ZL36rocblas_hemvn_kernel_lower_block_sumILi64El19rocblas_complex_numIfEPS1_S1_EviT1_lS3_lT2_lT0_lPT3_i,comdat
	.globl	_ZL36rocblas_hemvn_kernel_lower_block_sumILi64El19rocblas_complex_numIfEPS1_S1_EviT1_lS3_lT2_lT0_lPT3_i ; -- Begin function _ZL36rocblas_hemvn_kernel_lower_block_sumILi64El19rocblas_complex_numIfEPS1_S1_EviT1_lS3_lT2_lT0_lPT3_i
	.p2align	8
	.type	_ZL36rocblas_hemvn_kernel_lower_block_sumILi64El19rocblas_complex_numIfEPS1_S1_EviT1_lS3_lT2_lT0_lPT3_i,@function
_ZL36rocblas_hemvn_kernel_lower_block_sumILi64El19rocblas_complex_numIfEPS1_S1_EviT1_lS3_lT2_lT0_lPT3_i: ; @_ZL36rocblas_hemvn_kernel_lower_block_sumILi64El19rocblas_complex_numIfEPS1_S1_EviT1_lS3_lT2_lT0_lPT3_i
; %bb.0:
	s_load_b32 s24, s[0:1], 0x50
	s_bfe_u32 s2, ttmp6, 0x40014
	s_lshr_b32 s3, ttmp7, 16
	s_add_co_i32 s2, s2, 1
	s_bfe_u32 s4, ttmp6, 0x40008
	s_mul_i32 s2, s3, s2
	s_getreg_b32 s16, hwreg(HW_REG_IB_STS2, 6, 4)
	s_add_co_i32 s4, s4, s2
	s_cmp_eq_u32 s16, 0
	s_cselect_b32 s2, s3, s4
	s_mov_b32 s3, 0
	s_wait_kmcnt 0x0
	s_cmp_ge_u32 s2, s24
	s_cbranch_scc1 .LBB13_21
; %bb.1:
	s_clause 0x2
	s_load_b64 s[12:13], s[0:1], 0x4
	s_load_b256 s[4:11], s[0:1], 0x30
	s_load_b64 s[14:15], s[0:1], 0x18
	s_wait_kmcnt 0x0
	s_or_b32 s17, s12, s13
	s_lshl_b64 s[4:5], s[4:5], 3
	s_bitset0_b32 s17, 31
	s_delay_alu instid0(SALU_CYCLE_1)
	s_cmp_eq_u32 s17, 0
	s_cselect_b32 s25, -1, 0
	s_cmp_lg_u32 s17, 0
	s_cselect_b32 s20, -1, 0
	s_cmp_neq_f32 s14, 1.0
	s_cselect_b32 s21, -1, 0
	s_cmp_neq_f32 s15, 0
	s_cselect_b32 s22, -1, 0
	s_bfe_u32 s17, ttmp6, 0x4000c
	s_and_b32 s18, ttmp6, 15
	s_add_co_i32 s17, s17, 1
	s_delay_alu instid0(SALU_CYCLE_1) | instskip(NEXT) | instid1(SALU_CYCLE_1)
	s_mul_i32 s17, ttmp9, s17
	s_add_co_i32 s17, s18, s17
	s_load_b32 s18, s[0:1], 0x0
	s_cmp_eq_u32 s16, 0
	s_cselect_b32 s26, ttmp9, s17
	s_load_b64 s[16:17], s[0:1], 0x28
	v_lshl_or_b32 v2, s26, 6, v0
	s_cmp_neq_f32 s14, 0
	s_wait_kmcnt 0x0
	s_delay_alu instid0(VALU_DEP_1) | instskip(SKIP_4) | instid1(VALU_DEP_2)
	v_mad_u32 v4, s18, s26, v2
	v_ashrrev_i32_e32 v3, 31, v2
	s_add_nc_u64 s[4:5], s[16:17], s[4:5]
	s_mov_b32 s16, s13
	s_mov_b32 s17, s12
	v_ashrrev_i32_e32 v5, 31, v4
	v_mul_u64_e32 v[0:1], s[6:7], v[2:3]
	s_add_nc_u64 s[6:7], s[0:1], 0x58
	s_cselect_b32 s1, -1, 0
	v_cmp_gt_i32_e64 s0, s18, v2
	s_or_b32 s1, s1, s22
	v_lshl_add_u64 v[2:3], v[4:5], 3, s[10:11]
	v_cndmask_b32_e64 v10, 0, 1, s1
	s_ashr_i32 s19, s18, 31
	s_or_b32 s21, s21, s22
	s_xor_b32 s1, s1, -1
	s_or_b32 s27, s21, s20
	s_mov_b32 s10, s15
	s_mov_b32 s11, s14
	s_lshl_b64 s[18:19], s[18:19], 3
	s_branch .LBB13_5
.LBB13_2:                               ;   in Loop: Header=BB13_5 Depth=1
	global_store_b64 v[6:7], v[8:9], off
.LBB13_3:                               ;   in Loop: Header=BB13_5 Depth=1
	s_wait_xcnt 0x0
	s_or_b32 exec_lo, exec_lo, s28
.LBB13_4:                               ;   in Loop: Header=BB13_5 Depth=1
	s_add_co_i32 s2, s2, 0x10000
	s_delay_alu instid0(SALU_CYCLE_1)
	s_cmp_lt_u32 s2, s24
	s_cbranch_scc0 .LBB13_21
.LBB13_5:                               ; =>This Loop Header: Depth=1
                                        ;     Child Loop BB13_16 Depth 2
	s_and_not1_b32 vcc_lo, exec_lo, s27
	s_cbranch_vccnz .LBB13_4
; %bb.6:                                ;   in Loop: Header=BB13_5 Depth=1
	s_mul_u64 s[20:21], s[8:9], s[2:3]
	s_and_not1_b32 vcc_lo, exec_lo, s25
	s_lshl_b64 s[20:21], s[20:21], 3
	s_mov_b32 s22, -1
	s_add_nc_u64 s[20:21], s[4:5], s[20:21]
	s_cbranch_vccnz .LBB13_12
; %bb.7:                                ;   in Loop: Header=BB13_5 Depth=1
	s_and_saveexec_b32 s22, s0
	s_cbranch_execz .LBB13_11
; %bb.8:                                ;   in Loop: Header=BB13_5 Depth=1
	v_cmp_ne_u32_e32 vcc_lo, 1, v10
	v_dual_mov_b32 v4, 0 :: v_dual_mov_b32 v5, 0
	s_cbranch_vccnz .LBB13_10
; %bb.9:                                ;   in Loop: Header=BB13_5 Depth=1
	v_lshl_add_u64 v[4:5], v[0:1], 3, s[20:21]
	v_mov_b64_e32 v[6:7], s[10:11]
	v_mov_b64_e32 v[8:9], s[14:15]
	global_load_b64 v[4:5], v[4:5], off
	s_wait_loadcnt 0x0
	v_pk_mul_f32 v[6:7], v[4:5], v[6:7] op_sel:[1,0]
	s_delay_alu instid0(VALU_DEP_1) | instskip(SKIP_2) | instid1(VALU_DEP_2)
	v_pk_fma_f32 v[12:13], v[4:5], v[8:9], v[6:7] op_sel_hi:[0,1,1]
	s_wait_xcnt 0x0
	v_pk_fma_f32 v[4:5], v[4:5], v[8:9], v[6:7] neg_lo:[0,0,1] neg_hi:[0,0,1]
	v_mov_b32_e32 v5, v13
.LBB13_10:                              ;   in Loop: Header=BB13_5 Depth=1
	v_lshl_add_u64 v[6:7], v[0:1], 3, s[20:21]
	global_store_b64 v[6:7], v[4:5], off
.LBB13_11:                              ;   in Loop: Header=BB13_5 Depth=1
	s_wait_xcnt 0x0
	s_or_b32 exec_lo, exec_lo, s22
	s_mov_b32 s22, 0
.LBB13_12:                              ;   in Loop: Header=BB13_5 Depth=1
	s_delay_alu instid0(SALU_CYCLE_1)
	s_and_not1_b32 vcc_lo, exec_lo, s22
	s_cbranch_vccnz .LBB13_4
; %bb.13:                               ;   in Loop: Header=BB13_5 Depth=1
	s_and_saveexec_b32 s28, s0
	s_cbranch_execz .LBB13_3
; %bb.14:                               ;   in Loop: Header=BB13_5 Depth=1
	s_load_b32 s22, s[6:7], 0x0
	v_mov_b32_e32 v5, 0
	s_delay_alu instid0(VALU_DEP_1)
	v_mov_b32_e32 v4, v5
	s_wait_kmcnt 0x0
	s_cmp_ge_i32 s26, s22
	s_cbranch_scc1 .LBB13_17
; %bb.15:                               ;   in Loop: Header=BB13_5 Depth=1
	s_mov_b32 s23, s3
	v_mov_b32_e32 v4, 0
	s_mul_u64 s[30:31], s[18:19], s[22:23]
	s_mov_b32 s23, s26
	v_mad_nc_u64_u32 v[6:7], s30, s2, v[2:3]
	s_delay_alu instid0(VALU_DEP_2) | instskip(NEXT) | instid1(VALU_DEP_2)
	v_mov_b32_e32 v5, v4
	v_mad_u32 v7, s31, s2, v7
.LBB13_16:                              ;   Parent Loop BB13_5 Depth=1
                                        ; =>  This Inner Loop Header: Depth=2
	global_load_b64 v[8:9], v[6:7], off
	s_wait_xcnt 0x0
	v_add_nc_u64_e32 v[6:7], s[18:19], v[6:7]
	s_add_co_i32 s23, s23, 1
	s_delay_alu instid0(SALU_CYCLE_1)
	s_cmp_ge_i32 s23, s22
	s_wait_loadcnt 0x0
	v_pk_add_f32 v[4:5], v[4:5], v[8:9]
	s_cbranch_scc0 .LBB13_16
.LBB13_17:                              ;   in Loop: Header=BB13_5 Depth=1
	s_and_b32 vcc_lo, exec_lo, s1
	s_mov_b32 s22, -1
                                        ; implicit-def: $vgpr9
	s_cbranch_vccz .LBB13_19
; %bb.18:                               ;   in Loop: Header=BB13_5 Depth=1
	v_mov_b64_e32 v[6:7], s[16:17]
	v_mov_b64_e32 v[8:9], s[12:13]
	s_mov_b32 s22, 0
	s_delay_alu instid0(VALU_DEP_2) | instskip(NEXT) | instid1(VALU_DEP_2)
	v_pk_mul_f32 v[6:7], v[4:5], v[6:7] op_sel:[1,0]
	v_pk_mul_f32 v[12:13], v[4:5], v[8:9] op_sel_hi:[0,1]
	s_delay_alu instid0(VALU_DEP_2) | instskip(NEXT) | instid1(VALU_DEP_2)
	v_pk_fma_f32 v[8:9], v[4:5], v[8:9], v[6:7] op_sel_hi:[0,1,1]
	v_sub_f32_e32 v8, v12, v6
.LBB13_19:                              ;   in Loop: Header=BB13_5 Depth=1
	v_lshl_add_u64 v[6:7], v[0:1], 3, s[20:21]
	s_and_not1_b32 vcc_lo, exec_lo, s22
	s_cbranch_vccnz .LBB13_2
; %bb.20:                               ;   in Loop: Header=BB13_5 Depth=1
	global_load_b64 v[8:9], v[6:7], off
	v_mov_b64_e32 v[12:13], s[10:11]
	v_mov_b64_e32 v[14:15], s[16:17]
	;; [unrolled: 1-line block ×4, first 2 shown]
	s_delay_alu instid0(VALU_DEP_3) | instskip(NEXT) | instid1(VALU_DEP_1)
	v_pk_mul_f32 v[14:15], v[4:5], v[14:15] op_sel:[1,0]
	v_pk_fma_f32 v[22:23], v[4:5], v[18:19], v[14:15] op_sel_hi:[0,1,1]
	v_pk_fma_f32 v[4:5], v[4:5], v[18:19], v[14:15] neg_lo:[0,0,1] neg_hi:[0,0,1]
	s_delay_alu instid0(VALU_DEP_2) | instskip(SKIP_2) | instid1(VALU_DEP_1)
	v_mov_b32_e32 v5, v23
	s_wait_loadcnt 0x0
	v_pk_mul_f32 v[12:13], v[8:9], v[12:13] op_sel:[1,0]
	v_pk_fma_f32 v[20:21], v[8:9], v[16:17], v[12:13] op_sel_hi:[0,1,1]
	v_pk_fma_f32 v[8:9], v[8:9], v[16:17], v[12:13] neg_lo:[0,0,1] neg_hi:[0,0,1]
	s_delay_alu instid0(VALU_DEP_2) | instskip(NEXT) | instid1(VALU_DEP_1)
	v_mov_b32_e32 v9, v21
	v_pk_add_f32 v[8:9], v[4:5], v[8:9]
	s_branch .LBB13_2
.LBB13_21:
	s_endpgm
	.section	.rodata,"a",@progbits
	.p2align	6, 0x0
	.amdhsa_kernel _ZL36rocblas_hemvn_kernel_lower_block_sumILi64El19rocblas_complex_numIfEPS1_S1_EviT1_lS3_lT2_lT0_lPT3_i
		.amdhsa_group_segment_fixed_size 0
		.amdhsa_private_segment_fixed_size 0
		.amdhsa_kernarg_size 344
		.amdhsa_user_sgpr_count 2
		.amdhsa_user_sgpr_dispatch_ptr 0
		.amdhsa_user_sgpr_queue_ptr 0
		.amdhsa_user_sgpr_kernarg_segment_ptr 1
		.amdhsa_user_sgpr_dispatch_id 0
		.amdhsa_user_sgpr_kernarg_preload_length 0
		.amdhsa_user_sgpr_kernarg_preload_offset 0
		.amdhsa_user_sgpr_private_segment_size 0
		.amdhsa_wavefront_size32 1
		.amdhsa_uses_dynamic_stack 0
		.amdhsa_enable_private_segment 0
		.amdhsa_system_sgpr_workgroup_id_x 1
		.amdhsa_system_sgpr_workgroup_id_y 0
		.amdhsa_system_sgpr_workgroup_id_z 1
		.amdhsa_system_sgpr_workgroup_info 0
		.amdhsa_system_vgpr_workitem_id 0
		.amdhsa_next_free_vgpr 24
		.amdhsa_next_free_sgpr 32
		.amdhsa_named_barrier_count 0
		.amdhsa_reserve_vcc 1
		.amdhsa_float_round_mode_32 0
		.amdhsa_float_round_mode_16_64 0
		.amdhsa_float_denorm_mode_32 3
		.amdhsa_float_denorm_mode_16_64 3
		.amdhsa_fp16_overflow 0
		.amdhsa_memory_ordered 1
		.amdhsa_forward_progress 1
		.amdhsa_inst_pref_size 7
		.amdhsa_round_robin_scheduling 0
		.amdhsa_exception_fp_ieee_invalid_op 0
		.amdhsa_exception_fp_denorm_src 0
		.amdhsa_exception_fp_ieee_div_zero 0
		.amdhsa_exception_fp_ieee_overflow 0
		.amdhsa_exception_fp_ieee_underflow 0
		.amdhsa_exception_fp_ieee_inexact 0
		.amdhsa_exception_int_div_zero 0
	.end_amdhsa_kernel
	.section	.text._ZL36rocblas_hemvn_kernel_lower_block_sumILi64El19rocblas_complex_numIfEPS1_S1_EviT1_lS3_lT2_lT0_lPT3_i,"axG",@progbits,_ZL36rocblas_hemvn_kernel_lower_block_sumILi64El19rocblas_complex_numIfEPS1_S1_EviT1_lS3_lT2_lT0_lPT3_i,comdat
.Lfunc_end13:
	.size	_ZL36rocblas_hemvn_kernel_lower_block_sumILi64El19rocblas_complex_numIfEPS1_S1_EviT1_lS3_lT2_lT0_lPT3_i, .Lfunc_end13-_ZL36rocblas_hemvn_kernel_lower_block_sumILi64El19rocblas_complex_numIfEPS1_S1_EviT1_lS3_lT2_lT0_lPT3_i
                                        ; -- End function
	.set _ZL36rocblas_hemvn_kernel_lower_block_sumILi64El19rocblas_complex_numIfEPS1_S1_EviT1_lS3_lT2_lT0_lPT3_i.num_vgpr, 24
	.set _ZL36rocblas_hemvn_kernel_lower_block_sumILi64El19rocblas_complex_numIfEPS1_S1_EviT1_lS3_lT2_lT0_lPT3_i.num_agpr, 0
	.set _ZL36rocblas_hemvn_kernel_lower_block_sumILi64El19rocblas_complex_numIfEPS1_S1_EviT1_lS3_lT2_lT0_lPT3_i.numbered_sgpr, 32
	.set _ZL36rocblas_hemvn_kernel_lower_block_sumILi64El19rocblas_complex_numIfEPS1_S1_EviT1_lS3_lT2_lT0_lPT3_i.num_named_barrier, 0
	.set _ZL36rocblas_hemvn_kernel_lower_block_sumILi64El19rocblas_complex_numIfEPS1_S1_EviT1_lS3_lT2_lT0_lPT3_i.private_seg_size, 0
	.set _ZL36rocblas_hemvn_kernel_lower_block_sumILi64El19rocblas_complex_numIfEPS1_S1_EviT1_lS3_lT2_lT0_lPT3_i.uses_vcc, 1
	.set _ZL36rocblas_hemvn_kernel_lower_block_sumILi64El19rocblas_complex_numIfEPS1_S1_EviT1_lS3_lT2_lT0_lPT3_i.uses_flat_scratch, 0
	.set _ZL36rocblas_hemvn_kernel_lower_block_sumILi64El19rocblas_complex_numIfEPS1_S1_EviT1_lS3_lT2_lT0_lPT3_i.has_dyn_sized_stack, 0
	.set _ZL36rocblas_hemvn_kernel_lower_block_sumILi64El19rocblas_complex_numIfEPS1_S1_EviT1_lS3_lT2_lT0_lPT3_i.has_recursion, 0
	.set _ZL36rocblas_hemvn_kernel_lower_block_sumILi64El19rocblas_complex_numIfEPS1_S1_EviT1_lS3_lT2_lT0_lPT3_i.has_indirect_call, 0
	.section	.AMDGPU.csdata,"",@progbits
; Kernel info:
; codeLenInByte = 852
; TotalNumSgprs: 34
; NumVgprs: 24
; ScratchSize: 0
; MemoryBound: 0
; FloatMode: 240
; IeeeMode: 1
; LDSByteSize: 0 bytes/workgroup (compile time only)
; SGPRBlocks: 0
; VGPRBlocks: 1
; NumSGPRsForWavesPerEU: 34
; NumVGPRsForWavesPerEU: 24
; NamedBarCnt: 0
; Occupancy: 16
; WaveLimiterHint : 0
; COMPUTE_PGM_RSRC2:SCRATCH_EN: 0
; COMPUTE_PGM_RSRC2:USER_SGPR: 2
; COMPUTE_PGM_RSRC2:TRAP_HANDLER: 0
; COMPUTE_PGM_RSRC2:TGID_X_EN: 1
; COMPUTE_PGM_RSRC2:TGID_Y_EN: 0
; COMPUTE_PGM_RSRC2:TGID_Z_EN: 1
; COMPUTE_PGM_RSRC2:TIDIG_COMP_CNT: 0
	.section	.text._ZL26rocblas_hemvn_kernel_lowerILb1ELi64ELi4ELi33ELi32ELi16Ei19rocblas_complex_numIfEPKS1_PS1_EviT6_lT7_lT5_lS6_lS7_lS5_lT8_i,"axG",@progbits,_ZL26rocblas_hemvn_kernel_lowerILb1ELi64ELi4ELi33ELi32ELi16Ei19rocblas_complex_numIfEPKS1_PS1_EviT6_lT7_lT5_lS6_lS7_lS5_lT8_i,comdat
	.globl	_ZL26rocblas_hemvn_kernel_lowerILb1ELi64ELi4ELi33ELi32ELi16Ei19rocblas_complex_numIfEPKS1_PS1_EviT6_lT7_lT5_lS6_lS7_lS5_lT8_i ; -- Begin function _ZL26rocblas_hemvn_kernel_lowerILb1ELi64ELi4ELi33ELi32ELi16Ei19rocblas_complex_numIfEPKS1_PS1_EviT6_lT7_lT5_lS6_lS7_lS5_lT8_i
	.p2align	8
	.type	_ZL26rocblas_hemvn_kernel_lowerILb1ELi64ELi4ELi33ELi32ELi16Ei19rocblas_complex_numIfEPKS1_PS1_EviT6_lT7_lT5_lS6_lS7_lS5_lT8_i,@function
_ZL26rocblas_hemvn_kernel_lowerILb1ELi64ELi4ELi33ELi32ELi16Ei19rocblas_complex_numIfEPKS1_PS1_EviT6_lT7_lT5_lS6_lS7_lS5_lT8_i: ; @_ZL26rocblas_hemvn_kernel_lowerILb1ELi64ELi4ELi33ELi32ELi16Ei19rocblas_complex_numIfEPKS1_PS1_EviT6_lT7_lT5_lS6_lS7_lS5_lT8_i
; %bb.0:
	s_clause 0x1
	s_load_b64 s[2:3], s[0:1], 0x84
	s_load_b32 s23, s[0:1], 0x70
	s_bfe_u32 s4, ttmp6, 0x40014
	s_lshr_b32 s5, ttmp7, 16
	s_add_co_i32 s4, s4, 1
	s_bfe_u32 s6, ttmp6, 0x40008
	s_mul_i32 s4, s5, s4
	s_getreg_b32 s10, hwreg(HW_REG_IB_STS2, 6, 4)
	s_add_co_i32 s6, s6, s4
	s_mov_b32 s35, 0
	s_wait_kmcnt 0x0
	s_lshr_b32 s4, s2, 16
	s_and_b32 s2, s2, 0xffff
	s_and_b32 s3, s3, 0xffff
	s_mul_i32 s2, s4, s2
	s_cmp_eq_u32 s10, 0
	s_mul_i32 s2, s2, s3
	s_cselect_b32 s34, s5, s6
	s_cmp_lg_u32 s2, 0x100
	s_cselect_b32 s2, -1, 0
	s_cmp_ge_u32 s34, s23
	s_cselect_b32 s3, -1, 0
	s_delay_alu instid0(SALU_CYCLE_1) | instskip(NEXT) | instid1(SALU_CYCLE_1)
	s_or_b32 s2, s2, s3
	s_and_b32 vcc_lo, exec_lo, s2
	s_cbranch_vccnz .LBB14_112
; %bb.1:
	s_clause 0x7
	s_load_b32 s2, s[0:1], 0x0
	s_load_b32 s90, s[0:1], 0x28
	s_load_b64 s[12:13], s[0:1], 0x4
	s_load_b96 s[20:22], s[0:1], 0x40
	s_load_b128 s[4:7], s[0:1], 0x18
	s_load_b128 s[24:27], s[0:1], 0x30
	;; [unrolled: 1-line block ×3, first 2 shown]
	s_load_b64 s[8:9], s[0:1], 0x68
	s_bfe_u32 s3, ttmp6, 0x4000c
	s_add_nc_u64 s[14:15], s[0:1], 0x78
	s_add_co_i32 s3, s3, 1
	s_wait_xcnt 0x0
	s_and_b32 s0, ttmp6, 15
	s_mul_i32 s1, ttmp9, s3
	v_and_b32_e32 v32, 0x3ff, v0
	s_add_co_i32 s0, s0, s1
	v_bfe_u32 v1, v0, 10, 10
	v_mov_b64_e32 v[50:51], 0
	s_mov_b64 s[84:85], 0xffffffffffffff00
	v_mov_b32_e32 v35, 0
	s_wait_kmcnt 0x0
	s_ashr_i32 s3, s2, 31
	s_ashr_i32 s91, s90, 31
	s_cmp_eq_u32 s10, 0
	v_lshl_add_u32 v6, v1, 6, v32
	s_cselect_b32 s33, ttmp9, s0
	s_or_b32 s0, s12, s13
	s_load_b32 s12, s[14:15], 0x0
	s_bitset0_b32 s0, 31
	s_lshl_b64 s[10:11], s[20:21], 3
	s_lshl_b64 s[6:7], s[6:7], 3
	s_cmp_lg_u32 s0, 0
	v_dual_lshrrev_b32 v7, 5, v6 :: v_dual_bitop2_b32 v34, 31, v0 bitop3:0x40
	s_cselect_b32 s82, -1, 0
	s_cmp_neq_f32 s30, 1.0
	s_add_nc_u64 s[4:5], s[4:5], s[6:7]
	s_add_nc_u64 s[10:11], s[26:27], s[10:11]
	v_mad_u32 v2, s90, v7, v34
	s_cselect_b32 s52, -1, 0
	s_cmp_neq_f32 s31, 0
	v_dual_add_nc_u32 v10, 24, v7 :: v_dual_lshlrev_b32 v11, 2, v7
	v_and_b32_e32 v13, 0x7fe0, v6
	s_cselect_b32 s53, -1, 0
	s_lshl_b32 s48, s33, 6
	s_delay_alu instid0(SALU_CYCLE_1)
	v_dual_lshlrev_b32 v90, 3, v32 :: v_dual_add_nc_u32 v36, s48, v32
	s_lshr_b32 s1, s3, 26
	s_wait_kmcnt 0x0
	s_add_co_i32 s14, s12, -1
	s_add_co_i32 s1, s2, s1
	v_ashrrev_i32_e32 v3, 31, v2
	s_and_not1_b32 s1, s1, 63
	v_mul_lo_u32 v4, s22, v36
	s_sub_co_i32 s1, s2, s1
	s_cmp_eq_u32 s33, s14
	s_mul_i32 s50, s90, s48
	s_cselect_b32 s36, s1, 0
	v_mul_u32_u24_e32 v16, 33, v34
	s_cmp_eq_u32 s36, 0
	s_mov_b32 s13, s35
	s_cselect_b32 s96, -1, 0
	s_cmp_lg_u32 s36, 0
	v_dual_add_nc_u32 v8, 8, v7 :: v_dual_add_nc_u32 v9, 16, v7
	s_cselect_b32 s1, -1, 0
	s_ashr_i32 s49, s48, 31
	v_ashrrev_i32_e32 v5, 31, v4
	s_lshl_b64 s[6:7], s[48:49], 3
	s_ashr_i32 s51, s50, 31
	s_add_nc_u64 s[4:5], s[4:5], s[6:7]
	s_mul_u64 s[30:31], s[12:13], s[2:3]
	v_lshl_add_u64 v[38:39], v[4:5], 3, s[10:11]
	v_lshl_add_u64 v[4:5], v[2:3], 3, s[4:5]
	s_sub_co_i32 s20, s36, 32
	s_mul_i32 s2, s2, s33
	v_cmp_gt_i32_e64 s4, s36, v8
	v_cmp_gt_i32_e64 s18, s20, v8
	v_lshl_add_u64 v[40:41], s[50:51], 3, v[4:5]
	v_lshlrev_b32_e32 v4, 3, v34
	v_mul_lo_u32 v8, v1, s90
	s_ashr_i32 s3, s2, 31
	v_lshlrev_b32_e32 v96, 3, v16
	s_lshl_b64 s[2:3], s[2:3], 3
	v_lshl_or_b32 v12, v34, 8, v4
	v_or_b32_e32 v14, 1, v11
	s_add_nc_u64 s[26:27], s[8:9], s[2:3]
	v_mul_u32_u24_e32 v5, 0x108, v7
	v_cmp_gt_i32_e64 s3, s36, v7
	v_dual_add_nc_u32 v93, v12, v13 :: v_dual_bitop2_b32 v12, 2, v11 bitop3:0x54
	v_cmp_gt_i32_e64 s5, s36, v9
	v_mul_u32_u24_e32 v15, 0x420, v7
	v_cmp_gt_i32_e64 s17, s20, v7
	s_delay_alu instid0(VALU_DEP_4)
	v_add_nc_u32_e32 v94, 8, v93
	v_cmp_ge_u32_e64 s11, v12, v34
	v_cmp_eq_u32_e64 s12, v12, v34
	v_dual_lshlrev_b32 v12, 3, v7 :: v_dual_add_nc_u32 v97, 24, v93
	v_cmp_gt_i32_e64 s19, s20, v9
	v_cmp_eq_u32_e64 s21, 1, v7
	v_mul_i32_i24_e32 v9, 0xffffffe8, v7
	s_delay_alu instid0(VALU_DEP_4)
	v_add_nc_u32_e32 v99, v96, v12
	v_cmp_le_i32_e32 vcc_lo, s36, v32
	v_cmp_ge_u32_e64 s7, v11, v34
	v_cmp_eq_u32_e64 s8, v11, v34
	v_dual_add_nc_u32 v95, 16, v93 :: v_dual_bitop2_b32 v11, 3, v11 bitop3:0x54
	v_mad_u32_u24 v100, v7, 24, v99
	v_lshrrev_b32_e32 v7, 4, v6
	v_lshl_add_u32 v44, v8, 2, v32
	v_and_b32_e32 v8, 15, v0
	v_sub_nc_u64_e32 v[46:47], 0, v[2:3]
	s_delay_alu instid0(VALU_DEP_4)
	v_dual_lshlrev_b32 v2, 5, v7 :: v_dual_bitop2_b32 v0, 48, v0 bitop3:0x40
	v_dual_mov_b32 v33, v35 :: v_dual_add_nc_u32 v98, 0x2380, v13
	s_and_b32 s1, s1, vcc_lo
	s_lshl_b32 s38, s90, 3
	s_lshl_b32 s40, s90, 4
	s_mul_i32 s42, s90, 24
	v_cmp_ge_u32_e64 s9, v14, v34
	v_cmp_eq_u32_e64 s10, v14, v34
	v_mul_u32_u24_e32 v14, 0x108, v14
	v_cmp_ge_u32_e64 s13, v11, v34
	v_cmp_eq_u32_e64 s14, v11, v34
	v_dual_ashrrev_i32 v45, 31, v44 :: v_dual_bitop2_b32 v11, 32, v34 bitop3:0x54
	s_lshl_b32 s44, s90, 5
	s_mul_i32 s48, s22, s48
	v_dual_lshlrev_b32 v0, 3, v0 :: v_dual_add_nc_u32 v109, v4, v5
	v_or_b32_e32 v3, 0x78, v90
	v_mad_u32_u24 v103, 0x218, v8, v2
	v_mul_i32_i24_e32 v2, 0xffffffe8, v7
	s_ashr_i32 s39, s38, 31
	s_ashr_i32 s41, s40, 31
	;; [unrolled: 1-line block ×5, first 2 shown]
	s_xor_b32 s54, s1, -1
	s_ashr_i32 s49, s48, 31
	v_cmp_eq_u32_e64 s0, 0, v1
	v_sub_nc_u64_e32 v[42:43], 0, v[34:35]
	s_cmp_gt_i32 s33, 0
	v_sub_nc_u64_e32 v[48:49], 0, v[32:33]
	v_add_nc_u32_e32 v91, 0x2380, v90
	v_cmp_gt_i32_e64 s2, s36, v34
	v_cmp_gt_i32_e64 s6, s36, v10
	v_mad_u32_u24 v92, 0x108, v34, v4
	v_cmp_gt_u32_e64 s15, 32, v6
	v_cmp_gt_i32_e64 s16, s36, v11
	v_cmp_gt_i32_e64 s20, s20, v10
	s_cselect_b32 s97, -1, 0
	s_lshl_b32 s98, s22, 6
	v_add_nc_u32_e32 v33, 0x2180, v90
	v_lshl_add_u32 v101, v1, 5, 0x2180
	v_mad_u32_u24 v102, 0x860, v1, v90
	v_cmp_gt_u32_e64 s22, 64, v6
	v_mad_u32_u24 v104, 0x218, v8, v0
	v_mad_u32_u24 v105, 0x218, v8, v3
	;; [unrolled: 1-line block ×3, first 2 shown]
	v_dual_ashrrev_i32 v37, 31, v36 :: v_dual_add_nc_u32 v110, v4, v15
	v_add_nc_u32_e32 v107, 0x2380, v12
	v_cndmask_b32_e64 v108, 0, 1, s82
	v_dual_add_nc_u32 v111, v4, v14 :: v_dual_add_nc_u32 v112, v98, v9
	v_add_nc_u32_e32 v113, v103, v2
	v_lshlrev_b32_e32 v34, 3, v34
	s_or_b32 s83, s52, s53
	s_sub_nc_u64 s[46:47], 0, s[44:45]
	s_sub_nc_u64 s[48:49], 0, s[48:49]
	;; [unrolled: 1-line block ×3, first 2 shown]
	s_and_b32 s99, s0, s54
	s_lshl_b64 s[52:53], s[90:91], 6
	s_sub_nc_u64 s[54:55], 0, s[36:37]
	s_lshl_b64 s[56:57], s[90:91], 3
	s_lshl_b64 s[58:59], s[90:91], 9
	;; [unrolled: 1-line block ×3, first 2 shown]
	s_mul_u64 s[62:63], s[90:91], 24
	s_mul_u64 s[64:65], s[90:91], 0x90
	;; [unrolled: 1-line block ×10, first 2 shown]
	s_or_b32 s100, s83, s82
	s_mov_b64 s[82:83], 0xfffffffffffffef8
	s_lshl_b64 s[86:87], s[90:91], 8
	s_mul_u64 s[88:89], s[90:91], 0x88
	s_lshl_b64 s[90:91], s[90:91], 7
	s_branch .LBB14_4
.LBB14_2:                               ;   in Loop: Header=BB14_4 Depth=1
	s_wait_xcnt 0x0
	s_or_b32 exec_lo, exec_lo, s94
.LBB14_3:                               ;   in Loop: Header=BB14_4 Depth=1
	s_add_co_i32 s34, s34, 0x10000
	s_delay_alu instid0(SALU_CYCLE_1)
	s_cmp_lt_u32 s34, s23
	s_cbranch_scc0 .LBB14_112
.LBB14_4:                               ; =>This Loop Header: Depth=1
                                        ;     Child Loop BB14_106 Depth 2
	s_and_not1_b32 vcc_lo, exec_lo, s100
	s_cbranch_vccnz .LBB14_3
; %bb.5:                                ;   in Loop: Header=BB14_4 Depth=1
	v_cmp_ne_u32_e32 vcc_lo, 1, v108
	s_cbranch_vccnz .LBB14_3
; %bb.6:                                ;   in Loop: Header=BB14_4 Depth=1
	s_mul_u64 s[92:93], s[28:29], s[34:35]
	s_delay_alu instid0(SALU_CYCLE_1)
	v_lshl_add_u64 v[16:17], s[92:93], 3, v[38:39]
	s_and_saveexec_b32 s92, s0
	s_cbranch_execz .LBB14_11
; %bb.7:                                ;   in Loop: Header=BB14_4 Depth=1
	s_and_saveexec_b32 s93, s1
	s_delay_alu instid0(SALU_CYCLE_1)
	s_xor_b32 s93, exec_lo, s93
; %bb.8:                                ;   in Loop: Header=BB14_4 Depth=1
	ds_store_b64 v91, v[50:51]
; %bb.9:                                ;   in Loop: Header=BB14_4 Depth=1
	s_and_not1_saveexec_b32 s93, s93
	s_cbranch_execz .LBB14_11
; %bb.10:                               ;   in Loop: Header=BB14_4 Depth=1
	global_load_b64 v[0:1], v[16:17], off
	s_wait_loadcnt 0x0
	ds_store_b64 v91, v[0:1]
.LBB14_11:                              ;   in Loop: Header=BB14_4 Depth=1
	s_wait_xcnt 0x0
	s_or_b32 exec_lo, exec_lo, s92
	s_mul_u64 s[92:93], s[24:25], s[34:35]
	s_and_not1_b32 vcc_lo, exec_lo, s96
	v_lshl_add_u64 v[0:1], s[92:93], 3, v[40:41]
	s_mov_b32 s92, -1
	s_cbranch_vccnz .LBB14_13
; %bb.12:                               ;   in Loop: Header=BB14_4 Depth=1
	s_delay_alu instid0(VALU_DEP_1) | instskip(SKIP_1) | instid1(VALU_DEP_1)
	v_lshl_add_u64 v[2:3], s[38:39], 3, v[0:1]
	s_mov_b32 s92, 0
	v_add_nc_u64_e32 v[4:5], s[52:53], v[2:3]
	s_delay_alu instid0(VALU_DEP_1)
	v_add_nc_u64_e32 v[6:7], s[52:53], v[4:5]
	s_clause 0x3
	global_load_b64 v[8:9], v[0:1], off
	global_load_b64 v[2:3], v[2:3], off
	global_load_b64 v[4:5], v[4:5], off
	global_load_b64 v[6:7], v[6:7], off
	s_wait_loadcnt 0x3
	ds_store_b64 v109, v[8:9]
	s_wait_loadcnt 0x2
	ds_store_b64 v109, v[2:3] offset:2112
	s_wait_loadcnt 0x1
	ds_store_b64 v109, v[4:5] offset:4224
	;; [unrolled: 2-line block ×3, first 2 shown]
.LBB14_13:                              ;   in Loop: Header=BB14_4 Depth=1
	s_and_not1_b32 vcc_lo, exec_lo, s92
	s_cbranch_vccnz .LBB14_23
; %bb.14:                               ;   in Loop: Header=BB14_4 Depth=1
	s_wait_xcnt 0x2
	v_lshl_add_u64 v[2:3], v[42:43], 3, v[0:1]
	s_wait_xcnt 0x0
	v_dual_mov_b32 v6, 0 :: v_dual_mov_b32 v4, 0
	v_mov_b32_e32 v5, 0
	s_delay_alu instid0(VALU_DEP_3) | instskip(NEXT) | instid1(VALU_DEP_1)
	v_lshl_add_u64 v[2:3], s[36:37], 3, v[2:3]
	v_add_nc_u64_e32 v[2:3], -8, v[2:3]
	s_delay_alu instid0(VALU_DEP_1)
	v_dual_cndmask_b32 v3, v3, v1, s2 :: v_dual_cndmask_b32 v2, v2, v0, s2
	s_and_saveexec_b32 s92, s3
	s_cbranch_execz .LBB14_16
; %bb.15:                               ;   in Loop: Header=BB14_4 Depth=1
	global_load_b64 v[4:5], v[2:3], off
.LBB14_16:                              ;   in Loop: Header=BB14_4 Depth=1
	s_wait_xcnt 0x0
	s_or_b32 exec_lo, exec_lo, s92
	v_mov_b32_e32 v7, 0
	s_wait_loadcnt 0x0
	ds_store_b64 v109, v[4:5]
	s_and_saveexec_b32 s92, s4
	s_cbranch_execz .LBB14_18
; %bb.17:                               ;   in Loop: Header=BB14_4 Depth=1
	v_lshl_add_u64 v[4:5], s[38:39], 3, v[2:3]
	global_load_b64 v[6:7], v[4:5], off
.LBB14_18:                              ;   in Loop: Header=BB14_4 Depth=1
	s_wait_xcnt 0x0
	s_or_b32 exec_lo, exec_lo, s92
	v_dual_mov_b32 v4, 0 :: v_dual_mov_b32 v8, 0
	v_mov_b32_e32 v9, 0
	s_wait_loadcnt 0x0
	ds_store_b64 v109, v[6:7] offset:2112
	s_and_saveexec_b32 s92, s5
	s_cbranch_execz .LBB14_20
; %bb.19:                               ;   in Loop: Header=BB14_4 Depth=1
	v_lshl_add_u64 v[6:7], s[40:41], 3, v[2:3]
	global_load_b64 v[8:9], v[6:7], off
.LBB14_20:                              ;   in Loop: Header=BB14_4 Depth=1
	s_wait_xcnt 0x0
	s_or_b32 exec_lo, exec_lo, s92
	v_mov_b32_e32 v5, 0
	s_wait_loadcnt 0x0
	ds_store_b64 v109, v[8:9] offset:4224
	s_and_saveexec_b32 s92, s6
	s_cbranch_execz .LBB14_22
; %bb.21:                               ;   in Loop: Header=BB14_4 Depth=1
	v_lshl_add_u64 v[4:5], s[42:43], 3, v[2:3]
	global_load_b64 v[4:5], v[4:5], off
.LBB14_22:                              ;   in Loop: Header=BB14_4 Depth=1
	s_wait_xcnt 0x0
	s_or_b32 exec_lo, exec_lo, s92
	v_add_nc_u64_e32 v[2:3], v[2:3], v[34:35]
	s_wait_loadcnt 0x0
	ds_store_b64 v109, v[4:5] offset:6336
	v_lshl_add_u64 v[2:3], s[54:55], 3, v[2:3]
	s_delay_alu instid0(VALU_DEP_1) | instskip(NEXT) | instid1(VALU_DEP_1)
	v_add_nc_u64_e32 v[2:3], 8, v[2:3]
	v_dual_cndmask_b32 v1, v3, v1, s2 :: v_dual_cndmask_b32 v0, v2, v0, s2
.LBB14_23:                              ;   in Loop: Header=BB14_4 Depth=1
	s_mov_b32 s92, 0
	s_wait_dscnt 0x0
	s_barrier_signal -1
	s_barrier_wait -1
	s_wait_xcnt 0x0
	s_and_saveexec_b32 s93, s7
	s_delay_alu instid0(SALU_CYCLE_1)
	s_xor_b32 s93, exec_lo, s93
; %bb.24:                               ;   in Loop: Header=BB14_4 Depth=1
	s_and_b32 s92, s8, exec_lo
; %bb.25:                               ;   in Loop: Header=BB14_4 Depth=1
	s_or_saveexec_b32 s93, s93
	v_dual_mov_b32 v2, 0 :: v_dual_mov_b32 v3, v92
	s_xor_b32 exec_lo, exec_lo, s93
	s_cbranch_execz .LBB14_27
; %bb.26:                               ;   in Loop: Header=BB14_4 Depth=1
	ds_load_b64 v[4:5], v110
	v_mov_b32_e32 v3, v93
	s_or_b32 s92, s92, exec_lo
	s_wait_dscnt 0x0
	v_xor_b32_e32 v2, 0x80000000, v5
	ds_store_b32 v93, v4
.LBB14_27:                              ;   in Loop: Header=BB14_4 Depth=1
	s_or_b32 exec_lo, exec_lo, s93
	s_and_saveexec_b32 s93, s92
; %bb.28:                               ;   in Loop: Header=BB14_4 Depth=1
	ds_store_b32 v3, v2 offset:4
; %bb.29:                               ;   in Loop: Header=BB14_4 Depth=1
	s_or_b32 exec_lo, exec_lo, s93
	s_mov_b32 s92, 0
	s_and_saveexec_b32 s93, s9
	s_delay_alu instid0(SALU_CYCLE_1)
	s_xor_b32 s93, exec_lo, s93
; %bb.30:                               ;   in Loop: Header=BB14_4 Depth=1
	s_and_b32 s92, s10, exec_lo
; %bb.31:                               ;   in Loop: Header=BB14_4 Depth=1
	s_or_saveexec_b32 s93, s93
	v_dual_mov_b32 v2, 0 :: v_dual_mov_b32 v3, v92
	s_xor_b32 exec_lo, exec_lo, s93
	s_cbranch_execz .LBB14_33
; %bb.32:                               ;   in Loop: Header=BB14_4 Depth=1
	ds_load_b64 v[4:5], v111
	v_mov_b32_e32 v3, v94
	s_or_b32 s92, s92, exec_lo
	s_wait_dscnt 0x0
	v_xor_b32_e32 v2, 0x80000000, v5
	ds_store_b32 v94, v4
.LBB14_33:                              ;   in Loop: Header=BB14_4 Depth=1
	s_or_b32 exec_lo, exec_lo, s93
	s_and_saveexec_b32 s93, s92
; %bb.34:                               ;   in Loop: Header=BB14_4 Depth=1
	ds_store_b32 v3, v2 offset:4
; %bb.35:                               ;   in Loop: Header=BB14_4 Depth=1
	s_or_b32 exec_lo, exec_lo, s93
	s_mov_b32 s92, 0
	s_and_saveexec_b32 s93, s11
	s_delay_alu instid0(SALU_CYCLE_1)
	s_xor_b32 s93, exec_lo, s93
; %bb.36:                               ;   in Loop: Header=BB14_4 Depth=1
	s_and_b32 s92, s12, exec_lo
; %bb.37:                               ;   in Loop: Header=BB14_4 Depth=1
	s_or_saveexec_b32 s93, s93
	v_dual_mov_b32 v2, 0 :: v_dual_mov_b32 v3, v92
	s_xor_b32 exec_lo, exec_lo, s93
	s_cbranch_execz .LBB14_39
; %bb.38:                               ;   in Loop: Header=BB14_4 Depth=1
	ds_load_b64 v[4:5], v111 offset:264
	v_mov_b32_e32 v3, v95
	s_or_b32 s92, s92, exec_lo
	s_wait_dscnt 0x0
	v_xor_b32_e32 v2, 0x80000000, v5
	ds_store_b32 v95, v4
.LBB14_39:                              ;   in Loop: Header=BB14_4 Depth=1
	s_or_b32 exec_lo, exec_lo, s93
	s_and_saveexec_b32 s93, s92
; %bb.40:                               ;   in Loop: Header=BB14_4 Depth=1
	ds_store_b32 v3, v2 offset:4
; %bb.41:                               ;   in Loop: Header=BB14_4 Depth=1
	s_or_b32 exec_lo, exec_lo, s93
	s_mov_b32 s92, 0
	s_and_saveexec_b32 s93, s13
	s_delay_alu instid0(SALU_CYCLE_1)
	s_xor_b32 s93, exec_lo, s93
; %bb.42:                               ;   in Loop: Header=BB14_4 Depth=1
	s_and_b32 s92, s14, exec_lo
; %bb.43:                               ;   in Loop: Header=BB14_4 Depth=1
	s_or_saveexec_b32 s93, s93
	v_dual_mov_b32 v2, 0 :: v_dual_mov_b32 v3, v92
	s_xor_b32 exec_lo, exec_lo, s93
	s_cbranch_execz .LBB14_45
; %bb.44:                               ;   in Loop: Header=BB14_4 Depth=1
	ds_load_b64 v[4:5], v111 offset:528
	v_mov_b32_e32 v3, v97
	s_or_b32 s92, s92, exec_lo
	s_wait_dscnt 0x0
	v_xor_b32_e32 v2, 0x80000000, v5
	ds_store_b32 v97, v4
.LBB14_45:                              ;   in Loop: Header=BB14_4 Depth=1
	s_or_b32 exec_lo, exec_lo, s93
	s_and_saveexec_b32 s93, s92
; %bb.46:                               ;   in Loop: Header=BB14_4 Depth=1
	ds_store_b32 v3, v2 offset:4
; %bb.47:                               ;   in Loop: Header=BB14_4 Depth=1
	s_or_b32 exec_lo, exec_lo, s93
	s_wait_dscnt 0x0
	s_barrier_signal -1
	s_barrier_wait -1
	ds_load_b64 v[14:15], v110
	ds_load_b128 v[2:5], v98
	ds_load_2addr_b64 v[6:9], v111 offset1:33
	ds_load_b128 v[10:13], v98 offset:16
	ds_load_b64 v[18:19], v111 offset:528
	v_mov_b64_e32 v[52:53], 0
	s_wait_dscnt 0x0
	s_barrier_signal -1
	s_barrier_wait -1
	v_pk_mul_f32 v[20:21], v[2:3], v[14:15] op_sel:[1,1] op_sel_hi:[0,1]
	v_dual_mov_b32 v22, v5 :: v_dual_mov_b32 v23, v4
	v_pk_mul_f32 v[24:25], v[10:11], v[8:9] op_sel:[1,1] op_sel_hi:[0,1]
	v_dual_mov_b32 v28, v13 :: v_dual_mov_b32 v29, v12
	s_delay_alu instid0(VALU_DEP_4) | instskip(NEXT) | instid1(VALU_DEP_4)
	v_pk_fma_f32 v[26:27], v[2:3], v[14:15], v[20:21] op_sel_hi:[1,0,1]
	v_pk_mul_f32 v[22:23], v[22:23], v[6:7] op_sel:[0,1]
	v_pk_fma_f32 v[2:3], v[2:3], v[14:15], v[20:21] neg_lo:[0,0,1] neg_hi:[0,0,1]
	v_pk_fma_f32 v[20:21], v[10:11], v[8:9], v[24:25] op_sel_hi:[1,0,1]
	s_delay_alu instid0(VALU_DEP_3)
	v_pk_fma_f32 v[14:15], v[4:5], v[6:7], v[22:23] op_sel_hi:[1,0,1]
	v_mov_b32_e32 v3, v27
	v_pk_fma_f32 v[4:5], v[4:5], v[6:7], v[22:23] neg_lo:[0,0,1] neg_hi:[0,0,1]
	v_pk_mul_f32 v[26:27], v[28:29], v[18:19] op_sel:[0,1]
	v_pk_fma_f32 v[6:7], v[10:11], v[8:9], v[24:25] neg_lo:[0,0,1] neg_hi:[0,0,1]
	v_mov_b32_e32 v5, v15
	v_pk_add_f32 v[2:3], v[2:3], 0 op_sel_hi:[1,0]
	s_delay_alu instid0(VALU_DEP_4) | instskip(SKIP_1) | instid1(VALU_DEP_3)
	v_pk_fma_f32 v[8:9], v[12:13], v[18:19], v[26:27] op_sel_hi:[1,0,1]
	v_mov_b32_e32 v7, v21
	v_pk_add_f32 v[2:3], v[2:3], v[4:5]
	v_pk_fma_f32 v[4:5], v[12:13], v[18:19], v[26:27] neg_lo:[0,0,1] neg_hi:[0,0,1]
	s_delay_alu instid0(VALU_DEP_4) | instskip(NEXT) | instid1(VALU_DEP_3)
	v_mov_b32_e32 v5, v9
	v_pk_add_f32 v[2:3], v[2:3], v[6:7]
	s_delay_alu instid0(VALU_DEP_1)
	v_pk_add_f32 v[2:3], v[2:3], v[4:5]
	ds_store_b64 v99, v[2:3]
	s_wait_dscnt 0x0
	s_barrier_signal -1
	s_barrier_wait -1
	s_and_saveexec_b32 s92, s15
	s_cbranch_execz .LBB14_49
; %bb.48:                               ;   in Loop: Header=BB14_4 Depth=1
	ds_load_2addr_b64 v[2:5], v96 offset1:7
	ds_load_2addr_b64 v[6:9], v96 offset0:1 offset1:2
	ds_load_2addr_b64 v[10:13], v96 offset0:3 offset1:4
	;; [unrolled: 1-line block ×3, first 2 shown]
	s_wait_dscnt 0x2
	v_dual_add_f32 v2, v6, v2 :: v_dual_add_f32 v3, v7, v3
	s_delay_alu instid0(VALU_DEP_1) | instskip(SKIP_1) | instid1(VALU_DEP_1)
	v_dual_add_f32 v2, v8, v2 :: v_dual_add_f32 v3, v9, v3
	s_wait_dscnt 0x1
	v_dual_add_f32 v2, v2, v10 :: v_dual_add_f32 v3, v3, v11
	s_delay_alu instid0(VALU_DEP_1) | instskip(SKIP_1) | instid1(VALU_DEP_1)
	v_dual_add_f32 v2, v2, v12 :: v_dual_add_f32 v3, v3, v13
	s_wait_dscnt 0x0
	v_dual_add_f32 v2, v2, v18 :: v_dual_add_f32 v3, v3, v19
	s_delay_alu instid0(VALU_DEP_1) | instskip(NEXT) | instid1(VALU_DEP_1)
	v_dual_add_f32 v2, v2, v20 :: v_dual_add_f32 v3, v3, v21
	v_pk_add_f32 v[52:53], v[2:3], v[4:5]
.LBB14_49:                              ;   in Loop: Header=BB14_4 Depth=1
	s_or_b32 exec_lo, exec_lo, s92
	v_lshl_add_u64 v[2:3], s[44:45], 3, v[0:1]
	s_and_not1_b32 vcc_lo, exec_lo, s96
	s_mov_b32 s92, -1
	s_barrier_signal -1
	s_barrier_wait -1
	s_cbranch_vccnz .LBB14_51
; %bb.50:                               ;   in Loop: Header=BB14_4 Depth=1
	v_lshl_add_u64 v[0:1], s[38:39], 3, v[2:3]
	s_mov_b32 s92, 0
	s_delay_alu instid0(VALU_DEP_1) | instskip(NEXT) | instid1(VALU_DEP_1)
	v_add_nc_u64_e32 v[4:5], s[52:53], v[0:1]
	v_add_nc_u64_e32 v[6:7], s[52:53], v[4:5]
	s_clause 0x3
	global_load_b64 v[8:9], v[2:3], off offset:256
	global_load_b64 v[0:1], v[0:1], off offset:256
	;; [unrolled: 1-line block ×4, first 2 shown]
	s_wait_loadcnt 0x3
	ds_store_b64 v109, v[8:9]
	s_wait_loadcnt 0x2
	ds_store_b64 v109, v[0:1] offset:2112
	s_wait_loadcnt 0x1
	ds_store_b64 v109, v[4:5] offset:4224
	s_wait_loadcnt 0x0
	ds_store_b64 v109, v[6:7] offset:6336
.LBB14_51:                              ;   in Loop: Header=BB14_4 Depth=1
	s_wait_xcnt 0x2
	v_add_nc_u64_e32 v[0:1], 0x100, v[2:3]
	s_and_not1_b32 vcc_lo, exec_lo, s92
	s_cbranch_vccnz .LBB14_61
; %bb.52:                               ;   in Loop: Header=BB14_4 Depth=1
	v_lshl_add_u64 v[2:3], v[42:43], 3, v[2:3]
	s_wait_xcnt 0x0
	v_dual_mov_b32 v6, 0 :: v_dual_mov_b32 v4, 0
	v_mov_b32_e32 v5, 0
	s_delay_alu instid0(VALU_DEP_3) | instskip(NEXT) | instid1(VALU_DEP_1)
	v_lshl_add_u64 v[2:3], s[36:37], 3, v[2:3]
	v_add_nc_u64_e32 v[2:3], -8, v[2:3]
	s_delay_alu instid0(VALU_DEP_1)
	v_dual_cndmask_b32 v3, v3, v1, s16 :: v_dual_cndmask_b32 v2, v2, v0, s16
	s_and_saveexec_b32 s92, s17
	s_cbranch_execz .LBB14_54
; %bb.53:                               ;   in Loop: Header=BB14_4 Depth=1
	global_load_b64 v[4:5], v[2:3], off
.LBB14_54:                              ;   in Loop: Header=BB14_4 Depth=1
	s_wait_xcnt 0x0
	s_or_b32 exec_lo, exec_lo, s92
	v_mov_b32_e32 v7, 0
	s_wait_loadcnt 0x0
	ds_store_b64 v109, v[4:5]
	s_and_saveexec_b32 s92, s18
	s_cbranch_execz .LBB14_56
; %bb.55:                               ;   in Loop: Header=BB14_4 Depth=1
	v_lshl_add_u64 v[4:5], s[38:39], 3, v[2:3]
	global_load_b64 v[6:7], v[4:5], off
.LBB14_56:                              ;   in Loop: Header=BB14_4 Depth=1
	s_wait_xcnt 0x0
	s_or_b32 exec_lo, exec_lo, s92
	v_dual_mov_b32 v4, 0 :: v_dual_mov_b32 v8, 0
	v_mov_b32_e32 v9, 0
	s_wait_loadcnt 0x0
	ds_store_b64 v109, v[6:7] offset:2112
	s_and_saveexec_b32 s92, s19
	s_cbranch_execz .LBB14_58
; %bb.57:                               ;   in Loop: Header=BB14_4 Depth=1
	v_lshl_add_u64 v[6:7], s[40:41], 3, v[2:3]
	global_load_b64 v[8:9], v[6:7], off
.LBB14_58:                              ;   in Loop: Header=BB14_4 Depth=1
	s_wait_xcnt 0x0
	s_or_b32 exec_lo, exec_lo, s92
	v_mov_b32_e32 v5, 0
	s_wait_loadcnt 0x0
	ds_store_b64 v109, v[8:9] offset:4224
	s_and_saveexec_b32 s92, s20
	s_cbranch_execz .LBB14_60
; %bb.59:                               ;   in Loop: Header=BB14_4 Depth=1
	v_lshl_add_u64 v[4:5], s[42:43], 3, v[2:3]
	global_load_b64 v[4:5], v[4:5], off
.LBB14_60:                              ;   in Loop: Header=BB14_4 Depth=1
	s_wait_xcnt 0x0
	s_or_b32 exec_lo, exec_lo, s92
	v_add_nc_u64_e32 v[2:3], v[2:3], v[34:35]
	s_wait_loadcnt 0x0
	ds_store_b64 v109, v[4:5] offset:6336
	v_lshl_add_u64 v[2:3], s[54:55], 3, v[2:3]
	s_delay_alu instid0(VALU_DEP_1) | instskip(NEXT) | instid1(VALU_DEP_1)
	v_add_nc_u64_e32 v[2:3], 0x108, v[2:3]
	v_dual_cndmask_b32 v1, v3, v1, s16 :: v_dual_cndmask_b32 v0, v2, v0, s16
.LBB14_61:                              ;   in Loop: Header=BB14_4 Depth=1
	s_mov_b32 s92, 0
	s_wait_dscnt 0x0
	s_barrier_signal -1
	s_barrier_wait -1
	s_wait_xcnt 0x0
	s_and_saveexec_b32 s93, s7
	s_delay_alu instid0(SALU_CYCLE_1)
	s_xor_b32 s93, exec_lo, s93
; %bb.62:                               ;   in Loop: Header=BB14_4 Depth=1
	s_and_b32 s92, s8, exec_lo
; %bb.63:                               ;   in Loop: Header=BB14_4 Depth=1
	s_or_saveexec_b32 s93, s93
	v_dual_mov_b32 v2, 0 :: v_dual_mov_b32 v3, v92
	s_xor_b32 exec_lo, exec_lo, s93
	s_cbranch_execz .LBB14_65
; %bb.64:                               ;   in Loop: Header=BB14_4 Depth=1
	ds_load_b64 v[4:5], v110
	v_mov_b32_e32 v3, v93
	s_or_b32 s92, s92, exec_lo
	s_wait_dscnt 0x0
	v_xor_b32_e32 v2, 0x80000000, v5
	ds_store_b32 v93, v4
.LBB14_65:                              ;   in Loop: Header=BB14_4 Depth=1
	s_or_b32 exec_lo, exec_lo, s93
	s_and_saveexec_b32 s93, s92
; %bb.66:                               ;   in Loop: Header=BB14_4 Depth=1
	ds_store_b32 v3, v2 offset:4
; %bb.67:                               ;   in Loop: Header=BB14_4 Depth=1
	s_or_b32 exec_lo, exec_lo, s93
	s_mov_b32 s92, 0
	s_and_saveexec_b32 s93, s9
	s_delay_alu instid0(SALU_CYCLE_1)
	s_xor_b32 s93, exec_lo, s93
; %bb.68:                               ;   in Loop: Header=BB14_4 Depth=1
	s_and_b32 s92, s10, exec_lo
; %bb.69:                               ;   in Loop: Header=BB14_4 Depth=1
	s_or_saveexec_b32 s93, s93
	v_dual_mov_b32 v2, 0 :: v_dual_mov_b32 v3, v92
	s_xor_b32 exec_lo, exec_lo, s93
	s_cbranch_execz .LBB14_71
; %bb.70:                               ;   in Loop: Header=BB14_4 Depth=1
	ds_load_b64 v[4:5], v111
	v_mov_b32_e32 v3, v94
	s_or_b32 s92, s92, exec_lo
	s_wait_dscnt 0x0
	v_xor_b32_e32 v2, 0x80000000, v5
	ds_store_b32 v94, v4
.LBB14_71:                              ;   in Loop: Header=BB14_4 Depth=1
	s_or_b32 exec_lo, exec_lo, s93
	s_and_saveexec_b32 s93, s92
; %bb.72:                               ;   in Loop: Header=BB14_4 Depth=1
	ds_store_b32 v3, v2 offset:4
; %bb.73:                               ;   in Loop: Header=BB14_4 Depth=1
	s_or_b32 exec_lo, exec_lo, s93
	s_mov_b32 s92, 0
	s_and_saveexec_b32 s93, s11
	s_delay_alu instid0(SALU_CYCLE_1)
	s_xor_b32 s93, exec_lo, s93
; %bb.74:                               ;   in Loop: Header=BB14_4 Depth=1
	s_and_b32 s92, s12, exec_lo
; %bb.75:                               ;   in Loop: Header=BB14_4 Depth=1
	s_or_saveexec_b32 s93, s93
	v_dual_mov_b32 v2, 0 :: v_dual_mov_b32 v3, v92
	s_xor_b32 exec_lo, exec_lo, s93
	s_cbranch_execz .LBB14_77
; %bb.76:                               ;   in Loop: Header=BB14_4 Depth=1
	ds_load_b64 v[4:5], v111 offset:264
	v_mov_b32_e32 v3, v95
	s_or_b32 s92, s92, exec_lo
	s_wait_dscnt 0x0
	v_xor_b32_e32 v2, 0x80000000, v5
	ds_store_b32 v95, v4
.LBB14_77:                              ;   in Loop: Header=BB14_4 Depth=1
	s_or_b32 exec_lo, exec_lo, s93
	s_and_saveexec_b32 s93, s92
; %bb.78:                               ;   in Loop: Header=BB14_4 Depth=1
	ds_store_b32 v3, v2 offset:4
; %bb.79:                               ;   in Loop: Header=BB14_4 Depth=1
	s_or_b32 exec_lo, exec_lo, s93
	s_mov_b32 s92, 0
	s_and_saveexec_b32 s93, s13
	s_delay_alu instid0(SALU_CYCLE_1)
	s_xor_b32 s93, exec_lo, s93
; %bb.80:                               ;   in Loop: Header=BB14_4 Depth=1
	s_and_b32 s92, s14, exec_lo
; %bb.81:                               ;   in Loop: Header=BB14_4 Depth=1
	s_or_saveexec_b32 s93, s93
	v_dual_mov_b32 v2, 0 :: v_dual_mov_b32 v3, v92
	s_xor_b32 exec_lo, exec_lo, s93
	s_cbranch_execz .LBB14_83
; %bb.82:                               ;   in Loop: Header=BB14_4 Depth=1
	ds_load_b64 v[4:5], v111 offset:528
	v_mov_b32_e32 v3, v97
	s_or_b32 s92, s92, exec_lo
	s_wait_dscnt 0x0
	v_xor_b32_e32 v2, 0x80000000, v5
	ds_store_b32 v97, v4
.LBB14_83:                              ;   in Loop: Header=BB14_4 Depth=1
	s_or_b32 exec_lo, exec_lo, s93
	s_and_saveexec_b32 s93, s92
; %bb.84:                               ;   in Loop: Header=BB14_4 Depth=1
	ds_store_b32 v3, v2 offset:4
; %bb.85:                               ;   in Loop: Header=BB14_4 Depth=1
	s_or_b32 exec_lo, exec_lo, s93
	s_wait_dscnt 0x0
	s_barrier_signal -1
	s_barrier_wait -1
	ds_load_b64 v[14:15], v110
	ds_load_b128 v[2:5], v98 offset:256
	ds_load_2addr_b64 v[6:9], v111 offset1:33
	ds_load_b128 v[10:13], v98 offset:272
	ds_load_b64 v[18:19], v111 offset:528
	s_wait_dscnt 0x0
	s_barrier_signal -1
	s_barrier_wait -1
	v_pk_mul_f32 v[20:21], v[2:3], v[14:15] op_sel:[1,1] op_sel_hi:[0,1]
	v_dual_mov_b32 v22, v5 :: v_dual_mov_b32 v23, v4
	v_pk_mul_f32 v[24:25], v[10:11], v[8:9] op_sel:[1,1] op_sel_hi:[0,1]
	v_dual_mov_b32 v28, v13 :: v_dual_mov_b32 v29, v12
	s_delay_alu instid0(VALU_DEP_4) | instskip(NEXT) | instid1(VALU_DEP_4)
	v_pk_fma_f32 v[26:27], v[2:3], v[14:15], v[20:21] op_sel_hi:[1,0,1]
	v_pk_mul_f32 v[22:23], v[22:23], v[6:7] op_sel:[0,1]
	v_pk_fma_f32 v[2:3], v[2:3], v[14:15], v[20:21] neg_lo:[0,0,1] neg_hi:[0,0,1]
	v_pk_fma_f32 v[20:21], v[10:11], v[8:9], v[24:25] op_sel_hi:[1,0,1]
	s_delay_alu instid0(VALU_DEP_3)
	v_pk_fma_f32 v[14:15], v[4:5], v[6:7], v[22:23] op_sel_hi:[1,0,1]
	v_mov_b32_e32 v3, v27
	v_pk_fma_f32 v[4:5], v[4:5], v[6:7], v[22:23] neg_lo:[0,0,1] neg_hi:[0,0,1]
	v_pk_mul_f32 v[26:27], v[28:29], v[18:19] op_sel:[0,1]
	v_pk_fma_f32 v[6:7], v[10:11], v[8:9], v[24:25] neg_lo:[0,0,1] neg_hi:[0,0,1]
	v_mov_b32_e32 v5, v15
	v_pk_add_f32 v[2:3], v[2:3], 0 op_sel_hi:[1,0]
	s_delay_alu instid0(VALU_DEP_4) | instskip(SKIP_1) | instid1(VALU_DEP_3)
	v_pk_fma_f32 v[8:9], v[12:13], v[18:19], v[26:27] op_sel_hi:[1,0,1]
	v_mov_b32_e32 v7, v21
	v_pk_add_f32 v[2:3], v[2:3], v[4:5]
	v_pk_fma_f32 v[4:5], v[12:13], v[18:19], v[26:27] neg_lo:[0,0,1] neg_hi:[0,0,1]
	s_delay_alu instid0(VALU_DEP_4) | instskip(NEXT) | instid1(VALU_DEP_3)
	v_mov_b32_e32 v5, v9
	v_pk_add_f32 v[2:3], v[2:3], v[6:7]
	s_delay_alu instid0(VALU_DEP_1)
	v_pk_add_f32 v[2:3], v[2:3], v[4:5]
	ds_store_b64 v99, v[2:3]
	s_wait_dscnt 0x0
	s_barrier_signal -1
	s_barrier_wait -1
	s_and_saveexec_b32 s92, s21
	s_cbranch_execz .LBB14_87
; %bb.86:                               ;   in Loop: Header=BB14_4 Depth=1
	ds_load_2addr_b64 v[2:5], v96 offset1:7
	ds_load_2addr_b64 v[6:9], v96 offset0:1 offset1:2
	ds_load_2addr_b64 v[10:13], v96 offset0:3 offset1:4
	;; [unrolled: 1-line block ×3, first 2 shown]
	s_wait_dscnt 0x2
	v_dual_add_f32 v2, v6, v2 :: v_dual_add_f32 v3, v7, v3
	s_delay_alu instid0(VALU_DEP_1) | instskip(SKIP_1) | instid1(VALU_DEP_1)
	v_dual_add_f32 v2, v8, v2 :: v_dual_add_f32 v3, v9, v3
	s_wait_dscnt 0x1
	v_dual_add_f32 v2, v2, v10 :: v_dual_add_f32 v3, v3, v11
	s_delay_alu instid0(VALU_DEP_1) | instskip(SKIP_1) | instid1(VALU_DEP_1)
	v_dual_add_f32 v2, v2, v12 :: v_dual_add_f32 v3, v3, v13
	s_wait_dscnt 0x0
	v_dual_add_f32 v2, v2, v18 :: v_dual_add_f32 v3, v3, v19
	s_delay_alu instid0(VALU_DEP_1) | instskip(NEXT) | instid1(VALU_DEP_1)
	v_pk_add_f32 v[2:3], v[2:3], v[20:21]
	v_pk_add_f32 v[52:53], v[2:3], v[4:5]
.LBB14_87:                              ;   in Loop: Header=BB14_4 Depth=1
	s_or_b32 exec_lo, exec_lo, s92
	v_lshl_add_u64 v[18:19], s[46:47], 3, v[0:1]
	s_and_not1_b32 vcc_lo, exec_lo, s96
	s_mov_b32 s92, -1
	s_barrier_signal -1
	s_barrier_wait -1
	s_cbranch_vccnz .LBB14_89
; %bb.88:                               ;   in Loop: Header=BB14_4 Depth=1
	v_lshl_add_u64 v[0:1], s[38:39], 3, v[18:19]
	s_mov_b32 s92, 0
	s_delay_alu instid0(VALU_DEP_1) | instskip(NEXT) | instid1(VALU_DEP_1)
	v_add_nc_u64_e32 v[2:3], s[52:53], v[0:1]
	v_add_nc_u64_e32 v[4:5], s[52:53], v[2:3]
	s_clause 0x3
	global_load_b64 v[6:7], v[18:19], off
	global_load_b64 v[0:1], v[0:1], off
	;; [unrolled: 1-line block ×4, first 2 shown]
	s_wait_loadcnt 0x3
	ds_store_b64 v109, v[6:7]
	s_wait_loadcnt 0x2
	ds_store_b64 v109, v[0:1] offset:2112
	s_wait_loadcnt 0x1
	ds_store_b64 v109, v[2:3] offset:4224
	;; [unrolled: 2-line block ×3, first 2 shown]
.LBB14_89:                              ;   in Loop: Header=BB14_4 Depth=1
	s_and_not1_b32 vcc_lo, exec_lo, s92
	s_cbranch_vccnz .LBB14_99
; %bb.90:                               ;   in Loop: Header=BB14_4 Depth=1
	s_wait_xcnt 0x2
	v_lshl_add_u64 v[0:1], v[42:43], 3, v[18:19]
	s_wait_xcnt 0x0
	v_dual_mov_b32 v4, 0 :: v_dual_mov_b32 v2, 0
	v_mov_b32_e32 v3, 0
	s_delay_alu instid0(VALU_DEP_3) | instskip(NEXT) | instid1(VALU_DEP_1)
	v_lshl_add_u64 v[0:1], s[36:37], 3, v[0:1]
	v_add_nc_u64_e32 v[0:1], s[82:83], v[0:1]
	s_delay_alu instid0(VALU_DEP_1)
	v_dual_cndmask_b32 v1, v1, v19, s16 :: v_dual_cndmask_b32 v0, v0, v18, s16
	s_and_saveexec_b32 s92, s3
	s_cbranch_execz .LBB14_92
; %bb.91:                               ;   in Loop: Header=BB14_4 Depth=1
	global_load_b64 v[2:3], v[0:1], off
.LBB14_92:                              ;   in Loop: Header=BB14_4 Depth=1
	s_wait_xcnt 0x0
	s_or_b32 exec_lo, exec_lo, s92
	v_mov_b32_e32 v5, 0
	s_wait_loadcnt 0x0
	ds_store_b64 v109, v[2:3]
	s_and_saveexec_b32 s92, s4
	s_cbranch_execz .LBB14_94
; %bb.93:                               ;   in Loop: Header=BB14_4 Depth=1
	v_lshl_add_u64 v[2:3], s[38:39], 3, v[0:1]
	global_load_b64 v[4:5], v[2:3], off
.LBB14_94:                              ;   in Loop: Header=BB14_4 Depth=1
	s_wait_xcnt 0x0
	s_or_b32 exec_lo, exec_lo, s92
	v_dual_mov_b32 v2, 0 :: v_dual_mov_b32 v6, 0
	v_mov_b32_e32 v7, 0
	s_wait_loadcnt 0x0
	ds_store_b64 v109, v[4:5] offset:2112
	s_and_saveexec_b32 s92, s5
	s_cbranch_execz .LBB14_96
; %bb.95:                               ;   in Loop: Header=BB14_4 Depth=1
	v_lshl_add_u64 v[4:5], s[40:41], 3, v[0:1]
	global_load_b64 v[6:7], v[4:5], off
.LBB14_96:                              ;   in Loop: Header=BB14_4 Depth=1
	s_wait_xcnt 0x0
	s_or_b32 exec_lo, exec_lo, s92
	v_mov_b32_e32 v3, 0
	s_wait_loadcnt 0x0
	ds_store_b64 v109, v[6:7] offset:4224
	s_and_saveexec_b32 s92, s6
	s_cbranch_execz .LBB14_98
; %bb.97:                               ;   in Loop: Header=BB14_4 Depth=1
	v_lshl_add_u64 v[2:3], s[42:43], 3, v[0:1]
	global_load_b64 v[2:3], v[2:3], off
.LBB14_98:                              ;   in Loop: Header=BB14_4 Depth=1
	s_wait_xcnt 0x0
	s_or_b32 exec_lo, exec_lo, s92
	v_add_nc_u64_e32 v[0:1], v[0:1], v[34:35]
	s_wait_loadcnt 0x0
	ds_store_b64 v109, v[2:3] offset:6336
	v_lshl_add_u64 v[0:1], s[54:55], 3, v[0:1]
	s_delay_alu instid0(VALU_DEP_1) | instskip(NEXT) | instid1(VALU_DEP_1)
	v_add_nc_u64_e32 v[0:1], 0x108, v[0:1]
	v_dual_cndmask_b32 v19, v1, v19, s16 :: v_dual_cndmask_b32 v18, v0, v18, s16
.LBB14_99:                              ;   in Loop: Header=BB14_4 Depth=1
	s_wait_dscnt 0x0
	s_barrier_signal -1
	s_barrier_wait -1
	ds_load_b64 v[8:9], v109
	ds_load_b64 v[10:11], v112
	ds_load_2addr_b64 v[20:23], v107 offset0:8 offset1:16
	ds_load_b64 v[12:13], v109 offset:2112
	ds_load_b64 v[24:25], v109 offset:4224
	;; [unrolled: 1-line block ×4, first 2 shown]
	s_wait_xcnt 0x0
	ds_load_2addr_b64 v[4:7], v100 offset1:1
	ds_load_2addr_b64 v[0:3], v100 offset0:2 offset1:3
	s_wait_dscnt 0x7
	v_pk_mul_f32 v[14:15], v[10:11], v[8:9] op_sel:[1,1] op_sel_hi:[0,1]
	s_wait_dscnt 0x5
	v_pk_mul_f32 v[30:31], v[20:21], v[12:13] op_sel:[1,1] op_sel_hi:[0,1]
	;; [unrolled: 2-line block ×3, first 2 shown]
	v_pk_fma_f32 v[54:55], v[10:11], v[8:9], v[14:15] op_sel_hi:[1,0,1]
	v_pk_fma_f32 v[8:9], v[10:11], v[8:9], v[14:15] neg_lo:[0,0,1] neg_hi:[0,0,1]
	v_pk_fma_f32 v[10:11], v[20:21], v[12:13], v[30:31] op_sel_hi:[1,0,1]
	v_pk_fma_f32 v[20:21], v[20:21], v[12:13], v[30:31] neg_lo:[0,0,1] neg_hi:[0,0,1]
	v_pk_fma_f32 v[30:31], v[22:23], v[24:25], v[56:57] op_sel_hi:[1,0,1]
	v_mov_b32_e32 v9, v55
	s_wait_dscnt 0x2
	v_pk_mul_f32 v[54:55], v[28:29], v[26:27] op_sel:[1,1] op_sel_hi:[0,1]
	v_mov_b32_e32 v21, v11
	v_pk_fma_f32 v[22:23], v[22:23], v[24:25], v[56:57] neg_lo:[0,0,1] neg_hi:[0,0,1]
	v_pk_add_f32 v[58:59], v[8:9], 0 op_sel_hi:[1,0]
	ds_load_b128 v[12:15], v98 offset:256
	ds_load_b128 v[8:11], v98 offset:272
	v_pk_fma_f32 v[24:25], v[28:29], v[26:27], v[54:55] op_sel_hi:[1,0,1]
	v_mov_b32_e32 v23, v31
	v_pk_fma_f32 v[26:27], v[28:29], v[26:27], v[54:55] neg_lo:[0,0,1] neg_hi:[0,0,1]
	v_pk_add_f32 v[20:21], v[58:59], v[20:21]
	s_wait_dscnt 0x0
	v_mov_b32_e32 v27, v25
	s_barrier_signal -1
	s_barrier_wait -1
	v_pk_add_f32 v[20:21], v[20:21], v[22:23]
	s_delay_alu instid0(VALU_DEP_1)
	v_pk_add_f32 v[20:21], v[20:21], v[26:27]
	ds_store_b64 v99, v[20:21]
	s_wait_dscnt 0x0
	s_barrier_signal -1
	s_barrier_wait -1
	s_and_saveexec_b32 s92, s21
	s_cbranch_execz .LBB14_101
; %bb.100:                              ;   in Loop: Header=BB14_4 Depth=1
	ds_load_2addr_b64 v[20:23], v96 offset1:1
	ds_load_2addr_b64 v[24:27], v96 offset0:2 offset1:3
	ds_load_2addr_b64 v[28:31], v96 offset0:4 offset1:5
	s_wait_dscnt 0x2
	v_pk_add_f32 v[20:21], v[52:53], v[20:21]
	s_delay_alu instid0(VALU_DEP_1) | instskip(SKIP_1) | instid1(VALU_DEP_1)
	v_pk_add_f32 v[20:21], v[20:21], v[22:23]
	s_wait_dscnt 0x1
	v_pk_add_f32 v[24:25], v[20:21], v[24:25]
	ds_load_2addr_b64 v[20:23], v96 offset0:6 offset1:7
	v_pk_add_f32 v[24:25], v[24:25], v[26:27]
	s_wait_dscnt 0x1
	s_delay_alu instid0(VALU_DEP_1) | instskip(NEXT) | instid1(VALU_DEP_1)
	v_pk_add_f32 v[24:25], v[24:25], v[28:29]
	v_pk_add_f32 v[24:25], v[24:25], v[30:31]
	s_wait_dscnt 0x0
	s_delay_alu instid0(VALU_DEP_1) | instskip(NEXT) | instid1(VALU_DEP_1)
	v_pk_add_f32 v[20:21], v[24:25], v[20:21]
	v_pk_add_f32 v[52:53], v[20:21], v[22:23]
.LBB14_101:                             ;   in Loop: Header=BB14_4 Depth=1
	s_or_b32 exec_lo, exec_lo, s92
	v_pk_mul_f32 v[20:21], v[4:5], v[12:13] op_sel:[1,1] op_sel_hi:[1,0]
	v_dual_mov_b32 v22, v7 :: v_dual_mov_b32 v24, v15
	v_mov_b32_e32 v25, v14
	v_pk_mul_f32 v[26:27], v[0:1], v[8:9] op_sel:[1,1] op_sel_hi:[1,0]
	s_delay_alu instid0(VALU_DEP_4) | instskip(SKIP_3) | instid1(VALU_DEP_4)
	v_pk_fma_f32 v[28:29], v[4:5], v[12:13], v[20:21] op_sel_hi:[0,1,1] neg_lo:[0,0,1] neg_hi:[0,0,1]
	v_mov_b32_e32 v28, v3
	v_pk_fma_f32 v[4:5], v[4:5], v[12:13], v[20:21]
	v_pk_mul_f32 v[22:23], v[22:23], v[24:25] op_sel_hi:[0,1]
	v_dual_mov_b32 v24, v11 :: v_dual_mov_b32 v5, v29
	v_pk_fma_f32 v[20:21], v[0:1], v[8:9], v[26:27] op_sel_hi:[0,1,1] neg_lo:[0,0,1] neg_hi:[0,0,1]
	v_pk_fma_f32 v[0:1], v[0:1], v[8:9], v[26:27]
	s_delay_alu instid0(VALU_DEP_4) | instskip(SKIP_3) | instid1(VALU_DEP_4)
	v_pk_fma_f32 v[12:13], v[6:7], v[14:15], v[22:23] op_sel_hi:[0,1,1] neg_lo:[0,0,1] neg_hi:[0,0,1]
	v_mov_b32_e32 v25, v10
	v_pk_fma_f32 v[6:7], v[6:7], v[14:15], v[22:23]
	v_pk_add_f32 v[4:5], v[4:5], 0 op_sel_hi:[1,0]
	v_mov_b32_e32 v7, v13
	s_delay_alu instid0(VALU_DEP_4) | instskip(SKIP_2) | instid1(VALU_DEP_2)
	v_pk_mul_f32 v[14:15], v[28:29], v[24:25] op_sel_hi:[0,1]
	s_barrier_signal -1
	s_barrier_wait -1
	v_pk_add_f32 v[4:5], v[4:5], v[6:7]
	s_delay_alu instid0(VALU_DEP_2) | instskip(SKIP_2) | instid1(VALU_DEP_3)
	v_pk_fma_f32 v[8:9], v[2:3], v[10:11], v[14:15] op_sel_hi:[0,1,1] neg_lo:[0,0,1] neg_hi:[0,0,1]
	v_mov_b32_e32 v1, v21
	v_pk_fma_f32 v[2:3], v[2:3], v[10:11], v[14:15]
	v_mov_b32_e32 v3, v9
	s_delay_alu instid0(VALU_DEP_3) | instskip(NEXT) | instid1(VALU_DEP_1)
	v_pk_add_f32 v[0:1], v[4:5], v[0:1]
	v_pk_add_f32 v[0:1], v[0:1], v[2:3]
	ds_store_b64 v99, v[0:1]
	s_wait_dscnt 0x0
	s_barrier_signal -1
	s_barrier_wait -1
	s_and_saveexec_b32 s92, s15
	s_cbranch_execz .LBB14_103
; %bb.102:                              ;   in Loop: Header=BB14_4 Depth=1
	ds_load_2addr_b64 v[0:3], v96 offset1:1
	ds_load_2addr_b64 v[4:7], v96 offset0:2 offset1:3
	ds_load_2addr_b64 v[8:11], v96 offset0:4 offset1:5
	s_wait_dscnt 0x2
	v_pk_add_f32 v[0:1], v[52:53], v[0:1]
	s_delay_alu instid0(VALU_DEP_1) | instskip(SKIP_1) | instid1(VALU_DEP_1)
	v_pk_add_f32 v[0:1], v[0:1], v[2:3]
	s_wait_dscnt 0x1
	v_pk_add_f32 v[4:5], v[0:1], v[4:5]
	ds_load_2addr_b64 v[0:3], v96 offset0:6 offset1:7
	v_pk_add_f32 v[4:5], v[4:5], v[6:7]
	s_wait_dscnt 0x1
	s_delay_alu instid0(VALU_DEP_1) | instskip(NEXT) | instid1(VALU_DEP_1)
	v_pk_add_f32 v[4:5], v[4:5], v[8:9]
	v_pk_add_f32 v[4:5], v[4:5], v[10:11]
	s_wait_dscnt 0x0
	s_delay_alu instid0(VALU_DEP_1) | instskip(NEXT) | instid1(VALU_DEP_1)
	v_pk_add_f32 v[0:1], v[4:5], v[0:1]
	v_pk_add_f32 v[52:53], v[0:1], v[2:3]
.LBB14_103:                             ;   in Loop: Header=BB14_4 Depth=1
	s_or_b32 exec_lo, exec_lo, s92
	s_mul_u64 s[92:93], s[30:31], s[34:35]
	s_and_not1_b32 vcc_lo, exec_lo, s97
	s_lshl_b64 s[92:93], s[92:93], 3
	s_delay_alu instid0(SALU_CYCLE_1)
	s_add_nc_u64 s[92:93], s[26:27], s[92:93]
	s_barrier_signal -1
	s_barrier_wait -1
	s_cbranch_vccnz .LBB14_110
; %bb.104:                              ;   in Loop: Header=BB14_4 Depth=1
	v_lshl_add_u64 v[0:1], s[50:51], 3, v[18:19]
	v_lshl_add_u64 v[54:55], s[48:49], 3, v[16:17]
	v_mov_b32_e32 v114, v32
	s_mov_b32 s94, 0
	s_mov_b32 s101, s33
	v_lshl_add_u64 v[0:1], v[46:47], 3, v[0:1]
	s_delay_alu instid0(VALU_DEP_1) | instskip(NEXT) | instid1(VALU_DEP_1)
	v_lshl_add_u64 v[0:1], v[44:45], 3, v[0:1]
	v_lshl_add_u64 v[2:3], v[48:49], 3, v[0:1]
	v_add_nc_u64_e32 v[0:1], s[84:85], v[0:1]
	s_delay_alu instid0(VALU_DEP_2) | instskip(NEXT) | instid1(VALU_DEP_1)
	v_lshl_add_u64 v[2:3], s[36:37], 3, v[2:3]
	v_add_nc_u64_e32 v[2:3], s[82:83], v[2:3]
	s_delay_alu instid0(VALU_DEP_1)
	v_dual_cndmask_b32 v57, v1, v3, s1 :: v_dual_cndmask_b32 v56, v0, v2, s1
	s_branch .LBB14_106
.LBB14_105:                             ;   in Loop: Header=BB14_106 Depth=2
	s_wait_xcnt 0x0
	s_or_b32 exec_lo, exec_lo, s95
	v_pk_mul_f32 v[116:117], v[64:65], v[4:5] op_sel:[1,1] op_sel_hi:[0,1]
	v_dual_mov_b32 v118, v7 :: v_dual_mov_b32 v122, v3
	v_pk_mul_f32 v[120:121], v[60:61], v[0:1] op_sel:[1,1] op_sel_hi:[0,1]
	v_pk_mul_f32 v[126:127], v[70:71], v[12:13] op_sel:[1,1] op_sel_hi:[0,1]
	s_delay_alu instid0(VALU_DEP_4) | instskip(NEXT) | instid1(VALU_DEP_4)
	v_pk_fma_f32 v[124:125], v[64:65], v[4:5], v[116:117] op_sel_hi:[1,0,1]
	v_pk_mul_f32 v[118:119], v[62:63], v[118:119] op_sel:[1,0] op_sel_hi:[0,0]
	v_pk_fma_f32 v[4:5], v[64:65], v[4:5], v[116:117] neg_lo:[0,0,1] neg_hi:[0,0,1]
	v_mov_b32_e32 v124, v15
	v_pk_mul_f32 v[116:117], v[58:59], v[122:123] op_sel:[1,0] op_sel_hi:[0,0]
	v_mov_b32_e32 v5, v125
	v_pk_fma_f32 v[64:65], v[62:63], v[6:7], v[118:119] op_sel_hi:[1,0,1]
	v_pk_fma_f32 v[6:7], v[62:63], v[6:7], v[118:119] neg_lo:[0,0,1] neg_hi:[0,0,1]
	v_pk_fma_f32 v[122:123], v[60:61], v[0:1], v[120:121] op_sel_hi:[1,0,1]
	v_pk_fma_f32 v[0:1], v[60:61], v[0:1], v[120:121] neg_lo:[0,0,1] neg_hi:[0,0,1]
	v_pk_add_f32 v[4:5], v[52:53], v[4:5]
	v_mov_b32_e32 v7, v65
	v_pk_fma_f32 v[60:61], v[58:59], v[2:3], v[116:117] op_sel_hi:[1,0,1]
	v_mov_b32_e32 v1, v123
	v_pk_fma_f32 v[2:3], v[58:59], v[2:3], v[116:117] neg_lo:[0,0,1] neg_hi:[0,0,1]
	v_pk_fma_f32 v[62:63], v[70:71], v[12:13], v[126:127] op_sel_hi:[1,0,1]
	v_pk_add_f32 v[4:5], v[4:5], v[6:7]
	v_pk_mul_f32 v[6:7], v[66:67], v[124:125] op_sel:[1,0] op_sel_hi:[0,0]
	v_mov_b32_e32 v3, v61
	v_pk_mul_f32 v[52:53], v[72:73], v[8:9] op_sel:[1,1] op_sel_hi:[0,1]
	v_pk_fma_f32 v[12:13], v[70:71], v[12:13], v[126:127] neg_lo:[0,0,1] neg_hi:[0,0,1]
	v_pk_add_f32 v[0:1], v[4:5], v[0:1]
	v_mov_b32_e32 v4, v11
	v_pk_fma_f32 v[58:59], v[66:67], v[14:15], v[6:7] op_sel_hi:[1,0,1]
	v_mov_b32_e32 v13, v63
	v_pk_fma_f32 v[6:7], v[66:67], v[14:15], v[6:7] neg_lo:[0,0,1] neg_hi:[0,0,1]
	v_pk_add_f32 v[0:1], v[0:1], v[2:3]
	v_pk_fma_f32 v[2:3], v[72:73], v[8:9], v[52:53] op_sel_hi:[1,0,1]
	v_pk_mul_f32 v[4:5], v[68:69], v[4:5] op_sel:[1,0] op_sel_hi:[0,0]
	v_mov_b32_e32 v7, v59
	v_pk_fma_f32 v[8:9], v[72:73], v[8:9], v[52:53] neg_lo:[0,0,1] neg_hi:[0,0,1]
	v_pk_add_f32 v[0:1], v[0:1], v[12:13]
	v_mov_b32_e32 v9, v3
	v_pk_fma_f32 v[2:3], v[68:69], v[10:11], v[4:5] op_sel_hi:[1,0,1]
	v_pk_mul_f32 v[12:13], v[80:81], v[16:17] op_sel:[1,1] op_sel_hi:[0,1]
	v_mov_b32_e32 v2, v19
	v_pk_add_f32 v[0:1], v[0:1], v[6:7]
	v_pk_fma_f32 v[4:5], v[68:69], v[10:11], v[4:5] neg_lo:[0,0,1] neg_hi:[0,0,1]
	v_mov_b32_e32 v5, v3
	v_pk_fma_f32 v[6:7], v[80:81], v[16:17], v[12:13] op_sel_hi:[1,0,1]
	v_pk_mul_f32 v[2:3], v[78:79], v[2:3] op_sel:[1,0] op_sel_hi:[0,0]
	v_pk_add_f32 v[0:1], v[0:1], v[8:9]
	v_pk_fma_f32 v[8:9], v[80:81], v[16:17], v[12:13] neg_lo:[0,0,1] neg_hi:[0,0,1]
	v_mov_b32_e32 v6, v23
	v_pk_mul_f32 v[10:11], v[76:77], v[20:21] op_sel:[1,1] op_sel_hi:[0,1]
	v_add_nc_u64_e32 v[56:57], s[58:59], v[56:57]
	v_pk_add_f32 v[0:1], v[0:1], v[4:5]
	v_pk_fma_f32 v[4:5], v[78:79], v[18:19], v[2:3] op_sel_hi:[1,0,1]
	v_mov_b32_e32 v9, v7
	v_pk_fma_f32 v[2:3], v[78:79], v[18:19], v[2:3] neg_lo:[0,0,1] neg_hi:[0,0,1]
	v_pk_mul_f32 v[6:7], v[74:75], v[6:7] op_sel:[1,0] op_sel_hi:[0,0]
	s_delay_alu instid0(VALU_DEP_4) | instskip(NEXT) | instid1(VALU_DEP_4)
	v_dual_mov_b32 v3, v5 :: v_dual_add_nc_u32 v114, 64, v114
	v_pk_add_f32 v[0:1], v[0:1], v[8:9]
	v_pk_fma_f32 v[4:5], v[76:77], v[20:21], v[10:11] op_sel_hi:[1,0,1]
	v_pk_fma_f32 v[10:11], v[76:77], v[20:21], v[10:11] neg_lo:[0,0,1] neg_hi:[0,0,1]
	v_pk_fma_f32 v[8:9], v[74:75], v[22:23], v[6:7] op_sel_hi:[1,0,1]
	v_dual_mov_b32 v4, v27 :: v_dual_mov_b32 v8, v31
	v_pk_add_f32 v[0:1], v[0:1], v[2:3]
	v_mov_b32_e32 v11, v5
	v_pk_fma_f32 v[2:3], v[74:75], v[22:23], v[6:7] neg_lo:[0,0,1] neg_hi:[0,0,1]
	v_pk_mul_f32 v[6:7], v[88:89], v[24:25] op_sel:[1,1] op_sel_hi:[0,1]
	v_mov_b32_e32 v3, v9
	v_pk_mul_f32 v[4:5], v[86:87], v[4:5] op_sel:[1,0] op_sel_hi:[0,0]
	v_pk_add_f32 v[0:1], v[0:1], v[10:11]
	v_pk_mul_f32 v[8:9], v[82:83], v[8:9] op_sel:[1,0] op_sel_hi:[0,0]
	v_pk_fma_f32 v[10:11], v[88:89], v[24:25], v[6:7] op_sel_hi:[1,0,1]
	v_pk_fma_f32 v[6:7], v[88:89], v[24:25], v[6:7] neg_lo:[0,0,1] neg_hi:[0,0,1]
	v_pk_fma_f32 v[12:13], v[86:87], v[26:27], v[4:5] op_sel_hi:[1,0,1]
	v_pk_add_f32 v[0:1], v[0:1], v[2:3]
	v_pk_mul_f32 v[2:3], v[84:85], v[28:29] op_sel:[1,1] op_sel_hi:[0,1]
	v_mov_b32_e32 v7, v11
	v_pk_fma_f32 v[4:5], v[86:87], v[26:27], v[4:5] neg_lo:[0,0,1] neg_hi:[0,0,1]
	v_mov_b32_e32 v5, v13
	s_add_co_i32 s101, s101, -1
	v_pk_fma_f32 v[10:11], v[84:85], v[28:29], v[2:3] op_sel_hi:[1,0,1]
	v_pk_add_f32 v[0:1], v[0:1], v[6:7]
	v_pk_fma_f32 v[2:3], v[84:85], v[28:29], v[2:3] neg_lo:[0,0,1] neg_hi:[0,0,1]
	v_pk_fma_f32 v[6:7], v[82:83], v[30:31], v[8:9] op_sel_hi:[1,0,1]
	s_add_co_i32 s94, s94, s98
	v_mov_b32_e32 v3, v11
	v_pk_add_f32 v[0:1], v[0:1], v[4:5]
	v_pk_fma_f32 v[4:5], v[82:83], v[30:31], v[8:9] neg_lo:[0,0,1] neg_hi:[0,0,1]
	v_mov_b32_e32 v5, v7
	s_cmp_eq_u32 s101, 0
	s_wait_storecnt 0x0
	v_pk_add_f32 v[0:1], v[0:1], v[2:3]
	s_barrier_signal -1
	s_barrier_wait -1
	s_delay_alu instid0(VALU_DEP_1)
	v_pk_add_f32 v[52:53], v[0:1], v[4:5]
	s_cbranch_scc1 .LBB14_110
.LBB14_106:                             ;   Parent Loop BB14_4 Depth=1
                                        ; =>  This Inner Loop Header: Depth=2
	s_and_saveexec_b32 s102, s0
	s_cbranch_execz .LBB14_108
; %bb.107:                              ;   in Loop: Header=BB14_106 Depth=2
	s_ashr_i32 s95, s94, 31
	s_delay_alu instid0(SALU_CYCLE_1)
	v_lshl_add_u64 v[0:1], s[94:95], 3, v[54:55]
	global_load_b64 v[0:1], v[0:1], off
	s_wait_loadcnt 0x0
	ds_store_b64 v33, v[0:1]
.LBB14_108:                             ;   in Loop: Header=BB14_106 Depth=2
	s_wait_xcnt 0x0
	s_or_b32 exec_lo, exec_lo, s102
	v_add_nc_u64_e32 v[0:1], s[56:57], v[56:57]
	v_add_nc_u64_e32 v[2:3], s[60:61], v[56:57]
	;; [unrolled: 1-line block ×3, first 2 shown]
	s_wait_dscnt 0x0
	s_barrier_signal -1
	s_barrier_wait -1
	s_clause 0x3
	global_load_b64 v[64:65], v[56:57], off
	global_load_b64 v[62:63], v[0:1], off
	;; [unrolled: 1-line block ×4, first 2 shown]
	ds_load_b64 v[8:9], v91
	s_wait_xcnt 0x0
	ds_load_b128 v[4:7], v101
	v_add_nc_u64_e32 v[12:13], s[90:91], v[56:57]
	v_add_nc_u64_e32 v[20:21], s[64:65], v[56:57]
	;; [unrolled: 1-line block ×3, first 2 shown]
	ds_load_b128 v[0:3], v101 offset:16
	v_add_nc_u64_e32 v[28:29], s[68:69], v[56:57]
	v_add_nc_u64_e32 v[30:31], s[70:71], v[56:57]
	;; [unrolled: 1-line block ×4, first 2 shown]
	s_wait_loadcnt_dscnt 0x202
	v_dual_mul_f32 v14, v63, v9 :: v_dual_mul_f32 v15, v63, v8
	v_dual_mul_f32 v10, v65, v9 :: v_dual_mul_f32 v11, v65, v8
	s_wait_loadcnt 0x1
	v_dual_mul_f32 v16, v61, v9 :: v_dual_mul_f32 v17, v61, v8
	s_wait_loadcnt 0x0
	v_dual_mul_f32 v18, v59, v9 :: v_dual_mul_f32 v19, v59, v8
	v_dual_fmac_f32 v10, v64, v8 :: v_dual_fma_f32 v11, v64, v9, -v11
	v_dual_fmac_f32 v14, v62, v8 :: v_dual_fma_f32 v15, v62, v9, -v15
	;; [unrolled: 1-line block ×3, first 2 shown]
	s_delay_alu instid0(VALU_DEP_4)
	v_dual_fmac_f32 v18, v58, v8 :: v_dual_fma_f32 v19, v58, v9, -v19
	v_add_nc_u64_e32 v[8:9], s[88:89], v[56:57]
	ds_store_2addr_b64 v102, v[10:11], v[14:15] offset1:67
	ds_store_2addr_b64 v102, v[16:17], v[18:19] offset0:134 offset1:201
	s_wait_dscnt 0x0
	s_barrier_signal -1
	s_barrier_wait -1
	ds_load_2addr_b64 v[116:119], v103 offset1:1
	ds_load_2addr_b64 v[120:123], v103 offset0:2 offset1:3
	s_wait_dscnt 0x0
	s_barrier_signal -1
	s_barrier_wait -1
	s_clause 0x3
	global_load_b64 v[70:71], v[12:13], off
	global_load_b64 v[66:67], v[8:9], off
	;; [unrolled: 1-line block ×4, first 2 shown]
	s_wait_xcnt 0x2
	ds_load_b64 v[8:9], v91
	ds_load_b128 v[12:15], v101 offset:128
	v_add_nc_u64_e32 v[16:17], s[86:87], v[56:57]
	v_add_nc_u64_e32 v[18:19], s[80:81], v[56:57]
	v_pk_add_f32 v[116:117], v[116:117], 0 op_sel_hi:[1,0]
	s_delay_alu instid0(VALU_DEP_1) | instskip(NEXT) | instid1(VALU_DEP_1)
	v_pk_add_f32 v[116:117], v[116:117], v[118:119]
	v_pk_add_f32 v[116:117], v[116:117], v[120:121]
	s_delay_alu instid0(VALU_DEP_1)
	v_pk_add_f32 v[116:117], v[116:117], v[122:123]
	s_wait_loadcnt_dscnt 0x301
	s_wait_xcnt 0x1
	v_dual_mul_f32 v20, v71, v9 :: v_dual_mul_f32 v10, v71, v8
	s_wait_loadcnt 0x2
	s_wait_xcnt 0x0
	v_dual_mul_f32 v22, v67, v9 :: v_dual_mul_f32 v11, v67, v8
	s_wait_loadcnt 0x1
	v_dual_mul_f32 v24, v73, v9 :: v_dual_mul_f32 v25, v73, v8
	s_wait_loadcnt 0x0
	v_dual_mul_f32 v26, v69, v9 :: v_dual_mul_f32 v27, v69, v8
	v_dual_fmac_f32 v20, v70, v8 :: v_dual_fma_f32 v21, v70, v9, -v10
	v_dual_fmac_f32 v22, v66, v8 :: v_dual_fma_f32 v23, v66, v9, -v11
	;; [unrolled: 1-line block ×3, first 2 shown]
	s_delay_alu instid0(VALU_DEP_4)
	v_dual_fmac_f32 v26, v68, v8 :: v_dual_fma_f32 v27, v68, v9, -v27
	ds_load_b128 v[8:11], v101 offset:144
	ds_store_2addr_b64 v102, v[20:21], v[22:23] offset1:67
	ds_store_2addr_b64 v102, v[24:25], v[26:27] offset0:134 offset1:201
	s_wait_dscnt 0x0
	s_barrier_signal -1
	s_barrier_wait -1
	ds_load_2addr_b64 v[124:127], v103 offset1:1
	ds_load_2addr_b64 v[128:131], v103 offset0:2 offset1:3
	s_wait_dscnt 0x0
	s_barrier_signal -1
	s_barrier_wait -1
	s_clause 0x3
	global_load_b64 v[80:81], v[16:17], off
	global_load_b64 v[78:79], v[18:19], off
	;; [unrolled: 1-line block ×4, first 2 shown]
	ds_load_b64 v[20:21], v91
	s_wait_xcnt 0x2
	ds_load_b128 v[16:19], v101 offset:256
	v_add_nc_u64_e32 v[24:25], s[78:79], v[56:57]
	v_add_nc_u64_e32 v[26:27], s[76:77], v[56:57]
	v_pk_add_f32 v[124:125], v[124:125], 0 op_sel_hi:[1,0]
	s_delay_alu instid0(VALU_DEP_1) | instskip(NEXT) | instid1(VALU_DEP_1)
	v_pk_add_f32 v[118:119], v[124:125], v[126:127]
	v_pk_add_f32 v[118:119], v[118:119], v[128:129]
	s_delay_alu instid0(VALU_DEP_1)
	v_pk_add_f32 v[118:119], v[118:119], v[130:131]
	s_wait_loadcnt_dscnt 0x301
	s_wait_xcnt 0x1
	v_dual_mul_f32 v28, v81, v21 :: v_dual_mul_f32 v22, v81, v20
	s_wait_loadcnt 0x2
	s_wait_xcnt 0x0
	v_dual_mul_f32 v30, v79, v21 :: v_dual_mul_f32 v23, v79, v20
	s_wait_loadcnt 0x1
	v_dual_mul_f32 v82, v77, v21 :: v_dual_mul_f32 v83, v77, v20
	s_wait_loadcnt 0x0
	v_dual_mul_f32 v84, v75, v21 :: v_dual_mul_f32 v85, v75, v20
	v_dual_fmac_f32 v28, v80, v20 :: v_dual_fma_f32 v29, v80, v21, -v22
	v_dual_fmac_f32 v30, v78, v20 :: v_dual_fma_f32 v31, v78, v21, -v23
	;; [unrolled: 1-line block ×3, first 2 shown]
	s_delay_alu instid0(VALU_DEP_4)
	v_dual_fmac_f32 v84, v74, v20 :: v_dual_fma_f32 v85, v74, v21, -v85
	ds_load_b128 v[20:23], v101 offset:272
	ds_store_2addr_b64 v102, v[28:29], v[30:31] offset1:67
	ds_store_2addr_b64 v102, v[82:83], v[84:85] offset0:134 offset1:201
	s_wait_dscnt 0x0
	s_barrier_signal -1
	s_barrier_wait -1
	ds_load_2addr_b64 v[132:135], v103 offset1:1
	ds_load_2addr_b64 v[136:139], v103 offset0:2 offset1:3
	s_wait_dscnt 0x0
	s_barrier_signal -1
	s_barrier_wait -1
	s_clause 0x3
	global_load_b64 v[88:89], v[24:25], off
	global_load_b64 v[86:87], v[26:27], off
	;; [unrolled: 1-line block ×4, first 2 shown]
	ds_load_b64 v[28:29], v91
	s_wait_xcnt 0x2
	ds_load_b128 v[24:27], v101 offset:384
	v_pk_add_f32 v[132:133], v[132:133], 0 op_sel_hi:[1,0]
	s_delay_alu instid0(VALU_DEP_1) | instskip(NEXT) | instid1(VALU_DEP_1)
	v_pk_add_f32 v[124:125], v[132:133], v[134:135]
	v_pk_add_f32 v[120:121], v[124:125], v[136:137]
	s_delay_alu instid0(VALU_DEP_1)
	v_pk_add_f32 v[120:121], v[120:121], v[138:139]
	s_wait_loadcnt_dscnt 0x301
	s_wait_xcnt 0x1
	v_dual_mul_f32 v30, v89, v28 :: v_dual_mul_f32 v140, v89, v29
	s_wait_loadcnt 0x2
	s_wait_xcnt 0x0
	v_dual_mul_f32 v142, v87, v29 :: v_dual_mul_f32 v31, v87, v28
	s_wait_loadcnt 0x1
	v_dual_mul_f32 v115, v85, v28 :: v_dual_mul_f32 v144, v85, v29
	s_wait_loadcnt 0x0
	v_dual_mul_f32 v146, v83, v29 :: v_dual_mul_f32 v147, v83, v28
	v_dual_fma_f32 v141, v88, v29, -v30 :: v_dual_fmac_f32 v140, v88, v28
	v_dual_fmac_f32 v142, v86, v28 :: v_dual_fma_f32 v143, v86, v29, -v31
	v_dual_fma_f32 v145, v84, v29, -v115 :: v_dual_fmac_f32 v144, v84, v28
	s_delay_alu instid0(VALU_DEP_4)
	v_dual_fmac_f32 v146, v82, v28 :: v_dual_fma_f32 v147, v82, v29, -v147
	ds_load_b128 v[28:31], v101 offset:400
	ds_store_2addr_b64 v102, v[140:141], v[142:143] offset1:67
	ds_store_2addr_b64 v102, v[144:145], v[146:147] offset0:134 offset1:201
	s_wait_dscnt 0x0
	s_barrier_signal -1
	s_barrier_wait -1
	ds_load_2addr_b64 v[140:143], v103 offset1:1
	ds_load_2addr_b64 v[144:147], v103 offset0:2 offset1:3
	s_wait_dscnt 0x0
	s_barrier_signal -1
	s_barrier_wait -1
	v_pk_add_f32 v[140:141], v[140:141], 0 op_sel_hi:[1,0]
	s_delay_alu instid0(VALU_DEP_1) | instskip(NEXT) | instid1(VALU_DEP_1)
	v_pk_add_f32 v[126:127], v[140:141], v[142:143]
	v_pk_add_f32 v[124:125], v[126:127], v[144:145]
	s_delay_alu instid0(VALU_DEP_1)
	v_pk_add_f32 v[122:123], v[124:125], v[146:147]
	ds_store_2addr_b64 v113, v[116:117], v[118:119] offset1:16
	ds_store_2addr_b64 v113, v[120:121], v[122:123] offset0:32 offset1:48
	s_wait_dscnt 0x0
	s_barrier_signal -1
	s_barrier_wait -1
	s_and_saveexec_b32 s95, s22
	s_cbranch_execz .LBB14_105
; %bb.109:                              ;   in Loop: Header=BB14_106 Depth=2
	ds_load_b64 v[128:129], v104
	ds_load_2addr_b64 v[116:119], v104 offset0:1 offset1:2
	ds_load_2addr_b64 v[120:123], v104 offset0:3 offset1:4
	;; [unrolled: 1-line block ×3, first 2 shown]
	s_wait_dscnt 0x2
	v_dual_add_f32 v115, v116, v128 :: v_dual_add_f32 v116, v117, v129
	s_delay_alu instid0(VALU_DEP_1) | instskip(SKIP_3) | instid1(VALU_DEP_1)
	v_dual_add_f32 v115, v118, v115 :: v_dual_add_f32 v128, v119, v116
	ds_load_2addr_b64 v[116:119], v104 offset0:7 offset1:8
	s_wait_dscnt 0x2
	v_dual_add_f32 v115, v115, v120 :: v_dual_add_f32 v120, v128, v121
	v_dual_add_f32 v128, v115, v122 :: v_dual_add_f32 v129, v120, v123
	ds_load_2addr_b64 v[120:123], v104 offset0:9 offset1:10
	s_wait_dscnt 0x2
	v_pk_add_f32 v[124:125], v[128:129], v[124:125]
	s_delay_alu instid0(VALU_DEP_1) | instskip(SKIP_3) | instid1(VALU_DEP_1)
	v_pk_add_f32 v[128:129], v[124:125], v[126:127]
	ds_load_2addr_b64 v[124:127], v104 offset0:11 offset1:12
	s_wait_dscnt 0x2
	v_pk_add_f32 v[116:117], v[128:129], v[116:117]
	v_pk_add_f32 v[116:117], v[116:117], v[118:119]
	s_wait_dscnt 0x1
	s_delay_alu instid0(VALU_DEP_1)
	v_pk_add_f32 v[120:121], v[116:117], v[120:121]
	ds_load_2addr_b64 v[116:119], v104 offset0:13 offset1:14
	v_pk_add_f32 v[120:121], v[120:121], v[122:123]
	ds_load_b64 v[122:123], v105
	s_wait_dscnt 0x2
	v_pk_add_f32 v[120:121], v[120:121], v[124:125]
	s_delay_alu instid0(VALU_DEP_1) | instskip(SKIP_1) | instid1(VALU_DEP_1)
	v_pk_add_f32 v[120:121], v[120:121], v[126:127]
	s_wait_dscnt 0x1
	v_pk_add_f32 v[116:117], v[120:121], v[116:117]
	s_delay_alu instid0(VALU_DEP_1) | instskip(SKIP_1) | instid1(VALU_DEP_1)
	v_pk_add_f32 v[116:117], v[116:117], v[118:119]
	s_wait_dscnt 0x0
	v_pk_add_f32 v[116:117], v[116:117], v[122:123]
	global_store_b64 v114, v[116:117], s[92:93] scale_offset
	s_branch .LBB14_105
.LBB14_110:                             ;   in Loop: Header=BB14_4 Depth=1
	ds_store_b64 v106, v[52:53]
	s_wait_dscnt 0x0
	s_barrier_signal -1
	s_barrier_wait -1
	s_and_saveexec_b32 s94, s99
	s_cbranch_execz .LBB14_2
; %bb.111:                              ;   in Loop: Header=BB14_4 Depth=1
	ds_load_2addr_b64 v[0:3], v90 offset1:67
	ds_load_2addr_b64 v[4:7], v90 offset0:134 offset1:201
	s_wait_dscnt 0x1
	v_pk_add_f32 v[0:1], v[2:3], v[0:1]
	v_lshl_add_u64 v[2:3], v[36:37], 3, s[92:93]
	s_wait_dscnt 0x0
	s_delay_alu instid0(VALU_DEP_2) | instskip(NEXT) | instid1(VALU_DEP_1)
	v_pk_add_f32 v[0:1], v[4:5], v[0:1]
	v_pk_add_f32 v[0:1], v[0:1], v[6:7]
	global_store_b64 v[2:3], v[0:1], off
	s_branch .LBB14_2
.LBB14_112:
	s_sendmsg sendmsg(MSG_DEALLOC_VGPRS)
	s_endpgm
	.section	.rodata,"a",@progbits
	.p2align	6, 0x0
	.amdhsa_kernel _ZL26rocblas_hemvn_kernel_lowerILb1ELi64ELi4ELi33ELi32ELi16Ei19rocblas_complex_numIfEPKS1_PS1_EviT6_lT7_lT5_lS6_lS7_lS5_lT8_i
		.amdhsa_group_segment_fixed_size 9600
		.amdhsa_private_segment_fixed_size 0
		.amdhsa_kernarg_size 376
		.amdhsa_user_sgpr_count 2
		.amdhsa_user_sgpr_dispatch_ptr 0
		.amdhsa_user_sgpr_queue_ptr 0
		.amdhsa_user_sgpr_kernarg_segment_ptr 1
		.amdhsa_user_sgpr_dispatch_id 0
		.amdhsa_user_sgpr_kernarg_preload_length 0
		.amdhsa_user_sgpr_kernarg_preload_offset 0
		.amdhsa_user_sgpr_private_segment_size 0
		.amdhsa_wavefront_size32 1
		.amdhsa_uses_dynamic_stack 0
		.amdhsa_enable_private_segment 0
		.amdhsa_system_sgpr_workgroup_id_x 1
		.amdhsa_system_sgpr_workgroup_id_y 0
		.amdhsa_system_sgpr_workgroup_id_z 1
		.amdhsa_system_sgpr_workgroup_info 0
		.amdhsa_system_vgpr_workitem_id 1
		.amdhsa_next_free_vgpr 148
		.amdhsa_next_free_sgpr 103
		.amdhsa_named_barrier_count 0
		.amdhsa_reserve_vcc 1
		.amdhsa_float_round_mode_32 0
		.amdhsa_float_round_mode_16_64 0
		.amdhsa_float_denorm_mode_32 3
		.amdhsa_float_denorm_mode_16_64 3
		.amdhsa_fp16_overflow 0
		.amdhsa_memory_ordered 1
		.amdhsa_forward_progress 1
		.amdhsa_inst_pref_size 61
		.amdhsa_round_robin_scheduling 0
		.amdhsa_exception_fp_ieee_invalid_op 0
		.amdhsa_exception_fp_denorm_src 0
		.amdhsa_exception_fp_ieee_div_zero 0
		.amdhsa_exception_fp_ieee_overflow 0
		.amdhsa_exception_fp_ieee_underflow 0
		.amdhsa_exception_fp_ieee_inexact 0
		.amdhsa_exception_int_div_zero 0
	.end_amdhsa_kernel
	.section	.text._ZL26rocblas_hemvn_kernel_lowerILb1ELi64ELi4ELi33ELi32ELi16Ei19rocblas_complex_numIfEPKS1_PS1_EviT6_lT7_lT5_lS6_lS7_lS5_lT8_i,"axG",@progbits,_ZL26rocblas_hemvn_kernel_lowerILb1ELi64ELi4ELi33ELi32ELi16Ei19rocblas_complex_numIfEPKS1_PS1_EviT6_lT7_lT5_lS6_lS7_lS5_lT8_i,comdat
.Lfunc_end14:
	.size	_ZL26rocblas_hemvn_kernel_lowerILb1ELi64ELi4ELi33ELi32ELi16Ei19rocblas_complex_numIfEPKS1_PS1_EviT6_lT7_lT5_lS6_lS7_lS5_lT8_i, .Lfunc_end14-_ZL26rocblas_hemvn_kernel_lowerILb1ELi64ELi4ELi33ELi32ELi16Ei19rocblas_complex_numIfEPKS1_PS1_EviT6_lT7_lT5_lS6_lS7_lS5_lT8_i
                                        ; -- End function
	.set _ZL26rocblas_hemvn_kernel_lowerILb1ELi64ELi4ELi33ELi32ELi16Ei19rocblas_complex_numIfEPKS1_PS1_EviT6_lT7_lT5_lS6_lS7_lS5_lT8_i.num_vgpr, 148
	.set _ZL26rocblas_hemvn_kernel_lowerILb1ELi64ELi4ELi33ELi32ELi16Ei19rocblas_complex_numIfEPKS1_PS1_EviT6_lT7_lT5_lS6_lS7_lS5_lT8_i.num_agpr, 0
	.set _ZL26rocblas_hemvn_kernel_lowerILb1ELi64ELi4ELi33ELi32ELi16Ei19rocblas_complex_numIfEPKS1_PS1_EviT6_lT7_lT5_lS6_lS7_lS5_lT8_i.numbered_sgpr, 103
	.set _ZL26rocblas_hemvn_kernel_lowerILb1ELi64ELi4ELi33ELi32ELi16Ei19rocblas_complex_numIfEPKS1_PS1_EviT6_lT7_lT5_lS6_lS7_lS5_lT8_i.num_named_barrier, 0
	.set _ZL26rocblas_hemvn_kernel_lowerILb1ELi64ELi4ELi33ELi32ELi16Ei19rocblas_complex_numIfEPKS1_PS1_EviT6_lT7_lT5_lS6_lS7_lS5_lT8_i.private_seg_size, 0
	.set _ZL26rocblas_hemvn_kernel_lowerILb1ELi64ELi4ELi33ELi32ELi16Ei19rocblas_complex_numIfEPKS1_PS1_EviT6_lT7_lT5_lS6_lS7_lS5_lT8_i.uses_vcc, 1
	.set _ZL26rocblas_hemvn_kernel_lowerILb1ELi64ELi4ELi33ELi32ELi16Ei19rocblas_complex_numIfEPKS1_PS1_EviT6_lT7_lT5_lS6_lS7_lS5_lT8_i.uses_flat_scratch, 0
	.set _ZL26rocblas_hemvn_kernel_lowerILb1ELi64ELi4ELi33ELi32ELi16Ei19rocblas_complex_numIfEPKS1_PS1_EviT6_lT7_lT5_lS6_lS7_lS5_lT8_i.has_dyn_sized_stack, 0
	.set _ZL26rocblas_hemvn_kernel_lowerILb1ELi64ELi4ELi33ELi32ELi16Ei19rocblas_complex_numIfEPKS1_PS1_EviT6_lT7_lT5_lS6_lS7_lS5_lT8_i.has_recursion, 0
	.set _ZL26rocblas_hemvn_kernel_lowerILb1ELi64ELi4ELi33ELi32ELi16Ei19rocblas_complex_numIfEPKS1_PS1_EviT6_lT7_lT5_lS6_lS7_lS5_lT8_i.has_indirect_call, 0
	.section	.AMDGPU.csdata,"",@progbits
; Kernel info:
; codeLenInByte = 7704
; TotalNumSgprs: 105
; NumVgprs: 148
; ScratchSize: 0
; MemoryBound: 1
; FloatMode: 240
; IeeeMode: 1
; LDSByteSize: 9600 bytes/workgroup (compile time only)
; SGPRBlocks: 0
; VGPRBlocks: 9
; NumSGPRsForWavesPerEU: 105
; NumVGPRsForWavesPerEU: 148
; NamedBarCnt: 0
; Occupancy: 6
; WaveLimiterHint : 1
; COMPUTE_PGM_RSRC2:SCRATCH_EN: 0
; COMPUTE_PGM_RSRC2:USER_SGPR: 2
; COMPUTE_PGM_RSRC2:TRAP_HANDLER: 0
; COMPUTE_PGM_RSRC2:TGID_X_EN: 1
; COMPUTE_PGM_RSRC2:TGID_Y_EN: 0
; COMPUTE_PGM_RSRC2:TGID_Z_EN: 1
; COMPUTE_PGM_RSRC2:TIDIG_COMP_CNT: 1
	.section	.text._ZL36rocblas_hemvn_kernel_lower_block_sumILi64Ei19rocblas_complex_numIfEPS1_S1_EviT1_lS3_lT2_lT0_lPT3_i,"axG",@progbits,_ZL36rocblas_hemvn_kernel_lower_block_sumILi64Ei19rocblas_complex_numIfEPS1_S1_EviT1_lS3_lT2_lT0_lPT3_i,comdat
	.globl	_ZL36rocblas_hemvn_kernel_lower_block_sumILi64Ei19rocblas_complex_numIfEPS1_S1_EviT1_lS3_lT2_lT0_lPT3_i ; -- Begin function _ZL36rocblas_hemvn_kernel_lower_block_sumILi64Ei19rocblas_complex_numIfEPS1_S1_EviT1_lS3_lT2_lT0_lPT3_i
	.p2align	8
	.type	_ZL36rocblas_hemvn_kernel_lower_block_sumILi64Ei19rocblas_complex_numIfEPS1_S1_EviT1_lS3_lT2_lT0_lPT3_i,@function
_ZL36rocblas_hemvn_kernel_lower_block_sumILi64Ei19rocblas_complex_numIfEPS1_S1_EviT1_lS3_lT2_lT0_lPT3_i: ; @_ZL36rocblas_hemvn_kernel_lower_block_sumILi64Ei19rocblas_complex_numIfEPS1_S1_EviT1_lS3_lT2_lT0_lPT3_i
; %bb.0:
	s_load_b32 s24, s[0:1], 0x50
	s_bfe_u32 s2, ttmp6, 0x40014
	s_lshr_b32 s3, ttmp7, 16
	s_add_co_i32 s2, s2, 1
	s_bfe_u32 s5, ttmp6, 0x40008
	s_mul_i32 s2, s3, s2
	s_getreg_b32 s4, hwreg(HW_REG_IB_STS2, 6, 4)
	s_add_co_i32 s5, s5, s2
	s_cmp_eq_u32 s4, 0
	s_cselect_b32 s2, s3, s5
	s_mov_b32 s3, 0
	s_wait_kmcnt 0x0
	s_cmp_ge_u32 s2, s24
	s_cbranch_scc1 .LBB15_21
; %bb.1:
	s_clause 0x3
	s_load_b64 s[12:13], s[0:1], 0x4
	s_load_b128 s[8:11], s[0:1], 0x28
	s_load_b64 s[14:15], s[0:1], 0x18
	s_load_b32 s21, s[0:1], 0x38
	s_wait_kmcnt 0x0
	s_or_b32 s5, s12, s13
	s_lshl_b64 s[18:19], s[10:11], 3
	s_bitset0_b32 s5, 31
	s_add_nc_u64 s[10:11], s[0:1], 0x58
	s_cmp_eq_u32 s5, 0
	s_add_nc_u64 s[8:9], s[8:9], s[18:19]
	s_cselect_b32 s25, -1, 0
	s_cmp_lg_u32 s5, 0
	s_mov_b32 s16, s13
	s_cselect_b32 s22, -1, 0
	s_cmp_neq_f32 s14, 1.0
	s_mov_b32 s17, s12
	s_cselect_b32 s23, -1, 0
	s_cmp_neq_f32 s15, 0
	s_cselect_b32 s27, -1, 0
	s_bfe_u32 s5, ttmp6, 0x4000c
	s_and_b32 s6, ttmp6, 15
	s_add_co_i32 s5, s5, 1
	s_delay_alu instid0(SALU_CYCLE_1) | instskip(NEXT) | instid1(SALU_CYCLE_1)
	s_mul_i32 s5, ttmp9, s5
	s_add_co_i32 s6, s6, s5
	s_cmp_eq_u32 s4, 0
	s_cselect_b32 s26, ttmp9, s6
	s_clause 0x1
	s_load_b128 s[4:7], s[0:1], 0x40
	s_load_b32 s20, s[0:1], 0x0
	v_lshl_or_b32 v1, s26, 6, v0
	s_cmp_neq_f32 s14, 0
	s_delay_alu instid0(VALU_DEP_1)
	v_mul_lo_u32 v0, s21, v1
	s_wait_xcnt 0x0
	s_cselect_b32 s0, -1, 0
	s_or_b32 s1, s23, s27
	s_or_b32 s18, s0, s27
	;; [unrolled: 1-line block ×3, first 2 shown]
	v_cndmask_b32_e64 v10, 0, 1, s18
	s_xor_b32 s27, s18, -1
	s_wait_kmcnt 0x0
	v_mad_u32 v2, s20, s26, v1
	v_cmp_gt_i32_e64 s0, s20, v1
	s_ashr_i32 s21, s20, 31
	v_ashrrev_i32_e32 v1, 31, v0
	s_lshl_b64 s[18:19], s[20:21], 3
	v_ashrrev_i32_e32 v3, 31, v2
	s_delay_alu instid0(VALU_DEP_1)
	v_lshl_add_u64 v[2:3], v[2:3], 3, s[6:7]
	s_mov_b32 s6, s15
	s_mov_b32 s7, s14
	s_branch .LBB15_5
.LBB15_2:                               ;   in Loop: Header=BB15_5 Depth=1
	global_store_b64 v[6:7], v[8:9], off
.LBB15_3:                               ;   in Loop: Header=BB15_5 Depth=1
	s_wait_xcnt 0x0
	s_or_b32 exec_lo, exec_lo, s28
.LBB15_4:                               ;   in Loop: Header=BB15_5 Depth=1
	s_add_co_i32 s2, s2, 0x10000
	s_delay_alu instid0(SALU_CYCLE_1)
	s_cmp_lt_u32 s2, s24
	s_cbranch_scc0 .LBB15_21
.LBB15_5:                               ; =>This Loop Header: Depth=1
                                        ;     Child Loop BB15_16 Depth 2
	s_and_not1_b32 vcc_lo, exec_lo, s1
	s_cbranch_vccnz .LBB15_4
; %bb.6:                                ;   in Loop: Header=BB15_5 Depth=1
	s_mul_u64 s[20:21], s[4:5], s[2:3]
	s_and_not1_b32 vcc_lo, exec_lo, s25
	s_lshl_b64 s[20:21], s[20:21], 3
	s_mov_b32 s22, -1
	s_add_nc_u64 s[20:21], s[8:9], s[20:21]
	s_cbranch_vccnz .LBB15_12
; %bb.7:                                ;   in Loop: Header=BB15_5 Depth=1
	s_and_saveexec_b32 s22, s0
	s_cbranch_execz .LBB15_11
; %bb.8:                                ;   in Loop: Header=BB15_5 Depth=1
	v_cmp_ne_u32_e32 vcc_lo, 1, v10
	v_dual_mov_b32 v4, 0 :: v_dual_mov_b32 v5, 0
	s_cbranch_vccnz .LBB15_10
; %bb.9:                                ;   in Loop: Header=BB15_5 Depth=1
	v_lshl_add_u64 v[4:5], v[0:1], 3, s[20:21]
	v_mov_b64_e32 v[6:7], s[6:7]
	v_mov_b64_e32 v[8:9], s[14:15]
	global_load_b64 v[4:5], v[4:5], off
	s_wait_loadcnt 0x0
	v_pk_mul_f32 v[6:7], v[4:5], v[6:7] op_sel:[1,0]
	s_delay_alu instid0(VALU_DEP_1) | instskip(SKIP_2) | instid1(VALU_DEP_2)
	v_pk_fma_f32 v[12:13], v[4:5], v[8:9], v[6:7] op_sel_hi:[0,1,1]
	s_wait_xcnt 0x0
	v_pk_fma_f32 v[4:5], v[4:5], v[8:9], v[6:7] neg_lo:[0,0,1] neg_hi:[0,0,1]
	v_mov_b32_e32 v5, v13
.LBB15_10:                              ;   in Loop: Header=BB15_5 Depth=1
	v_lshl_add_u64 v[6:7], v[0:1], 3, s[20:21]
	global_store_b64 v[6:7], v[4:5], off
.LBB15_11:                              ;   in Loop: Header=BB15_5 Depth=1
	s_wait_xcnt 0x0
	s_or_b32 exec_lo, exec_lo, s22
	s_mov_b32 s22, 0
.LBB15_12:                              ;   in Loop: Header=BB15_5 Depth=1
	s_delay_alu instid0(SALU_CYCLE_1)
	s_and_not1_b32 vcc_lo, exec_lo, s22
	s_cbranch_vccnz .LBB15_4
; %bb.13:                               ;   in Loop: Header=BB15_5 Depth=1
	s_and_saveexec_b32 s28, s0
	s_cbranch_execz .LBB15_3
; %bb.14:                               ;   in Loop: Header=BB15_5 Depth=1
	s_load_b32 s22, s[10:11], 0x0
	v_mov_b32_e32 v5, 0
	s_delay_alu instid0(VALU_DEP_1)
	v_mov_b32_e32 v4, v5
	s_wait_kmcnt 0x0
	s_cmp_ge_i32 s26, s22
	s_cbranch_scc1 .LBB15_17
; %bb.15:                               ;   in Loop: Header=BB15_5 Depth=1
	s_mov_b32 s23, s3
	v_mov_b32_e32 v4, 0
	s_mul_u64 s[30:31], s[18:19], s[22:23]
	s_mov_b32 s23, s26
	v_mad_nc_u64_u32 v[6:7], s30, s2, v[2:3]
	s_delay_alu instid0(VALU_DEP_2) | instskip(NEXT) | instid1(VALU_DEP_2)
	v_mov_b32_e32 v5, v4
	v_mad_u32 v7, s31, s2, v7
.LBB15_16:                              ;   Parent Loop BB15_5 Depth=1
                                        ; =>  This Inner Loop Header: Depth=2
	global_load_b64 v[8:9], v[6:7], off
	s_wait_xcnt 0x0
	v_add_nc_u64_e32 v[6:7], s[18:19], v[6:7]
	s_add_co_i32 s23, s23, 1
	s_delay_alu instid0(SALU_CYCLE_1)
	s_cmp_ge_i32 s23, s22
	s_wait_loadcnt 0x0
	v_pk_add_f32 v[4:5], v[4:5], v[8:9]
	s_cbranch_scc0 .LBB15_16
.LBB15_17:                              ;   in Loop: Header=BB15_5 Depth=1
	s_and_b32 vcc_lo, exec_lo, s27
	s_mov_b32 s22, -1
                                        ; implicit-def: $vgpr9
	s_cbranch_vccz .LBB15_19
; %bb.18:                               ;   in Loop: Header=BB15_5 Depth=1
	v_mov_b64_e32 v[6:7], s[16:17]
	v_mov_b64_e32 v[8:9], s[12:13]
	s_mov_b32 s22, 0
	s_delay_alu instid0(VALU_DEP_2) | instskip(NEXT) | instid1(VALU_DEP_2)
	v_pk_mul_f32 v[6:7], v[4:5], v[6:7] op_sel:[1,0]
	v_pk_mul_f32 v[12:13], v[4:5], v[8:9] op_sel_hi:[0,1]
	s_delay_alu instid0(VALU_DEP_2) | instskip(NEXT) | instid1(VALU_DEP_2)
	v_pk_fma_f32 v[8:9], v[4:5], v[8:9], v[6:7] op_sel_hi:[0,1,1]
	v_sub_f32_e32 v8, v12, v6
.LBB15_19:                              ;   in Loop: Header=BB15_5 Depth=1
	v_lshl_add_u64 v[6:7], v[0:1], 3, s[20:21]
	s_and_not1_b32 vcc_lo, exec_lo, s22
	s_cbranch_vccnz .LBB15_2
; %bb.20:                               ;   in Loop: Header=BB15_5 Depth=1
	global_load_b64 v[8:9], v[6:7], off
	v_mov_b64_e32 v[12:13], s[6:7]
	v_mov_b64_e32 v[14:15], s[16:17]
	;; [unrolled: 1-line block ×4, first 2 shown]
	s_delay_alu instid0(VALU_DEP_3) | instskip(NEXT) | instid1(VALU_DEP_1)
	v_pk_mul_f32 v[14:15], v[4:5], v[14:15] op_sel:[1,0]
	v_pk_fma_f32 v[22:23], v[4:5], v[18:19], v[14:15] op_sel_hi:[0,1,1]
	v_pk_fma_f32 v[4:5], v[4:5], v[18:19], v[14:15] neg_lo:[0,0,1] neg_hi:[0,0,1]
	s_delay_alu instid0(VALU_DEP_2) | instskip(SKIP_2) | instid1(VALU_DEP_1)
	v_mov_b32_e32 v5, v23
	s_wait_loadcnt 0x0
	v_pk_mul_f32 v[12:13], v[8:9], v[12:13] op_sel:[1,0]
	v_pk_fma_f32 v[20:21], v[8:9], v[16:17], v[12:13] op_sel_hi:[0,1,1]
	v_pk_fma_f32 v[8:9], v[8:9], v[16:17], v[12:13] neg_lo:[0,0,1] neg_hi:[0,0,1]
	s_delay_alu instid0(VALU_DEP_2) | instskip(NEXT) | instid1(VALU_DEP_1)
	v_mov_b32_e32 v9, v21
	v_pk_add_f32 v[8:9], v[4:5], v[8:9]
	s_branch .LBB15_2
.LBB15_21:
	s_endpgm
	.section	.rodata,"a",@progbits
	.p2align	6, 0x0
	.amdhsa_kernel _ZL36rocblas_hemvn_kernel_lower_block_sumILi64Ei19rocblas_complex_numIfEPS1_S1_EviT1_lS3_lT2_lT0_lPT3_i
		.amdhsa_group_segment_fixed_size 0
		.amdhsa_private_segment_fixed_size 0
		.amdhsa_kernarg_size 344
		.amdhsa_user_sgpr_count 2
		.amdhsa_user_sgpr_dispatch_ptr 0
		.amdhsa_user_sgpr_queue_ptr 0
		.amdhsa_user_sgpr_kernarg_segment_ptr 1
		.amdhsa_user_sgpr_dispatch_id 0
		.amdhsa_user_sgpr_kernarg_preload_length 0
		.amdhsa_user_sgpr_kernarg_preload_offset 0
		.amdhsa_user_sgpr_private_segment_size 0
		.amdhsa_wavefront_size32 1
		.amdhsa_uses_dynamic_stack 0
		.amdhsa_enable_private_segment 0
		.amdhsa_system_sgpr_workgroup_id_x 1
		.amdhsa_system_sgpr_workgroup_id_y 0
		.amdhsa_system_sgpr_workgroup_id_z 1
		.amdhsa_system_sgpr_workgroup_info 0
		.amdhsa_system_vgpr_workitem_id 0
		.amdhsa_next_free_vgpr 24
		.amdhsa_next_free_sgpr 32
		.amdhsa_named_barrier_count 0
		.amdhsa_reserve_vcc 1
		.amdhsa_float_round_mode_32 0
		.amdhsa_float_round_mode_16_64 0
		.amdhsa_float_denorm_mode_32 3
		.amdhsa_float_denorm_mode_16_64 3
		.amdhsa_fp16_overflow 0
		.amdhsa_memory_ordered 1
		.amdhsa_forward_progress 1
		.amdhsa_inst_pref_size 7
		.amdhsa_round_robin_scheduling 0
		.amdhsa_exception_fp_ieee_invalid_op 0
		.amdhsa_exception_fp_denorm_src 0
		.amdhsa_exception_fp_ieee_div_zero 0
		.amdhsa_exception_fp_ieee_overflow 0
		.amdhsa_exception_fp_ieee_underflow 0
		.amdhsa_exception_fp_ieee_inexact 0
		.amdhsa_exception_int_div_zero 0
	.end_amdhsa_kernel
	.section	.text._ZL36rocblas_hemvn_kernel_lower_block_sumILi64Ei19rocblas_complex_numIfEPS1_S1_EviT1_lS3_lT2_lT0_lPT3_i,"axG",@progbits,_ZL36rocblas_hemvn_kernel_lower_block_sumILi64Ei19rocblas_complex_numIfEPS1_S1_EviT1_lS3_lT2_lT0_lPT3_i,comdat
.Lfunc_end15:
	.size	_ZL36rocblas_hemvn_kernel_lower_block_sumILi64Ei19rocblas_complex_numIfEPS1_S1_EviT1_lS3_lT2_lT0_lPT3_i, .Lfunc_end15-_ZL36rocblas_hemvn_kernel_lower_block_sumILi64Ei19rocblas_complex_numIfEPS1_S1_EviT1_lS3_lT2_lT0_lPT3_i
                                        ; -- End function
	.set _ZL36rocblas_hemvn_kernel_lower_block_sumILi64Ei19rocblas_complex_numIfEPS1_S1_EviT1_lS3_lT2_lT0_lPT3_i.num_vgpr, 24
	.set _ZL36rocblas_hemvn_kernel_lower_block_sumILi64Ei19rocblas_complex_numIfEPS1_S1_EviT1_lS3_lT2_lT0_lPT3_i.num_agpr, 0
	.set _ZL36rocblas_hemvn_kernel_lower_block_sumILi64Ei19rocblas_complex_numIfEPS1_S1_EviT1_lS3_lT2_lT0_lPT3_i.numbered_sgpr, 32
	.set _ZL36rocblas_hemvn_kernel_lower_block_sumILi64Ei19rocblas_complex_numIfEPS1_S1_EviT1_lS3_lT2_lT0_lPT3_i.num_named_barrier, 0
	.set _ZL36rocblas_hemvn_kernel_lower_block_sumILi64Ei19rocblas_complex_numIfEPS1_S1_EviT1_lS3_lT2_lT0_lPT3_i.private_seg_size, 0
	.set _ZL36rocblas_hemvn_kernel_lower_block_sumILi64Ei19rocblas_complex_numIfEPS1_S1_EviT1_lS3_lT2_lT0_lPT3_i.uses_vcc, 1
	.set _ZL36rocblas_hemvn_kernel_lower_block_sumILi64Ei19rocblas_complex_numIfEPS1_S1_EviT1_lS3_lT2_lT0_lPT3_i.uses_flat_scratch, 0
	.set _ZL36rocblas_hemvn_kernel_lower_block_sumILi64Ei19rocblas_complex_numIfEPS1_S1_EviT1_lS3_lT2_lT0_lPT3_i.has_dyn_sized_stack, 0
	.set _ZL36rocblas_hemvn_kernel_lower_block_sumILi64Ei19rocblas_complex_numIfEPS1_S1_EviT1_lS3_lT2_lT0_lPT3_i.has_recursion, 0
	.set _ZL36rocblas_hemvn_kernel_lower_block_sumILi64Ei19rocblas_complex_numIfEPS1_S1_EviT1_lS3_lT2_lT0_lPT3_i.has_indirect_call, 0
	.section	.AMDGPU.csdata,"",@progbits
; Kernel info:
; codeLenInByte = 872
; TotalNumSgprs: 34
; NumVgprs: 24
; ScratchSize: 0
; MemoryBound: 0
; FloatMode: 240
; IeeeMode: 1
; LDSByteSize: 0 bytes/workgroup (compile time only)
; SGPRBlocks: 0
; VGPRBlocks: 1
; NumSGPRsForWavesPerEU: 34
; NumVGPRsForWavesPerEU: 24
; NamedBarCnt: 0
; Occupancy: 16
; WaveLimiterHint : 0
; COMPUTE_PGM_RSRC2:SCRATCH_EN: 0
; COMPUTE_PGM_RSRC2:USER_SGPR: 2
; COMPUTE_PGM_RSRC2:TRAP_HANDLER: 0
; COMPUTE_PGM_RSRC2:TGID_X_EN: 1
; COMPUTE_PGM_RSRC2:TGID_Y_EN: 0
; COMPUTE_PGM_RSRC2:TGID_Z_EN: 1
; COMPUTE_PGM_RSRC2:TIDIG_COMP_CNT: 0
	.section	.text._ZL26rocblas_hemvn_kernel_upperILb1ELi64ELi4ELi33ELi32ELi16ElPK19rocblas_complex_numIdES3_PS1_EviT6_lT7_lT5_lS6_lS7_lS5_lT8_i,"axG",@progbits,_ZL26rocblas_hemvn_kernel_upperILb1ELi64ELi4ELi33ELi32ELi16ElPK19rocblas_complex_numIdES3_PS1_EviT6_lT7_lT5_lS6_lS7_lS5_lT8_i,comdat
	.globl	_ZL26rocblas_hemvn_kernel_upperILb1ELi64ELi4ELi33ELi32ELi16ElPK19rocblas_complex_numIdES3_PS1_EviT6_lT7_lT5_lS6_lS7_lS5_lT8_i ; -- Begin function _ZL26rocblas_hemvn_kernel_upperILb1ELi64ELi4ELi33ELi32ELi16ElPK19rocblas_complex_numIdES3_PS1_EviT6_lT7_lT5_lS6_lS7_lS5_lT8_i
	.p2align	8
	.type	_ZL26rocblas_hemvn_kernel_upperILb1ELi64ELi4ELi33ELi32ELi16ElPK19rocblas_complex_numIdES3_PS1_EviT6_lT7_lT5_lS6_lS7_lS5_lT8_i,@function
_ZL26rocblas_hemvn_kernel_upperILb1ELi64ELi4ELi33ELi32ELi16ElPK19rocblas_complex_numIdES3_PS1_EviT6_lT7_lT5_lS6_lS7_lS5_lT8_i: ; @_ZL26rocblas_hemvn_kernel_upperILb1ELi64ELi4ELi33ELi32ELi16ElPK19rocblas_complex_numIdES3_PS1_EviT6_lT7_lT5_lS6_lS7_lS5_lT8_i
; %bb.0:
	s_clause 0x1
	s_load_b64 s[2:3], s[0:1], 0x84
	s_load_b32 s33, s[0:1], 0x70
	s_bfe_u32 s4, ttmp6, 0x40014
	s_lshr_b32 s5, ttmp7, 16
	s_add_co_i32 s4, s4, 1
	s_bfe_u32 s7, ttmp6, 0x40008
	s_mul_i32 s4, s5, s4
	s_getreg_b32 s6, hwreg(HW_REG_IB_STS2, 6, 4)
	s_add_co_i32 s7, s7, s4
	s_mov_b32 s35, 0
	s_wait_kmcnt 0x0
	s_lshr_b32 s4, s2, 16
	s_and_b32 s2, s2, 0xffff
	s_and_b32 s3, s3, 0xffff
	s_mul_i32 s2, s4, s2
	s_cmp_eq_u32 s6, 0
	s_mul_i32 s2, s2, s3
	s_cselect_b32 s34, s5, s7
	s_cmp_lg_u32 s2, 0x100
	s_cselect_b32 s2, -1, 0
	s_cmp_ge_u32 s34, s33
	s_cselect_b32 s3, -1, 0
	s_delay_alu instid0(SALU_CYCLE_1) | instskip(NEXT) | instid1(SALU_CYCLE_1)
	s_or_b32 s2, s2, s3
	s_and_b32 vcc_lo, exec_lo, s2
	s_cbranch_vccnz .LBB16_189
; %bb.1:
	s_load_b32 s2, s[0:1], 0x0
	s_add_nc_u64 s[8:9], s[0:1], 0x78
	s_clause 0x2
	s_load_b512 s[36:51], s[0:1], 0x8
	s_load_b64 s[4:5], s[0:1], 0x68
	s_load_b256 s[24:31], s[0:1], 0x48
	s_wait_xcnt 0x0
	s_bfe_u32 s0, ttmp6, 0x4000c
	v_bfe_u32 v1, v0, 10, 10
	s_add_co_i32 s0, s0, 1
	s_and_b32 s1, ttmp6, 15
	s_mul_i32 s3, ttmp9, s0
	s_set_vgpr_msb 64                       ;  msbs: dst=1 src0=0 src1=0 src2=0
	v_and_b32_e32 v6 /*v262*/, 0x3ff, v0
	s_add_co_i32 s1, s1, s3
	s_set_vgpr_msb 0                        ;  msbs: dst=0 src0=0 src1=0 src2=0
	v_dual_mov_b32 v2, 0 :: v_dual_bitop2_b32 v4, 31, v0 bitop3:0x40
	v_lshlrev_b32_e32 v6, 6, v1
	s_load_b32 s52, s[8:9], 0x0
	s_set_vgpr_msb 4                        ;  msbs: dst=0 src0=0 src1=1 src2=0
	v_lshlrev_b32_e32 v186, 4, v6 /*v262*/
	s_mov_b32 s53, s35
	v_dual_mov_b32 v5, v2 :: v_dual_mov_b32 v7, v2
	s_set_vgpr_msb 64                       ;  msbs: dst=1 src0=0 src1=0 src2=0
	v_add_nc_u32_e32 v8 /*v264*/, 0x4300, v6
	v_cmp_eq_u32_e64 s0, 0, v1
	s_wait_kmcnt 0x0
	s_ashr_i32 s3, s2, 31
	s_cmp_eq_u32 s6, 0
	s_set_vgpr_msb 0                        ;  msbs: dst=0 src0=0 src1=0 src2=0
	v_add_nc_u64_e32 v[8:9], 0x200, v[6:7]
	s_cselect_b32 s54, ttmp9, s1
	v_add_nc_u64_e32 v[10:11], 0x530, v[6:7]
	s_lshl_b32 s22, s54, 6
	s_set_vgpr_msb 4                        ;  msbs: dst=0 src0=0 src1=1 src2=0
	v_dual_add_nc_u32 v3, v6, v6 /*v262*/ :: v_dual_add_nc_u32 v188, s22, v6 /*v262*/
	s_set_vgpr_msb 0                        ;  msbs: dst=0 src0=0 src1=0 src2=0
	v_add_nc_u64_e32 v[12:13], 0x220, v[6:7]
	s_lshr_b32 s1, s3, 26
	v_mul_u64_e32 v[8:9], s[44:45], v[8:9]
	v_mul_u64_e32 v[10:11], s[44:45], v[10:11]
	v_dual_ashrrev_i32 v189, 31, v188 :: v_dual_lshrrev_b32 v44, 5, v3
	s_add_co_i32 s1, s2, s1
	s_add_co_i32 s10, s52, -1
	s_and_not1_b32 s1, s1, 63
	s_delay_alu instid0(VALU_DEP_1)
	v_mul_u64_e32 v[26:27], s[24:25], v[188:189]
	v_mad_nc_u64_u32 v[28:29], s44, v44, v[4:5]
	v_mul_u64_e32 v[12:13], s[44:45], v[12:13]
	s_lshl_b64 s[6:7], s[50:51], 4
	s_lshl_b64 s[8:9], s[42:43], 4
	s_sub_co_i32 s72, s2, s1
	s_cmp_eq_u32 s54, s10
	v_add_nc_u64_e32 v[16:17], 0x210, v[6:7]
	s_cselect_b32 s42, s72, 0
	v_add_nc_u64_e32 v[20:21], 0x230, v[6:7]
	s_cmp_lg_u32 s42, 0
	v_add_nc_u64_e32 v[24:25], 0x300, v[6:7]
	v_mad_u32 v29, s45, v44, v29
	s_cselect_b32 s73, -1, 0
	s_cmp_eq_u32 s42, 0
	v_add_nc_u64_e32 v[32:33], 0x310, v[6:7]
	v_add_nc_u64_e32 v[36:37], 0x320, v[6:7]
	;; [unrolled: 1-line block ×4, first 2 shown]
	s_cselect_b32 s1, -1, 0
	s_ashr_i32 s23, s22, 31
	s_add_nc_u64 s[6:7], s[48:49], s[6:7]
	s_add_nc_u64 s[8:9], s[40:41], s[8:9]
	v_lshlrev_b64_e32 v[28:29], 4, v[28:29]
	s_lshl_b64 s[10:11], s[22:23], 4
	v_add_nc_u64_e32 v[14:15], 0x520, v[6:7]
	v_add_nc_u64_e32 v[18:19], 0x510, v[6:7]
	;; [unrolled: 1-line block ×3, first 2 shown]
	s_add_nc_u64 s[8:9], s[8:9], s[10:11]
	v_add_nc_u64_e32 v[34:35], 0x420, v[6:7]
	v_add_nc_u64_e32 v[38:39], 0x410, v[6:7]
	v_mul_u64_e32 v[16:17], s[44:45], v[16:17]
	v_lshl_add_u64 v[190:191], v[26:27], 4, s[6:7]
	v_add_nc_u64_e32 v[26:27], 0x430, v[6:7]
	v_add_nc_u64_e32 v[30:31], s[8:9], v[28:29]
	v_mul_u64_e32 v[20:21], s[44:45], v[20:21]
	v_mul_u64_e32 v[24:25], s[44:45], v[24:25]
	;; [unrolled: 1-line block ×6, first 2 shown]
	s_ashr_i32 s55, s54, 31
	v_mul_u64_e32 v[14:15], s[44:45], v[14:15]
	s_mul_u64 s[6:7], s[2:3], s[54:55]
	v_mul_u64_e32 v[18:19], s[44:45], v[18:19]
	v_mul_u64_e32 v[22:23], s[44:45], v[22:23]
	v_mul_u64_e32 v[26:27], s[44:45], v[26:27]
	v_mul_u64_e32 v[34:35], s[44:45], v[34:35]
	v_mul_u64_e32 v[38:39], s[44:45], v[38:39]
	s_mul_u64 s[40:41], s[52:53], s[2:3]
	s_lshl_b64 s[2:3], s[6:7], 4
	s_mul_u64 s[6:7], s[44:45], s[22:23]
	v_sub_nc_u64_e32 v[194:195], v[8:9], v[28:29]
	v_lshl_add_u64 v[192:193], s[6:7], 4, v[30:31]
	v_dual_add_nc_u32 v30, 8, v44 :: v_dual_lshlrev_b32 v31, 2, v44
	v_sub_nc_u64_e32 v[196:197], v[10:11], v[28:29]
	v_dual_add_nc_u32 v9, 16, v44 :: v_dual_add_nc_u32 v10, 24, v44
	s_sub_co_i32 s20, s42, 32
	s_delay_alu instid0(VALU_DEP_3) | instskip(SKIP_1) | instid1(VALU_DEP_3)
	v_or_b32_e32 v8, 3, v31
	v_sub_nc_u64_e32 v[198:199], v[12:13], v[28:29]
	v_cmp_le_i32_e64 s8, s42, v9
	v_or_b32_e32 v12, 1, v31
	v_cmp_le_i32_e64 s9, s42, v10
	v_cmp_le_u32_e64 s6, v8, v4
	v_cmp_eq_u32_e64 s7, v8, v4
	v_or_b32_e32 v8, 32, v4
	v_cmp_le_i32_e64 s16, s20, v9
	v_lshrrev_b32_e32 v9, 4, v3
	v_cmp_le_i32_e64 s17, s20, v10
	v_and_b32_e32 v10, 48, v0
	v_dual_lshlrev_b32 v7, 4, v4 :: v_dual_bitop2_b32 v45, 2, v31 bitop3:0x54
	v_cmp_gt_u32_e64 s15, 32, v3
	v_dual_lshlrev_b32 v6, 6, v9 :: v_dual_bitop2_b32 v0, 15, v0 bitop3:0x40
	v_cmp_gt_u32_e64 s18, 64, v3
	v_lshlrev_b32_e32 v3, 4, v10
	v_or_b32_e32 v10, 0xf0, v186
	v_cmp_gt_i32_e64 s10, s42, v8
	v_lshl_or_b32 v8, v4, 9, v7
	s_set_vgpr_msb 64                       ;  msbs: dst=1 src0=0 src1=0 src2=0
	v_mad_u32_u24 v9 /*v265*/, 0x430, v0, v6
	v_mad_u32_u24 v10 /*v266*/, 0x430, v0, v3
	;; [unrolled: 1-line block ×3, first 2 shown]
	s_set_vgpr_msb 0                        ;  msbs: dst=0 src0=0 src1=0 src2=0
	v_dual_mov_b32 v187, v2 :: v_dual_lshlrev_b32 v0, 6, v44
	v_mul_u32_u24_e32 v3, 33, v4
	s_set_vgpr_msb 4                        ;  msbs: dst=0 src0=0 src1=1 src2=0
	v_cmp_gt_i32_e32 vcc_lo, s42, v6 /*v262*/
	s_set_vgpr_msb 0                        ;  msbs: dst=0 src0=0 src1=0 src2=0
	v_sub_nc_u64_e32 v[202:203], v[16:17], v[28:29]
	v_sub_nc_u64_e32 v[206:207], v[20:21], v[28:29]
	;; [unrolled: 1-line block ×7, first 2 shown]
	s_set_vgpr_msb 64                       ;  msbs: dst=1 src0=0 src1=0 src2=0
	v_dual_add_nc_u32 v15 /*v271*/, v8, v0 :: v_dual_lshlrev_b32 v17 /*v273*/, 4, v3
	v_add_nc_u32_e32 v16 /*v272*/, 0x4700, v0
	s_set_vgpr_msb 0                        ;  msbs: dst=0 src0=0 src1=0 src2=0
	v_dual_lshlrev_b32 v0, 4, v44 :: v_dual_bitop2_b32 v194, 8, v194 bitop3:0x54
	s_set_vgpr_msb 64                       ;  msbs: dst=1 src0=0 src1=0 src2=0
	v_mad_u32_u24 v7 /*v263*/, 0x210, v44, v7
	s_set_vgpr_msb 0                        ;  msbs: dst=0 src0=0 src1=0 src2=0
	v_mul_u32_u24_e32 v11, 0x840, v44
	v_cmp_eq_u32_e64 s19, v12, v4
	v_mul_u32_u24_e32 v12, 0x210, v12
	v_mul_i32_i24_e32 v3, 0xffffffd0, v9
	s_set_vgpr_msb 0x41                     ;  msbs: dst=1 src0=1 src1=0 src2=0
	v_dual_lshlrev_b32 v19 /*v275*/, 2, v1 :: v_dual_add_nc_u32 v22 /*v278*/, v17 /*v273*/, v0
	s_or_b32 s64, s1, vcc_lo
	s_set_vgpr_msb 0                        ;  msbs: dst=0 src0=0 src1=0 src2=0
	v_sub_nc_u64_e32 v[200:201], v[14:15], v[28:29]
	v_sub_nc_u64_e32 v[204:205], v[18:19], v[28:29]
	v_sub_nc_u64_e32 v[208:209], v[22:23], v[28:29]
	v_sub_nc_u64_e32 v[212:213], v[26:27], v[28:29]
	v_sub_nc_u64_e32 v[216:217], v[34:35], v[28:29]
	v_sub_nc_u64_e32 v[220:221], v[38:39], v[28:29]
	s_set_vgpr_msb 64                       ;  msbs: dst=1 src0=0 src1=0 src2=0
	v_mad_u32_u24 v20 /*v276*/, 0x10c0, v1, v186
	v_mad_u32_u24 v21 /*v277*/, 0x430, v1, v186
	v_add_nc_u32_e32 v23 /*v279*/, 0x4700, v0
	s_set_vgpr_msb 0                        ;  msbs: dst=0 src0=0 src1=0 src2=0
	v_sub_nc_u64_e32 v[0:1], 0, v[4:5]
	s_add_co_i32 s53, s54, 1
	s_xor_b32 s74, s64, -1
	s_add_nc_u64 s[48:49], s[4:5], s[2:3]
	v_cmp_gt_i32_e64 s1, s42, v4
	s_ashr_i32 s43, s42, 31
	v_cmp_le_i32_e64 s2, s42, v44
	v_cmp_le_i32_e64 s3, s42, v30
	v_cmp_le_u32_e64 s4, v45, v4
	v_cmp_eq_u32_e64 s5, v45, v4
	s_lshl_b64 s[50:51], s[44:45], 7
	s_lshl_b64 s[56:57], s[44:45], 8
	v_cmp_le_u32_e64 s11, v31, v4
	v_cmp_eq_u32_e64 s12, v31, v4
	v_cmp_le_i32_e64 s13, s20, v30
	v_cmp_ge_u32_e64 s14, v31, v4
	s_set_vgpr_msb 64                       ;  msbs: dst=1 src0=0 src1=0 src2=0
	v_dual_add_nc_u32 v12 /*v268*/, v7, v11 :: v_dual_add_nc_u32 v13 /*v269*/, v7, v12
	v_mad_u32_u24 v14 /*v270*/, 0x210, v4, v7
	s_lshl_b64 s[60:61], s[44:45], 5
	v_cmp_le_i32_e64 s20, s20, v44
	v_cmp_eq_u32_e64 s21, 1, v44
	v_mul_i32_i24_e32 v18 /*v274*/, 0xffffffd0, v44
	s_set_vgpr_msb 0                        ;  msbs: dst=0 src0=0 src1=0 src2=0
	v_dual_lshlrev_b32 v226, 4, v4 :: v_dual_bitop2_b32 v202, 8, v202 bitop3:0x54
	v_or_b32_e32 v206, 8, v206
	v_or_b32_e32 v210, 8, v210
	;; [unrolled: 1-line block ×6, first 2 shown]
	s_set_vgpr_msb 0x41                     ;  msbs: dst=1 src0=1 src1=0 src2=0
	v_add_nc_u32_e32 v24 /*v280*/, v9 /*v265*/, v3
	v_add_nc_u32_e32 v25 /*v281*/, 0x4700, v186
	s_set_vgpr_msb 0x44                     ;  msbs: dst=1 src0=0 src1=1 src2=0
	v_add_nc_u32_e32 v26 /*v282*/, 0x1080, v7 /*v263*/
	v_add_nc_u32_e32 v27 /*v283*/, 0x2100, v7 /*v263*/
	;; [unrolled: 1-line block ×3, first 2 shown]
	v_dual_add_nc_u32 v29 /*v285*/, 16, v15 /*v271*/ :: v_dual_add_nc_u32 v30 /*v286*/, 32, v15 /*v271*/
	v_add_nc_u32_e32 v31 /*v287*/, 48, v15 /*v271*/
	s_set_vgpr_msb 64                       ;  msbs: dst=1 src0=0 src1=0 src2=0
	v_add_nc_u32_e32 v32 /*v288*/, 0x4300, v186
	s_set_vgpr_msb 0x44                     ;  msbs: dst=1 src0=0 src1=1 src2=0
	v_dual_add_nc_u32 v36 /*v292*/, 16, v19 /*v275*/ :: v_dual_bitop2_b32 v33 /*v289*/, 1, v19 /*v275*/ bitop3:0x54
	v_dual_add_nc_u32 v37 /*v293*/, 17, v19 /*v275*/ :: v_dual_bitop2_b32 v34 /*v290*/, 2, v19 /*v275*/ bitop3:0x54
	;; [unrolled: 1-line block ×3, first 2 shown]
	v_dual_add_nc_u32 v39 /*v295*/, 19, v19 /*v275*/ :: v_dual_add_nc_u32 v40 /*v296*/, 32, v19 /*v275*/
	v_dual_add_nc_u32 v41 /*v297*/, 33, v19 /*v275*/ :: v_dual_add_nc_u32 v42 /*v298*/, 34, v19 /*v275*/
	;; [unrolled: 1-line block ×4, first 2 shown]
	v_add_nc_u32_e32 v47 /*v303*/, 51, v19 /*v275*/
	s_mul_u64 s[62:63], s[24:25], s[22:23]
	s_cmp_lt_u32 s53, s52
	s_mul_u64 s[58:59], s[44:45], 0x180
	s_sub_nc_u64 s[62:63], 0, s[62:63]
	s_cselect_b32 s53, -1, 0
	s_add_co_i32 s55, s52, -2
	s_and_b32 s75, s0, s64
	s_mov_b64 s[64:65], 0xfffffffffffffe00
	s_mov_b64 s[66:67], 0xfffffffffffffdf0
	s_sub_nc_u64 s[68:69], 0, s[42:43]
	s_add_co_i32 s76, s22, 64
	s_lshl_b64 s[44:45], s[44:45], 10
	s_set_vgpr_msb 0                        ;  msbs: dst=0 src0=0 src1=0 src2=0
	s_branch .LBB16_4
.LBB16_2:                               ;   in Loop: Header=BB16_4 Depth=1
	s_wait_xcnt 0x0
	s_or_b32 exec_lo, exec_lo, s70
.LBB16_3:                               ;   in Loop: Header=BB16_4 Depth=1
	s_add_co_i32 s34, s34, 0x10000
	s_delay_alu instid0(SALU_CYCLE_1)
	s_cmp_lt_u32 s34, s33
	s_cbranch_scc0 .LBB16_189
.LBB16_4:                               ; =>This Loop Header: Depth=1
                                        ;     Child Loop BB16_113 Depth 2
	s_mul_u64 s[22:23], s[38:39], s[34:35]
	s_delay_alu instid0(SALU_CYCLE_1) | instskip(NEXT) | instid1(SALU_CYCLE_1)
	s_lshl_b64 s[22:23], s[22:23], 4
	s_add_nc_u64 s[22:23], s[36:37], s[22:23]
	global_load_b128 v[4:7], v2, s[22:23]
	s_wait_loadcnt 0x0
	v_cmp_neq_f64_e32 vcc_lo, 0, v[4:5]
	s_wait_xcnt 0x0
	v_cmp_neq_f64_e64 s22, 0, v[6:7]
	s_or_b32 s23, vcc_lo, s22
	s_mov_b32 s22, -1
	s_and_b32 vcc_lo, exec_lo, s23
	s_cbranch_vccnz .LBB16_6
; %bb.5:                                ;   in Loop: Header=BB16_4 Depth=1
	s_mul_u64 s[70:71], s[30:31], s[34:35]
	s_delay_alu instid0(SALU_CYCLE_1) | instskip(NEXT) | instid1(SALU_CYCLE_1)
	s_lshl_b64 s[70:71], s[70:71], 4
	s_add_nc_u64 s[70:71], s[28:29], s[70:71]
	global_load_b128 v[4:7], v2, s[70:71]
	s_wait_loadcnt 0x0
	v_cmp_neq_f64_e32 vcc_lo, 1.0, v[4:5]
	v_cmp_neq_f64_e64 s22, 0, v[6:7]
	s_or_b32 s22, vcc_lo, s22
.LBB16_6:                               ;   in Loop: Header=BB16_4 Depth=1
	s_delay_alu instid0(SALU_CYCLE_1)
	s_and_not1_b32 vcc_lo, exec_lo, s22
	s_cbranch_vccnz .LBB16_3
; %bb.7:                                ;   in Loop: Header=BB16_4 Depth=1
	s_and_not1_b32 vcc_lo, exec_lo, s23
	s_cbranch_vccnz .LBB16_3
; %bb.8:                                ;   in Loop: Header=BB16_4 Depth=1
	s_mul_u64 s[22:23], s[26:27], s[34:35]
	s_delay_alu instid0(SALU_CYCLE_1)
	v_lshl_add_u64 v[42:43], s[22:23], 4, v[190:191]
	s_wait_xcnt 0x0
	s_and_saveexec_b32 s22, s0
	s_cbranch_execz .LBB16_13
; %bb.9:                                ;   in Loop: Header=BB16_4 Depth=1
	s_and_saveexec_b32 s23, s74
	s_delay_alu instid0(SALU_CYCLE_1)
	s_xor_b32 s23, exec_lo, s23
; %bb.10:                               ;   in Loop: Header=BB16_4 Depth=1
	v_dual_mov_b32 v3, v2 :: v_dual_mov_b32 v4, v2
	v_mov_b32_e32 v5, v2
	s_set_vgpr_msb 1                        ;  msbs: dst=0 src0=1 src1=0 src2=0
	ds_store_b128 v25 /*v281*/, v[2:5]
; %bb.11:                               ;   in Loop: Header=BB16_4 Depth=1
	s_and_not1_saveexec_b32 s23, s23
	s_set_vgpr_msb 0                        ;  msbs: dst=0 src0=0 src1=0 src2=0
	s_cbranch_execz .LBB16_13
; %bb.12:                               ;   in Loop: Header=BB16_4 Depth=1
	global_load_b128 v[4:7], v[42:43], off
	s_wait_loadcnt 0x0
	s_set_vgpr_msb 1                        ;  msbs: dst=0 src0=1 src1=0 src2=0
	ds_store_2addr_b64 v25 /*v281*/, v[4:5], v[6:7] offset1:1
.LBB16_13:                              ;   in Loop: Header=BB16_4 Depth=1
	s_wait_xcnt 0x0
	s_or_b32 exec_lo, exec_lo, s22
	s_mul_u64 s[22:23], s[46:47], s[34:35]
	s_and_b32 vcc_lo, exec_lo, s73
	s_set_vgpr_msb 0                        ;  msbs: dst=0 src0=0 src1=0 src2=0
	v_lshl_add_u64 v[6:7], s[22:23], 4, v[192:193]
	s_mov_b32 s22, -1
                                        ; implicit-def: $vgpr10_vgpr11
	s_cbranch_vccz .LBB16_25
; %bb.14:                               ;   in Loop: Header=BB16_4 Depth=1
	s_and_saveexec_b32 s22, s2
	s_delay_alu instid0(SALU_CYCLE_1)
	s_xor_b32 s22, exec_lo, s22
; %bb.15:                               ;   in Loop: Header=BB16_4 Depth=1
	v_dual_mov_b32 v3, v2 :: v_dual_mov_b32 v4, v2
	v_mov_b32_e32 v5, v2
	s_set_vgpr_msb 1                        ;  msbs: dst=0 src0=1 src1=0 src2=0
	ds_store_b128 v7 /*v263*/, v[2:5]
; %bb.16:                               ;   in Loop: Header=BB16_4 Depth=1
	s_or_saveexec_b32 s22, s22
	s_set_vgpr_msb 0                        ;  msbs: dst=0 src0=0 src1=0 src2=0
	v_lshl_add_u64 v[4:5], v[0:1], 4, v[6:7]
	s_delay_alu instid0(VALU_DEP_1) | instskip(NEXT) | instid1(VALU_DEP_1)
	v_lshl_add_u64 v[4:5], s[42:43], 4, v[4:5]
	v_add_nc_u64_e32 v[4:5], -16, v[4:5]
	s_delay_alu instid0(VALU_DEP_1)
	v_dual_cndmask_b32 v9, v5, v7, s1 :: v_dual_cndmask_b32 v8, v4, v6, s1
	s_xor_b32 exec_lo, exec_lo, s22
	s_cbranch_execnz .LBB16_171
; %bb.17:                               ;   in Loop: Header=BB16_4 Depth=1
	s_or_b32 exec_lo, exec_lo, s22
	s_and_saveexec_b32 s22, s3
	s_delay_alu instid0(SALU_CYCLE_1)
	s_xor_b32 s22, exec_lo, s22
	s_cbranch_execnz .LBB16_172
.LBB16_18:                              ;   in Loop: Header=BB16_4 Depth=1
	s_and_not1_saveexec_b32 s22, s22
	s_cbranch_execnz .LBB16_173
.LBB16_19:                              ;   in Loop: Header=BB16_4 Depth=1
	s_or_b32 exec_lo, exec_lo, s22
	s_and_saveexec_b32 s22, s8
	s_delay_alu instid0(SALU_CYCLE_1)
	s_xor_b32 s22, exec_lo, s22
	s_cbranch_execnz .LBB16_174
.LBB16_20:                              ;   in Loop: Header=BB16_4 Depth=1
	s_and_not1_saveexec_b32 s22, s22
	s_cbranch_execnz .LBB16_175
.LBB16_21:                              ;   in Loop: Header=BB16_4 Depth=1
	s_or_b32 exec_lo, exec_lo, s22
	s_and_saveexec_b32 s22, s9
	s_delay_alu instid0(SALU_CYCLE_1)
	s_xor_b32 s22, exec_lo, s22
	s_cbranch_execnz .LBB16_176
.LBB16_22:                              ;   in Loop: Header=BB16_4 Depth=1
	s_and_not1_saveexec_b32 s22, s22
	s_cbranch_execz .LBB16_24
.LBB16_23:                              ;   in Loop: Header=BB16_4 Depth=1
	v_add_nc_u64_e32 v[4:5], s[58:59], v[8:9]
	global_load_b128 v[10:13], v[4:5], off
	s_wait_loadcnt 0x0
	s_set_vgpr_msb 1                        ;  msbs: dst=0 src0=1 src1=0 src2=0
	ds_store_2addr_b64 v28 /*v284*/, v[10:11], v[12:13] offset1:1
.LBB16_24:                              ;   in Loop: Header=BB16_4 Depth=1
	s_wait_xcnt 0x0
	s_or_b32 exec_lo, exec_lo, s22
	s_set_vgpr_msb 0                        ;  msbs: dst=0 src0=0 src1=0 src2=0
	v_mov_b32_e32 v227, v2
	s_mov_b32 s22, 0
	s_delay_alu instid0(VALU_DEP_1) | instskip(NEXT) | instid1(VALU_DEP_1)
	v_add_nc_u64_e32 v[4:5], v[8:9], v[226:227]
	v_lshl_add_u64 v[4:5], s[68:69], 4, v[4:5]
	s_delay_alu instid0(VALU_DEP_1) | instskip(NEXT) | instid1(VALU_DEP_1)
	v_add_nc_u64_e32 v[4:5], 16, v[4:5]
	v_dual_cndmask_b32 v11, v5, v7, s1 :: v_dual_cndmask_b32 v10, v4, v6, s1
.LBB16_25:                              ;   in Loop: Header=BB16_4 Depth=1
	s_and_b32 vcc_lo, exec_lo, s22
	s_cbranch_vccz .LBB16_27
; %bb.26:                               ;   in Loop: Header=BB16_4 Depth=1
	v_add_nc_u64_e32 v[4:5], s[50:51], v[6:7]
	s_delay_alu instid0(VALU_DEP_1) | instskip(NEXT) | instid1(VALU_DEP_1)
	v_add_nc_u64_e32 v[8:9], s[50:51], v[4:5]
	v_add_nc_u64_e32 v[10:11], s[50:51], v[8:9]
	s_clause 0x3
	global_load_b128 v[12:15], v[6:7], off
	global_load_b128 v[16:19], v[4:5], off
	;; [unrolled: 1-line block ×4, first 2 shown]
	s_wait_xcnt 0x0
	v_mov_b64_e32 v[10:11], v[6:7]
	s_wait_loadcnt 0x3
	s_set_vgpr_msb 1                        ;  msbs: dst=0 src0=1 src1=0 src2=0
	ds_store_2addr_b64 v7 /*v263*/, v[12:13], v[14:15] offset1:1
	s_wait_loadcnt 0x2
	ds_store_2addr_b64 v26 /*v282*/, v[16:17], v[18:19] offset1:1
	s_wait_loadcnt 0x1
	ds_store_2addr_b64 v27 /*v283*/, v[20:21], v[22:23] offset1:1
	s_wait_loadcnt 0x0
	ds_store_2addr_b64 v28 /*v284*/, v[24:25], v[26:27] offset1:1
.LBB16_27:                              ;   in Loop: Header=BB16_4 Depth=1
	s_mov_b32 s22, 0
	s_wait_dscnt 0x0
	s_barrier_signal -1
	s_barrier_wait -1
	s_and_saveexec_b32 s23, s11
	s_delay_alu instid0(SALU_CYCLE_1)
	s_xor_b32 s23, exec_lo, s23
; %bb.28:                               ;   in Loop: Header=BB16_4 Depth=1
	s_and_b32 s22, s12, exec_lo
; %bb.29:                               ;   in Loop: Header=BB16_4 Depth=1
	s_or_saveexec_b32 s23, s23
	s_set_vgpr_msb 1                        ;  msbs: dst=0 src0=1 src1=0 src2=0
	v_mov_b64_e32 v[6:7], 0
	v_mov_b32_e32 v3, v14 /*v270*/
	s_xor_b32 exec_lo, exec_lo, s23
	s_set_vgpr_msb 0                        ;  msbs: dst=0 src0=0 src1=0 src2=0
	s_cbranch_execz .LBB16_31
; %bb.30:                               ;   in Loop: Header=BB16_4 Depth=1
	s_set_vgpr_msb 1                        ;  msbs: dst=0 src0=1 src1=0 src2=0
	ds_load_b128 v[4:7], v12 /*v268*/
	v_mov_b32_e32 v3, v15 /*v271*/
	s_or_b32 s22, s22, exec_lo
	s_wait_dscnt 0x0
	v_xor_b32_e32 v7, 0x80000000, v7
	ds_store_b64 v15 /*v271*/, v[4:5]
.LBB16_31:                              ;   in Loop: Header=BB16_4 Depth=1
	s_or_b32 exec_lo, exec_lo, s23
	s_and_saveexec_b32 s23, s22
; %bb.32:                               ;   in Loop: Header=BB16_4 Depth=1
	s_set_vgpr_msb 0                        ;  msbs: dst=0 src0=0 src1=0 src2=0
	ds_store_b64 v3, v[6:7] offset:8
; %bb.33:                               ;   in Loop: Header=BB16_4 Depth=1
	s_or_b32 exec_lo, exec_lo, s23
	s_mov_b32 s22, 0
                                        ; implicit-def: $vgpr6_vgpr7
	s_and_saveexec_b32 s23, s14
	s_delay_alu instid0(SALU_CYCLE_1)
	s_xor_b32 s23, exec_lo, s23
	s_cbranch_execnz .LBB16_167
; %bb.34:                               ;   in Loop: Header=BB16_4 Depth=1
	s_or_saveexec_b32 s23, s23
	s_set_vgpr_msb 1                        ;  msbs: dst=0 src0=1 src1=0 src2=0
	v_mov_b32_e32 v3, v29 /*v285*/
	s_xor_b32 exec_lo, exec_lo, s23
	s_set_vgpr_msb 0                        ;  msbs: dst=0 src0=0 src1=0 src2=0
	s_cbranch_execnz .LBB16_168
.LBB16_35:                              ;   in Loop: Header=BB16_4 Depth=1
	s_or_b32 exec_lo, exec_lo, s23
	s_and_saveexec_b32 s23, s22
.LBB16_36:                              ;   in Loop: Header=BB16_4 Depth=1
	ds_store_b64 v3, v[6:7] offset:8
.LBB16_37:                              ;   in Loop: Header=BB16_4 Depth=1
	s_or_b32 exec_lo, exec_lo, s23
	s_mov_b32 s22, 0
	s_and_saveexec_b32 s23, s4
	s_delay_alu instid0(SALU_CYCLE_1)
	s_xor_b32 s23, exec_lo, s23
; %bb.38:                               ;   in Loop: Header=BB16_4 Depth=1
	s_and_b32 s22, s5, exec_lo
; %bb.39:                               ;   in Loop: Header=BB16_4 Depth=1
	s_or_saveexec_b32 s23, s23
	v_mov_b64_e32 v[6:7], 0
	s_set_vgpr_msb 1                        ;  msbs: dst=0 src0=1 src1=0 src2=0
	v_mov_b32_e32 v3, v14 /*v270*/
	s_xor_b32 exec_lo, exec_lo, s23
	s_set_vgpr_msb 0                        ;  msbs: dst=0 src0=0 src1=0 src2=0
	s_cbranch_execz .LBB16_41
; %bb.40:                               ;   in Loop: Header=BB16_4 Depth=1
	s_set_vgpr_msb 1                        ;  msbs: dst=0 src0=1 src1=0 src2=0
	ds_load_b128 v[4:7], v13 /*v269*/ offset:528
	v_mov_b32_e32 v3, v30 /*v286*/
	s_or_b32 s22, s22, exec_lo
	s_wait_dscnt 0x0
	v_xor_b32_e32 v7, 0x80000000, v7
	ds_store_b64 v30 /*v286*/, v[4:5]
.LBB16_41:                              ;   in Loop: Header=BB16_4 Depth=1
	s_or_b32 exec_lo, exec_lo, s23
	s_and_saveexec_b32 s23, s22
; %bb.42:                               ;   in Loop: Header=BB16_4 Depth=1
	s_set_vgpr_msb 0                        ;  msbs: dst=0 src0=0 src1=0 src2=0
	ds_store_b64 v3, v[6:7] offset:8
; %bb.43:                               ;   in Loop: Header=BB16_4 Depth=1
	s_or_b32 exec_lo, exec_lo, s23
	s_mov_b32 s22, 0
	s_and_saveexec_b32 s23, s6
	s_delay_alu instid0(SALU_CYCLE_1)
	s_xor_b32 s23, exec_lo, s23
; %bb.44:                               ;   in Loop: Header=BB16_4 Depth=1
	s_and_b32 s22, s7, exec_lo
; %bb.45:                               ;   in Loop: Header=BB16_4 Depth=1
	s_or_saveexec_b32 s23, s23
	v_mov_b64_e32 v[6:7], 0
	s_set_vgpr_msb 1                        ;  msbs: dst=0 src0=1 src1=0 src2=0
	v_mov_b32_e32 v3, v14 /*v270*/
	s_xor_b32 exec_lo, exec_lo, s23
	s_set_vgpr_msb 0                        ;  msbs: dst=0 src0=0 src1=0 src2=0
	s_cbranch_execz .LBB16_47
; %bb.46:                               ;   in Loop: Header=BB16_4 Depth=1
	s_set_vgpr_msb 1                        ;  msbs: dst=0 src0=1 src1=0 src2=0
	ds_load_b128 v[4:7], v13 /*v269*/ offset:1056
	v_mov_b32_e32 v3, v31 /*v287*/
	s_or_b32 s22, s22, exec_lo
	s_wait_dscnt 0x0
	v_xor_b32_e32 v7, 0x80000000, v7
	ds_store_b64 v31 /*v287*/, v[4:5]
.LBB16_47:                              ;   in Loop: Header=BB16_4 Depth=1
	s_or_b32 exec_lo, exec_lo, s23
	s_and_saveexec_b32 s23, s22
; %bb.48:                               ;   in Loop: Header=BB16_4 Depth=1
	s_set_vgpr_msb 0                        ;  msbs: dst=0 src0=0 src1=0 src2=0
	ds_store_b64 v3, v[6:7] offset:8
; %bb.49:                               ;   in Loop: Header=BB16_4 Depth=1
	s_or_b32 exec_lo, exec_lo, s23
	s_wait_dscnt 0x0
	s_barrier_signal -1
	s_barrier_wait -1
	s_set_vgpr_msb 1                        ;  msbs: dst=0 src0=1 src1=0 src2=0
	ds_load_b128 v[4:7], v12 /*v268*/
	ds_load_b128 v[12:15], v16 /*v272*/
	ds_load_b128 v[16:19], v16 /*v272*/ offset:16
	ds_load_b128 v[20:23], v13 /*v269*/
	s_wait_dscnt 0x2
	s_set_vgpr_msb 0                        ;  msbs: dst=0 src0=0 src1=0 src2=0
	v_mul_f64_e32 v[8:9], v[14:15], v[6:7]
	v_mul_f64_e32 v[30:31], v[12:13], v[6:7]
	s_wait_dscnt 0x0
	v_mul_f64_e32 v[32:33], v[18:19], v[22:23]
	v_mul_f64_e32 v[34:35], v[16:17], v[22:23]
	s_delay_alu instid0(VALU_DEP_4) | instskip(NEXT) | instid1(VALU_DEP_4)
	v_fma_f64 v[8:9], v[12:13], v[4:5], -v[8:9]
	v_fmac_f64_e32 v[30:31], v[14:15], v[4:5]
	s_set_vgpr_msb 1                        ;  msbs: dst=0 src0=1 src1=0 src2=0
	ds_load_b128 v[4:7], v13 /*v269*/ offset:528
	ds_load_b128 v[12:15], v16 /*v272*/ offset:32
	;; [unrolled: 1-line block ×4, first 2 shown]
	s_set_vgpr_msb 0                        ;  msbs: dst=0 src0=0 src1=0 src2=0
	v_fma_f64 v[16:17], v[16:17], v[20:21], -v[32:33]
	v_fmac_f64_e32 v[34:35], v[18:19], v[20:21]
	s_wait_dscnt 0x0
	s_barrier_signal -1
	s_barrier_wait -1
	v_mul_f64_e32 v[36:37], v[14:15], v[6:7]
	v_mul_f64_e32 v[6:7], v[12:13], v[6:7]
	;; [unrolled: 1-line block ×4, first 2 shown]
	v_add_f64_e32 v[8:9], 0, v[8:9]
	v_add_f64_e32 v[18:19], 0, v[30:31]
	v_fma_f64 v[12:13], v[12:13], v[4:5], -v[36:37]
	v_fmac_f64_e32 v[6:7], v[14:15], v[4:5]
	v_fma_f64 v[14:15], v[22:23], v[26:27], -v[20:21]
	v_fmac_f64_e32 v[28:29], v[24:25], v[26:27]
	v_add_f64_e32 v[4:5], v[8:9], v[16:17]
	v_add_f64_e32 v[8:9], v[18:19], v[34:35]
	s_delay_alu instid0(VALU_DEP_2) | instskip(NEXT) | instid1(VALU_DEP_2)
	v_add_f64_e32 v[4:5], v[4:5], v[12:13]
	v_add_f64_e32 v[6:7], v[8:9], v[6:7]
	v_mov_b64_e32 v[8:9], 0
	s_delay_alu instid0(VALU_DEP_3) | instskip(NEXT) | instid1(VALU_DEP_3)
	v_add_f64_e32 v[12:13], v[4:5], v[14:15]
	v_add_f64_e32 v[14:15], v[6:7], v[28:29]
	v_mov_b64_e32 v[6:7], 0
	s_set_vgpr_msb 1                        ;  msbs: dst=0 src0=1 src1=0 src2=0
	ds_store_b128 v22 /*v278*/, v[12:15]
	s_wait_dscnt 0x0
	s_barrier_signal -1
	s_barrier_wait -1
	s_and_saveexec_b32 s22, s15
	s_set_vgpr_msb 0                        ;  msbs: dst=0 src0=0 src1=0 src2=0
	s_cbranch_execz .LBB16_51
; %bb.50:                               ;   in Loop: Header=BB16_4 Depth=1
	s_set_vgpr_msb 1                        ;  msbs: dst=0 src0=1 src1=0 src2=0
	ds_load_b128 v[4:7], v17 /*v273*/
	ds_load_b128 v[12:15], v17 /*v273*/ offset:16
	s_wait_dscnt 0x0
	s_set_vgpr_msb 0                        ;  msbs: dst=0 src0=0 src1=0 src2=0
	v_add_f64_e32 v[8:9], v[12:13], v[4:5]
	v_add_f64_e32 v[16:17], v[14:15], v[6:7]
	s_set_vgpr_msb 1                        ;  msbs: dst=0 src0=1 src1=0 src2=0
	ds_load_b128 v[4:7], v17 /*v273*/ offset:32
	ds_load_b128 v[12:15], v17 /*v273*/ offset:48
	s_wait_dscnt 0x1
	s_set_vgpr_msb 0                        ;  msbs: dst=0 src0=0 src1=0 src2=0
	v_add_f64_e32 v[4:5], v[8:9], v[4:5]
	v_add_f64_e32 v[6:7], v[16:17], v[6:7]
	s_wait_dscnt 0x0
	s_delay_alu instid0(VALU_DEP_2) | instskip(NEXT) | instid1(VALU_DEP_2)
	v_add_f64_e32 v[8:9], v[4:5], v[12:13]
	v_add_f64_e32 v[16:17], v[6:7], v[14:15]
	s_set_vgpr_msb 1                        ;  msbs: dst=0 src0=1 src1=0 src2=0
	ds_load_b128 v[4:7], v17 /*v273*/ offset:64
	ds_load_b128 v[12:15], v17 /*v273*/ offset:80
	s_wait_dscnt 0x1
	s_set_vgpr_msb 0                        ;  msbs: dst=0 src0=0 src1=0 src2=0
	v_add_f64_e32 v[4:5], v[8:9], v[4:5]
	v_add_f64_e32 v[6:7], v[16:17], v[6:7]
	s_wait_dscnt 0x0
	s_delay_alu instid0(VALU_DEP_2) | instskip(NEXT) | instid1(VALU_DEP_2)
	;; [unrolled: 11-line block ×3, first 2 shown]
	v_add_f64_e32 v[6:7], v[4:5], v[12:13]
	v_add_f64_e32 v[8:9], v[8:9], v[14:15]
.LBB16_51:                              ;   in Loop: Header=BB16_4 Depth=1
	s_or_b32 exec_lo, exec_lo, s22
	v_lshl_add_u64 v[12:13], s[60:61], 4, v[10:11]
	s_and_b32 vcc_lo, exec_lo, s73
	s_mov_b32 s22, -1
	s_barrier_signal -1
	s_delay_alu instid0(VALU_DEP_1)
	v_add_nc_u64_e32 v[10:11], 0x200, v[12:13]
	s_barrier_wait -1
                                        ; implicit-def: $vgpr14_vgpr15
	s_cbranch_vccz .LBB16_63
; %bb.52:                               ;   in Loop: Header=BB16_4 Depth=1
	s_and_saveexec_b32 s22, s20
	s_delay_alu instid0(SALU_CYCLE_1)
	s_xor_b32 s22, exec_lo, s22
; %bb.53:                               ;   in Loop: Header=BB16_4 Depth=1
	v_dual_mov_b32 v3, v2 :: v_dual_mov_b32 v4, v2
	v_mov_b32_e32 v5, v2
	s_set_vgpr_msb 1                        ;  msbs: dst=0 src0=1 src1=0 src2=0
	ds_store_b128 v7 /*v263*/, v[2:5]
; %bb.54:                               ;   in Loop: Header=BB16_4 Depth=1
	s_or_saveexec_b32 s22, s22
	s_set_vgpr_msb 0                        ;  msbs: dst=0 src0=0 src1=0 src2=0
	v_lshl_add_u64 v[4:5], v[0:1], 4, v[12:13]
	s_delay_alu instid0(VALU_DEP_1) | instskip(NEXT) | instid1(VALU_DEP_1)
	v_lshl_add_u64 v[4:5], s[42:43], 4, v[4:5]
	v_add_nc_u64_e32 v[4:5], -16, v[4:5]
	s_delay_alu instid0(VALU_DEP_1)
	v_dual_cndmask_b32 v15, v5, v11, s10 :: v_dual_cndmask_b32 v14, v4, v10, s10
	s_xor_b32 exec_lo, exec_lo, s22
	s_cbranch_execnz .LBB16_177
; %bb.55:                               ;   in Loop: Header=BB16_4 Depth=1
	s_or_b32 exec_lo, exec_lo, s22
	s_and_saveexec_b32 s22, s13
	s_delay_alu instid0(SALU_CYCLE_1)
	s_xor_b32 s22, exec_lo, s22
	s_cbranch_execnz .LBB16_178
.LBB16_56:                              ;   in Loop: Header=BB16_4 Depth=1
	s_and_not1_saveexec_b32 s22, s22
	s_cbranch_execnz .LBB16_179
.LBB16_57:                              ;   in Loop: Header=BB16_4 Depth=1
	s_or_b32 exec_lo, exec_lo, s22
	s_and_saveexec_b32 s22, s16
	s_delay_alu instid0(SALU_CYCLE_1)
	s_xor_b32 s22, exec_lo, s22
	s_cbranch_execnz .LBB16_180
.LBB16_58:                              ;   in Loop: Header=BB16_4 Depth=1
	s_and_not1_saveexec_b32 s22, s22
	s_cbranch_execnz .LBB16_181
.LBB16_59:                              ;   in Loop: Header=BB16_4 Depth=1
	s_or_b32 exec_lo, exec_lo, s22
	s_and_saveexec_b32 s22, s17
	s_delay_alu instid0(SALU_CYCLE_1)
	s_xor_b32 s22, exec_lo, s22
	s_cbranch_execnz .LBB16_182
.LBB16_60:                              ;   in Loop: Header=BB16_4 Depth=1
	s_and_not1_saveexec_b32 s22, s22
	s_cbranch_execz .LBB16_62
.LBB16_61:                              ;   in Loop: Header=BB16_4 Depth=1
	v_add_nc_u64_e32 v[4:5], s[58:59], v[14:15]
	global_load_b128 v[16:19], v[4:5], off
	s_wait_loadcnt 0x0
	s_set_vgpr_msb 1                        ;  msbs: dst=0 src0=1 src1=0 src2=0
	ds_store_2addr_b64 v28 /*v284*/, v[16:17], v[18:19] offset1:1
.LBB16_62:                              ;   in Loop: Header=BB16_4 Depth=1
	s_wait_xcnt 0x0
	s_or_b32 exec_lo, exec_lo, s22
	s_set_vgpr_msb 0                        ;  msbs: dst=0 src0=0 src1=0 src2=0
	v_mov_b32_e32 v227, v2
	s_mov_b32 s22, 0
	s_delay_alu instid0(VALU_DEP_1) | instskip(NEXT) | instid1(VALU_DEP_1)
	v_add_nc_u64_e32 v[4:5], v[14:15], v[226:227]
	v_lshl_add_u64 v[4:5], s[68:69], 4, v[4:5]
	s_delay_alu instid0(VALU_DEP_1) | instskip(NEXT) | instid1(VALU_DEP_1)
	v_add_nc_u64_e32 v[4:5], 0x210, v[4:5]
	v_dual_cndmask_b32 v15, v5, v11, s10 :: v_dual_cndmask_b32 v14, v4, v10, s10
.LBB16_63:                              ;   in Loop: Header=BB16_4 Depth=1
	s_and_b32 vcc_lo, exec_lo, s22
	s_cbranch_vccz .LBB16_65
; %bb.64:                               ;   in Loop: Header=BB16_4 Depth=1
	v_add_nc_u64_e32 v[4:5], s[50:51], v[12:13]
	s_delay_alu instid0(VALU_DEP_1) | instskip(NEXT) | instid1(VALU_DEP_1)
	v_add_nc_u64_e32 v[12:13], s[50:51], v[4:5]
	v_add_nc_u64_e32 v[14:15], s[50:51], v[12:13]
	s_clause 0x3
	global_load_b128 v[16:19], v[10:11], off
	global_load_b128 v[20:23], v[4:5], off offset:512
	global_load_b128 v[24:27], v[12:13], off offset:512
	;; [unrolled: 1-line block ×3, first 2 shown]
	s_wait_xcnt 0x0
	v_mov_b64_e32 v[14:15], v[10:11]
	s_wait_loadcnt 0x3
	s_set_vgpr_msb 1                        ;  msbs: dst=0 src0=1 src1=0 src2=0
	ds_store_2addr_b64 v7 /*v263*/, v[16:17], v[18:19] offset1:1
	s_wait_loadcnt 0x2
	ds_store_2addr_b64 v26 /*v282*/, v[20:21], v[22:23] offset1:1
	s_wait_loadcnt 0x1
	ds_store_2addr_b64 v27 /*v283*/, v[24:25], v[26:27] offset1:1
	s_wait_loadcnt 0x0
	ds_store_2addr_b64 v28 /*v284*/, v[28:29], v[30:31] offset1:1
.LBB16_65:                              ;   in Loop: Header=BB16_4 Depth=1
	s_mov_b32 s22, 0
	s_wait_dscnt 0x0
	s_barrier_signal -1
	s_barrier_wait -1
	s_and_saveexec_b32 s23, s11
	s_delay_alu instid0(SALU_CYCLE_1)
	s_xor_b32 s23, exec_lo, s23
; %bb.66:                               ;   in Loop: Header=BB16_4 Depth=1
	s_and_b32 s22, s12, exec_lo
; %bb.67:                               ;   in Loop: Header=BB16_4 Depth=1
	s_or_saveexec_b32 s23, s23
	s_set_vgpr_msb 1                        ;  msbs: dst=0 src0=1 src1=0 src2=0
	v_mov_b64_e32 v[12:13], 0
	v_mov_b32_e32 v3, v14 /*v270*/
	s_xor_b32 exec_lo, exec_lo, s23
	s_set_vgpr_msb 0                        ;  msbs: dst=0 src0=0 src1=0 src2=0
	s_cbranch_execz .LBB16_69
; %bb.68:                               ;   in Loop: Header=BB16_4 Depth=1
	s_set_vgpr_msb 1                        ;  msbs: dst=0 src0=1 src1=0 src2=0
	ds_load_b128 v[10:13], v12 /*v268*/
	v_mov_b32_e32 v3, v15 /*v271*/
	s_or_b32 s22, s22, exec_lo
	s_wait_dscnt 0x0
	v_xor_b32_e32 v13, 0x80000000, v13
	ds_store_b64 v15 /*v271*/, v[10:11]
.LBB16_69:                              ;   in Loop: Header=BB16_4 Depth=1
	s_or_b32 exec_lo, exec_lo, s23
	s_and_saveexec_b32 s23, s22
; %bb.70:                               ;   in Loop: Header=BB16_4 Depth=1
	s_set_vgpr_msb 0                        ;  msbs: dst=0 src0=0 src1=0 src2=0
	ds_store_b64 v3, v[12:13] offset:8
; %bb.71:                               ;   in Loop: Header=BB16_4 Depth=1
	s_or_b32 exec_lo, exec_lo, s23
	s_mov_b32 s22, 0
                                        ; implicit-def: $vgpr12_vgpr13
	s_and_saveexec_b32 s23, s14
	s_delay_alu instid0(SALU_CYCLE_1)
	s_xor_b32 s23, exec_lo, s23
	s_cbranch_execnz .LBB16_169
; %bb.72:                               ;   in Loop: Header=BB16_4 Depth=1
	s_or_saveexec_b32 s23, s23
	s_set_vgpr_msb 1                        ;  msbs: dst=0 src0=1 src1=0 src2=0
	v_mov_b32_e32 v3, v29 /*v285*/
	s_xor_b32 exec_lo, exec_lo, s23
	s_set_vgpr_msb 0                        ;  msbs: dst=0 src0=0 src1=0 src2=0
	s_cbranch_execnz .LBB16_170
.LBB16_73:                              ;   in Loop: Header=BB16_4 Depth=1
	s_or_b32 exec_lo, exec_lo, s23
	s_and_saveexec_b32 s23, s22
.LBB16_74:                              ;   in Loop: Header=BB16_4 Depth=1
	ds_store_b64 v3, v[12:13] offset:8
.LBB16_75:                              ;   in Loop: Header=BB16_4 Depth=1
	s_or_b32 exec_lo, exec_lo, s23
	s_mov_b32 s22, 0
	s_and_saveexec_b32 s23, s4
	s_delay_alu instid0(SALU_CYCLE_1)
	s_xor_b32 s23, exec_lo, s23
; %bb.76:                               ;   in Loop: Header=BB16_4 Depth=1
	s_and_b32 s22, s5, exec_lo
; %bb.77:                               ;   in Loop: Header=BB16_4 Depth=1
	s_or_saveexec_b32 s23, s23
	v_mov_b64_e32 v[12:13], 0
	s_set_vgpr_msb 1                        ;  msbs: dst=0 src0=1 src1=0 src2=0
	v_mov_b32_e32 v3, v14 /*v270*/
	s_xor_b32 exec_lo, exec_lo, s23
	s_set_vgpr_msb 0                        ;  msbs: dst=0 src0=0 src1=0 src2=0
	s_cbranch_execz .LBB16_79
; %bb.78:                               ;   in Loop: Header=BB16_4 Depth=1
	s_set_vgpr_msb 1                        ;  msbs: dst=0 src0=1 src1=0 src2=0
	ds_load_b128 v[10:13], v13 /*v269*/ offset:528
	v_mov_b32_e32 v3, v30 /*v286*/
	s_or_b32 s22, s22, exec_lo
	s_wait_dscnt 0x0
	v_xor_b32_e32 v13, 0x80000000, v13
	ds_store_b64 v30 /*v286*/, v[10:11]
.LBB16_79:                              ;   in Loop: Header=BB16_4 Depth=1
	s_or_b32 exec_lo, exec_lo, s23
	s_and_saveexec_b32 s23, s22
; %bb.80:                               ;   in Loop: Header=BB16_4 Depth=1
	s_set_vgpr_msb 0                        ;  msbs: dst=0 src0=0 src1=0 src2=0
	ds_store_b64 v3, v[12:13] offset:8
; %bb.81:                               ;   in Loop: Header=BB16_4 Depth=1
	s_or_b32 exec_lo, exec_lo, s23
	s_mov_b32 s22, 0
	s_and_saveexec_b32 s23, s6
	s_delay_alu instid0(SALU_CYCLE_1)
	s_xor_b32 s23, exec_lo, s23
; %bb.82:                               ;   in Loop: Header=BB16_4 Depth=1
	s_and_b32 s22, s7, exec_lo
; %bb.83:                               ;   in Loop: Header=BB16_4 Depth=1
	s_or_saveexec_b32 s23, s23
	v_mov_b64_e32 v[12:13], 0
	s_set_vgpr_msb 1                        ;  msbs: dst=0 src0=1 src1=0 src2=0
	v_mov_b32_e32 v3, v14 /*v270*/
	s_xor_b32 exec_lo, exec_lo, s23
	s_set_vgpr_msb 0                        ;  msbs: dst=0 src0=0 src1=0 src2=0
	s_cbranch_execz .LBB16_85
; %bb.84:                               ;   in Loop: Header=BB16_4 Depth=1
	s_set_vgpr_msb 1                        ;  msbs: dst=0 src0=1 src1=0 src2=0
	ds_load_b128 v[10:13], v13 /*v269*/ offset:1056
	v_mov_b32_e32 v3, v31 /*v287*/
	s_or_b32 s22, s22, exec_lo
	s_wait_dscnt 0x0
	v_xor_b32_e32 v13, 0x80000000, v13
	ds_store_b64 v31 /*v287*/, v[10:11]
.LBB16_85:                              ;   in Loop: Header=BB16_4 Depth=1
	s_or_b32 exec_lo, exec_lo, s23
	s_and_saveexec_b32 s23, s22
; %bb.86:                               ;   in Loop: Header=BB16_4 Depth=1
	s_set_vgpr_msb 0                        ;  msbs: dst=0 src0=0 src1=0 src2=0
	ds_store_b64 v3, v[12:13] offset:8
; %bb.87:                               ;   in Loop: Header=BB16_4 Depth=1
	s_or_b32 exec_lo, exec_lo, s23
	s_wait_dscnt 0x0
	s_barrier_signal -1
	s_barrier_wait -1
	s_set_vgpr_msb 1                        ;  msbs: dst=0 src0=1 src1=0 src2=0
	ds_load_b128 v[10:13], v12 /*v268*/
	ds_load_b128 v[16:19], v16 /*v272*/ offset:512
	ds_load_b128 v[20:23], v16 /*v272*/ offset:528
	ds_load_b128 v[24:27], v13 /*v269*/
	s_wait_dscnt 0x2
	s_set_vgpr_msb 0                        ;  msbs: dst=0 src0=0 src1=0 src2=0
	v_mul_f64_e32 v[4:5], v[18:19], v[12:13]
	v_mul_f64_e32 v[34:35], v[16:17], v[12:13]
	s_wait_dscnt 0x0
	v_mul_f64_e32 v[36:37], v[22:23], v[26:27]
	v_mul_f64_e32 v[38:39], v[20:21], v[26:27]
	s_delay_alu instid0(VALU_DEP_4) | instskip(NEXT) | instid1(VALU_DEP_4)
	v_fma_f64 v[4:5], v[16:17], v[10:11], -v[4:5]
	v_fmac_f64_e32 v[34:35], v[18:19], v[10:11]
	s_set_vgpr_msb 1                        ;  msbs: dst=0 src0=1 src1=0 src2=0
	ds_load_b128 v[10:13], v13 /*v269*/ offset:528
	ds_load_b128 v[16:19], v16 /*v272*/ offset:544
	ds_load_b128 v[26:29], v16 /*v272*/ offset:560
	ds_load_b128 v[30:33], v13 /*v269*/ offset:1056
	s_set_vgpr_msb 0                        ;  msbs: dst=0 src0=0 src1=0 src2=0
	v_fma_f64 v[20:21], v[20:21], v[24:25], -v[36:37]
	v_fmac_f64_e32 v[38:39], v[22:23], v[24:25]
	s_wait_dscnt 0x0
	s_barrier_signal -1
	s_barrier_wait -1
	v_mul_f64_e32 v[40:41], v[18:19], v[12:13]
	v_mul_f64_e32 v[12:13], v[16:17], v[12:13]
	;; [unrolled: 1-line block ×4, first 2 shown]
	v_add_f64_e32 v[4:5], 0, v[4:5]
	v_add_f64_e32 v[22:23], 0, v[34:35]
	v_fma_f64 v[16:17], v[16:17], v[10:11], -v[40:41]
	v_fmac_f64_e32 v[12:13], v[18:19], v[10:11]
	v_fma_f64 v[18:19], v[26:27], v[30:31], -v[24:25]
	v_fmac_f64_e32 v[32:33], v[28:29], v[30:31]
	v_add_f64_e32 v[4:5], v[4:5], v[20:21]
	v_add_f64_e32 v[10:11], v[22:23], v[38:39]
	s_delay_alu instid0(VALU_DEP_2) | instskip(NEXT) | instid1(VALU_DEP_2)
	v_add_f64_e32 v[4:5], v[4:5], v[16:17]
	v_add_f64_e32 v[12:13], v[10:11], v[12:13]
	s_delay_alu instid0(VALU_DEP_2) | instskip(NEXT) | instid1(VALU_DEP_2)
	v_add_f64_e32 v[10:11], v[4:5], v[18:19]
	v_add_f64_e32 v[12:13], v[12:13], v[32:33]
	s_set_vgpr_msb 1                        ;  msbs: dst=0 src0=1 src1=0 src2=0
	ds_store_b128 v22 /*v278*/, v[10:13]
	s_wait_dscnt 0x0
	s_barrier_signal -1
	s_barrier_wait -1
	s_and_saveexec_b32 s22, s21
	s_set_vgpr_msb 0                        ;  msbs: dst=0 src0=0 src1=0 src2=0
	s_cbranch_execz .LBB16_89
; %bb.88:                               ;   in Loop: Header=BB16_4 Depth=1
	s_set_vgpr_msb 1                        ;  msbs: dst=0 src0=1 src1=0 src2=0
	ds_load_b128 v[4:7], v17 /*v273*/
	ds_load_b128 v[8:11], v17 /*v273*/ offset:16
	s_wait_dscnt 0x0
	s_set_vgpr_msb 0                        ;  msbs: dst=0 src0=0 src1=0 src2=0
	v_add_f64_e32 v[12:13], v[8:9], v[4:5]
	v_add_f64_e32 v[16:17], v[10:11], v[6:7]
	s_set_vgpr_msb 1                        ;  msbs: dst=0 src0=1 src1=0 src2=0
	ds_load_b128 v[4:7], v17 /*v273*/ offset:32
	ds_load_b128 v[8:11], v17 /*v273*/ offset:48
	s_wait_dscnt 0x1
	s_set_vgpr_msb 0                        ;  msbs: dst=0 src0=0 src1=0 src2=0
	v_add_f64_e32 v[4:5], v[12:13], v[4:5]
	v_add_f64_e32 v[6:7], v[16:17], v[6:7]
	s_wait_dscnt 0x0
	s_delay_alu instid0(VALU_DEP_2) | instskip(NEXT) | instid1(VALU_DEP_2)
	v_add_f64_e32 v[12:13], v[4:5], v[8:9]
	v_add_f64_e32 v[16:17], v[6:7], v[10:11]
	s_set_vgpr_msb 1                        ;  msbs: dst=0 src0=1 src1=0 src2=0
	ds_load_b128 v[4:7], v17 /*v273*/ offset:64
	ds_load_b128 v[8:11], v17 /*v273*/ offset:80
	s_wait_dscnt 0x1
	s_set_vgpr_msb 0                        ;  msbs: dst=0 src0=0 src1=0 src2=0
	v_add_f64_e32 v[4:5], v[12:13], v[4:5]
	v_add_f64_e32 v[6:7], v[16:17], v[6:7]
	s_wait_dscnt 0x0
	s_delay_alu instid0(VALU_DEP_2) | instskip(NEXT) | instid1(VALU_DEP_2)
	;; [unrolled: 11-line block ×3, first 2 shown]
	v_add_f64_e32 v[6:7], v[4:5], v[8:9]
	v_add_f64_e32 v[8:9], v[12:13], v[10:11]
.LBB16_89:                              ;   in Loop: Header=BB16_4 Depth=1
	s_or_b32 exec_lo, exec_lo, s22
	v_add_nc_u64_e32 v[10:11], s[64:65], v[14:15]
	s_and_b32 vcc_lo, exec_lo, s73
	s_mov_b32 s22, -1
	s_barrier_signal -1
	s_barrier_wait -1
                                        ; implicit-def: $vgpr4_vgpr5
	s_cbranch_vccz .LBB16_101
; %bb.90:                               ;   in Loop: Header=BB16_4 Depth=1
	s_and_saveexec_b32 s22, s20
	s_delay_alu instid0(SALU_CYCLE_1)
	s_xor_b32 s22, exec_lo, s22
; %bb.91:                               ;   in Loop: Header=BB16_4 Depth=1
	v_dual_mov_b32 v3, v2 :: v_dual_mov_b32 v4, v2
	v_mov_b32_e32 v5, v2
	s_set_vgpr_msb 1                        ;  msbs: dst=0 src0=1 src1=0 src2=0
	ds_store_b128 v7 /*v263*/, v[2:5]
; %bb.92:                               ;   in Loop: Header=BB16_4 Depth=1
	s_or_saveexec_b32 s22, s22
	s_set_vgpr_msb 0                        ;  msbs: dst=0 src0=0 src1=0 src2=0
	v_lshl_add_u64 v[4:5], v[0:1], 4, v[14:15]
	s_delay_alu instid0(VALU_DEP_1) | instskip(NEXT) | instid1(VALU_DEP_1)
	v_lshl_add_u64 v[4:5], s[42:43], 4, v[4:5]
	v_add_nc_u64_e32 v[4:5], s[66:67], v[4:5]
	s_delay_alu instid0(VALU_DEP_1)
	v_dual_cndmask_b32 v13, v5, v11, s1 :: v_dual_cndmask_b32 v12, v4, v10, s1
	s_xor_b32 exec_lo, exec_lo, s22
	s_cbranch_execnz .LBB16_183
; %bb.93:                               ;   in Loop: Header=BB16_4 Depth=1
	s_or_b32 exec_lo, exec_lo, s22
	s_and_saveexec_b32 s22, s13
	s_delay_alu instid0(SALU_CYCLE_1)
	s_xor_b32 s22, exec_lo, s22
	s_cbranch_execnz .LBB16_184
.LBB16_94:                              ;   in Loop: Header=BB16_4 Depth=1
	s_and_not1_saveexec_b32 s22, s22
	s_cbranch_execnz .LBB16_185
.LBB16_95:                              ;   in Loop: Header=BB16_4 Depth=1
	s_or_b32 exec_lo, exec_lo, s22
	s_and_saveexec_b32 s22, s16
	s_delay_alu instid0(SALU_CYCLE_1)
	s_xor_b32 s22, exec_lo, s22
	s_cbranch_execnz .LBB16_186
.LBB16_96:                              ;   in Loop: Header=BB16_4 Depth=1
	s_and_not1_saveexec_b32 s22, s22
	s_cbranch_execnz .LBB16_187
.LBB16_97:                              ;   in Loop: Header=BB16_4 Depth=1
	s_or_b32 exec_lo, exec_lo, s22
	s_and_saveexec_b32 s22, s17
	s_delay_alu instid0(SALU_CYCLE_1)
	s_xor_b32 s22, exec_lo, s22
	s_cbranch_execnz .LBB16_188
.LBB16_98:                              ;   in Loop: Header=BB16_4 Depth=1
	s_and_not1_saveexec_b32 s22, s22
	s_cbranch_execz .LBB16_100
.LBB16_99:                              ;   in Loop: Header=BB16_4 Depth=1
	v_add_nc_u64_e32 v[4:5], s[58:59], v[12:13]
	global_load_b128 v[16:19], v[4:5], off
	s_wait_loadcnt 0x0
	s_set_vgpr_msb 1                        ;  msbs: dst=0 src0=1 src1=0 src2=0
	ds_store_2addr_b64 v28 /*v284*/, v[16:17], v[18:19] offset1:1
.LBB16_100:                             ;   in Loop: Header=BB16_4 Depth=1
	s_wait_xcnt 0x0
	s_or_b32 exec_lo, exec_lo, s22
	s_set_vgpr_msb 0                        ;  msbs: dst=0 src0=0 src1=0 src2=0
	v_mov_b32_e32 v227, v2
	s_mov_b32 s22, 0
	s_delay_alu instid0(VALU_DEP_1) | instskip(NEXT) | instid1(VALU_DEP_1)
	v_add_nc_u64_e32 v[4:5], v[12:13], v[226:227]
	v_lshl_add_u64 v[4:5], s[68:69], 4, v[4:5]
	s_delay_alu instid0(VALU_DEP_1) | instskip(NEXT) | instid1(VALU_DEP_1)
	v_add_nc_u64_e32 v[4:5], 16, v[4:5]
	v_dual_cndmask_b32 v5, v5, v11, s1 :: v_dual_cndmask_b32 v4, v4, v10, s1
.LBB16_101:                             ;   in Loop: Header=BB16_4 Depth=1
	s_and_b32 vcc_lo, exec_lo, s22
	s_cbranch_vccz .LBB16_103
; %bb.102:                              ;   in Loop: Header=BB16_4 Depth=1
	v_add_nc_u64_e32 v[4:5], s[50:51], v[14:15]
	s_delay_alu instid0(VALU_DEP_1) | instskip(NEXT) | instid1(VALU_DEP_1)
	v_add_nc_u64_e32 v[20:21], s[50:51], v[4:5]
	v_add_nc_u64_e32 v[24:25], s[50:51], v[20:21]
	s_clause 0x3
	global_load_b128 v[12:15], v[10:11], off
	global_load_b128 v[16:19], v[4:5], off offset:-512
	global_load_b128 v[20:23], v[20:21], off offset:-512
	;; [unrolled: 1-line block ×3, first 2 shown]
	s_wait_xcnt 0x2
	v_mov_b64_e32 v[4:5], v[10:11]
	s_wait_loadcnt 0x3
	s_set_vgpr_msb 1                        ;  msbs: dst=0 src0=1 src1=0 src2=0
	ds_store_2addr_b64 v7 /*v263*/, v[12:13], v[14:15] offset1:1
	s_wait_loadcnt 0x2
	ds_store_2addr_b64 v26 /*v282*/, v[16:17], v[18:19] offset1:1
	s_wait_loadcnt 0x1
	;; [unrolled: 2-line block ×3, first 2 shown]
	ds_store_2addr_b64 v28 /*v284*/, v[24:25], v[26:27] offset1:1
.LBB16_103:                             ;   in Loop: Header=BB16_4 Depth=1
	s_set_vgpr_msb 5                        ;  msbs: dst=0 src0=1 src1=1 src2=0
	v_dual_add_nc_u32 v3, v15 /*v271*/, v18 /*v274*/ :: v_dual_add_nc_u32 v14, v16 /*v272*/, v18 /*v274*/
	s_wait_dscnt 0x0
	s_barrier_signal -1
	s_barrier_wait -1
	s_set_vgpr_msb 0                        ;  msbs: dst=0 src0=0 src1=0 src2=0
	ds_load_b128 v[10:13], v3
	ds_load_b128 v[14:17], v14
	s_wait_xcnt 0x1
	s_set_vgpr_msb 1                        ;  msbs: dst=0 src0=1 src1=0 src2=0
	ds_load_b128 v[18:21], v23 /*v279*/ offset:128
	s_wait_xcnt 0x0
	ds_load_b128 v[22:25], v22 /*v278*/ offset:128
	ds_load_b128 v[26:29], v22 /*v278*/ offset:256
	;; [unrolled: 1-line block ×3, first 2 shown]
	s_wait_dscnt 0x2
	s_set_vgpr_msb 0                        ;  msbs: dst=0 src0=0 src1=0 src2=0
	v_mul_f64_e32 v[36:37], v[24:25], v[20:21]
	v_mul_f64_e32 v[34:35], v[12:13], v[16:17]
	;; [unrolled: 1-line block ×4, first 2 shown]
	s_delay_alu instid0(VALU_DEP_4) | instskip(NEXT) | instid1(VALU_DEP_4)
	v_fmac_f64_e32 v[36:37], v[22:23], v[18:19]
	v_fmac_f64_e32 v[34:35], v[10:11], v[14:15]
	s_delay_alu instid0(VALU_DEP_4)
	v_fma_f64 v[38:39], v[10:11], v[16:17], -v[12:13]
	s_set_vgpr_msb 1                        ;  msbs: dst=0 src0=1 src1=0 src2=0
	ds_load_b128 v[10:13], v23 /*v279*/ offset:256
	ds_load_b128 v[14:17], v23 /*v279*/ offset:384
	s_set_vgpr_msb 0                        ;  msbs: dst=0 src0=0 src1=0 src2=0
	v_fma_f64 v[18:19], v[22:23], v[20:21], -v[24:25]
	s_wait_dscnt 0x1
	v_mul_f64_e32 v[40:41], v[28:29], v[12:13]
	v_mul_f64_e32 v[28:29], v[28:29], v[10:11]
	s_wait_dscnt 0x0
	v_mul_f64_e32 v[24:25], v[32:33], v[16:17]
	v_mul_f64_e32 v[32:33], v[32:33], v[14:15]
	v_add_f64_e32 v[20:21], 0, v[34:35]
	v_add_f64_e32 v[22:23], 0, v[38:39]
	v_fmac_f64_e32 v[40:41], v[26:27], v[10:11]
	v_fma_f64 v[10:11], v[26:27], v[12:13], -v[28:29]
	v_fmac_f64_e32 v[24:25], v[30:31], v[14:15]
	v_fma_f64 v[14:15], v[30:31], v[16:17], -v[32:33]
	v_add_f64_e32 v[12:13], v[20:21], v[36:37]
	v_add_f64_e32 v[18:19], v[22:23], v[18:19]
	s_delay_alu instid0(VALU_DEP_2) | instskip(NEXT) | instid1(VALU_DEP_2)
	v_add_f64_e32 v[12:13], v[12:13], v[40:41]
	v_add_f64_e32 v[10:11], v[18:19], v[10:11]
	s_delay_alu instid0(VALU_DEP_2) | instskip(NEXT) | instid1(VALU_DEP_2)
	v_add_f64_e32 v[44:45], v[12:13], v[24:25]
	v_add_f64_e32 v[46:47], v[10:11], v[14:15]
	s_set_vgpr_msb 1                        ;  msbs: dst=0 src0=1 src1=0 src2=0
	ds_load_b128 v[34:37], v16 /*v272*/ offset:512
	ds_load_b128 v[26:29], v16 /*v272*/ offset:528
	;; [unrolled: 1-line block ×4, first 2 shown]
	ds_load_b128 v[38:41], v12 /*v268*/
	ds_load_b128 v[30:33], v13 /*v269*/
	ds_load_b128 v[22:25], v13 /*v269*/ offset:528
	ds_load_b128 v[18:21], v13 /*v269*/ offset:1056
	s_wait_dscnt 0x0
	s_barrier_signal -1
	s_barrier_wait -1
	ds_store_b128 v22 /*v278*/, v[44:47]
	s_wait_dscnt 0x0
	s_barrier_signal -1
	s_barrier_wait -1
	s_and_saveexec_b32 s22, s21
	s_set_vgpr_msb 0                        ;  msbs: dst=0 src0=0 src1=0 src2=0
	s_cbranch_execz .LBB16_105
; %bb.104:                              ;   in Loop: Header=BB16_4 Depth=1
	s_set_vgpr_msb 1                        ;  msbs: dst=0 src0=1 src1=0 src2=0
	ds_load_b128 v[44:47], v17 /*v273*/
	ds_load_b128 v[48:51], v17 /*v273*/ offset:16
	s_wait_dscnt 0x1
	s_set_vgpr_msb 0                        ;  msbs: dst=0 src0=0 src1=0 src2=0
	v_add_f64_e32 v[6:7], v[6:7], v[44:45]
	v_add_f64_e32 v[8:9], v[8:9], v[46:47]
	s_wait_dscnt 0x0
	s_delay_alu instid0(VALU_DEP_2) | instskip(NEXT) | instid1(VALU_DEP_2)
	v_add_f64_e32 v[48:49], v[6:7], v[48:49]
	v_add_f64_e32 v[50:51], v[8:9], v[50:51]
	s_set_vgpr_msb 1                        ;  msbs: dst=0 src0=1 src1=0 src2=0
	ds_load_b128 v[6:9], v17 /*v273*/ offset:32
	ds_load_b128 v[44:47], v17 /*v273*/ offset:48
	s_wait_dscnt 0x1
	s_set_vgpr_msb 0                        ;  msbs: dst=0 src0=0 src1=0 src2=0
	v_add_f64_e32 v[6:7], v[48:49], v[6:7]
	v_add_f64_e32 v[8:9], v[50:51], v[8:9]
	s_wait_dscnt 0x0
	s_delay_alu instid0(VALU_DEP_2) | instskip(NEXT) | instid1(VALU_DEP_2)
	v_add_f64_e32 v[48:49], v[6:7], v[44:45]
	v_add_f64_e32 v[50:51], v[8:9], v[46:47]
	s_set_vgpr_msb 1                        ;  msbs: dst=0 src0=1 src1=0 src2=0
	ds_load_b128 v[6:9], v17 /*v273*/ offset:64
	;; [unrolled: 11-line block ×3, first 2 shown]
	ds_load_b128 v[44:47], v17 /*v273*/ offset:112
	s_wait_dscnt 0x1
	s_set_vgpr_msb 0                        ;  msbs: dst=0 src0=0 src1=0 src2=0
	v_add_f64_e32 v[6:7], v[48:49], v[6:7]
	v_add_f64_e32 v[8:9], v[50:51], v[8:9]
	s_wait_dscnt 0x0
	s_delay_alu instid0(VALU_DEP_2) | instskip(NEXT) | instid1(VALU_DEP_2)
	v_add_f64_e32 v[6:7], v[6:7], v[44:45]
	v_add_f64_e32 v[8:9], v[8:9], v[46:47]
.LBB16_105:                             ;   in Loop: Header=BB16_4 Depth=1
	s_or_b32 exec_lo, exec_lo, s22
	v_mul_f64_e32 v[44:45], v[36:37], v[40:41]
	v_mul_f64_e32 v[40:41], v[34:35], v[40:41]
	v_mul_f64_e32 v[46:47], v[28:29], v[32:33]
	v_mul_f64_e32 v[32:33], v[26:27], v[32:33]
	s_barrier_signal -1
	s_barrier_wait -1
	s_delay_alu instid0(VALU_DEP_4) | instskip(NEXT) | instid1(VALU_DEP_4)
	v_fma_f64 v[34:35], v[34:35], v[38:39], -v[44:45]
	v_fmac_f64_e32 v[40:41], v[36:37], v[38:39]
	v_mul_f64_e32 v[36:37], v[16:17], v[24:25]
	v_mul_f64_e32 v[24:25], v[14:15], v[24:25]
	v_fma_f64 v[26:27], v[26:27], v[30:31], -v[46:47]
	v_fmac_f64_e32 v[32:33], v[28:29], v[30:31]
	v_add_f64_e32 v[28:29], 0, v[34:35]
	v_add_f64_e32 v[30:31], 0, v[40:41]
	v_mul_f64_e32 v[34:35], v[12:13], v[20:21]
	v_mul_f64_e32 v[20:21], v[10:11], v[20:21]
	v_fma_f64 v[14:15], v[14:15], v[22:23], -v[36:37]
	v_fmac_f64_e32 v[24:25], v[16:17], v[22:23]
	v_add_f64_e32 v[16:17], v[28:29], v[26:27]
	v_add_f64_e32 v[22:23], v[30:31], v[32:33]
	v_fma_f64 v[10:11], v[10:11], v[18:19], -v[34:35]
	v_fmac_f64_e32 v[20:21], v[12:13], v[18:19]
	s_delay_alu instid0(VALU_DEP_4) | instskip(NEXT) | instid1(VALU_DEP_4)
	v_add_f64_e32 v[12:13], v[16:17], v[14:15]
	v_add_f64_e32 v[14:15], v[22:23], v[24:25]
	s_delay_alu instid0(VALU_DEP_2) | instskip(NEXT) | instid1(VALU_DEP_2)
	v_add_f64_e32 v[10:11], v[12:13], v[10:11]
	v_add_f64_e32 v[12:13], v[14:15], v[20:21]
	s_set_vgpr_msb 1                        ;  msbs: dst=0 src0=1 src1=0 src2=0
	ds_store_b128 v22 /*v278*/, v[10:13]
	s_wait_dscnt 0x0
	s_barrier_signal -1
	s_barrier_wait -1
	s_and_saveexec_b32 s22, s15
	s_set_vgpr_msb 0                        ;  msbs: dst=0 src0=0 src1=0 src2=0
	s_cbranch_execz .LBB16_107
; %bb.106:                              ;   in Loop: Header=BB16_4 Depth=1
	s_set_vgpr_msb 1                        ;  msbs: dst=0 src0=1 src1=0 src2=0
	ds_load_b128 v[10:13], v17 /*v273*/
	ds_load_b128 v[14:17], v17 /*v273*/ offset:16
	s_wait_dscnt 0x1
	s_set_vgpr_msb 0                        ;  msbs: dst=0 src0=0 src1=0 src2=0
	v_add_f64_e32 v[6:7], v[6:7], v[10:11]
	v_add_f64_e32 v[8:9], v[8:9], v[12:13]
	s_wait_dscnt 0x0
	s_delay_alu instid0(VALU_DEP_2) | instskip(NEXT) | instid1(VALU_DEP_2)
	v_add_f64_e32 v[14:15], v[6:7], v[14:15]
	v_add_f64_e32 v[16:17], v[8:9], v[16:17]
	s_set_vgpr_msb 1                        ;  msbs: dst=0 src0=1 src1=0 src2=0
	ds_load_b128 v[6:9], v17 /*v273*/ offset:32
	ds_load_b128 v[10:13], v17 /*v273*/ offset:48
	s_wait_dscnt 0x1
	s_set_vgpr_msb 0                        ;  msbs: dst=0 src0=0 src1=0 src2=0
	v_add_f64_e32 v[6:7], v[14:15], v[6:7]
	v_add_f64_e32 v[8:9], v[16:17], v[8:9]
	s_wait_dscnt 0x0
	s_delay_alu instid0(VALU_DEP_2) | instskip(NEXT) | instid1(VALU_DEP_2)
	v_add_f64_e32 v[14:15], v[6:7], v[10:11]
	v_add_f64_e32 v[16:17], v[8:9], v[12:13]
	s_set_vgpr_msb 1                        ;  msbs: dst=0 src0=1 src1=0 src2=0
	ds_load_b128 v[6:9], v17 /*v273*/ offset:64
	;; [unrolled: 11-line block ×3, first 2 shown]
	ds_load_b128 v[10:13], v17 /*v273*/ offset:112
	s_wait_dscnt 0x1
	s_set_vgpr_msb 0                        ;  msbs: dst=0 src0=0 src1=0 src2=0
	v_add_f64_e32 v[6:7], v[14:15], v[6:7]
	v_add_f64_e32 v[8:9], v[16:17], v[8:9]
	s_wait_dscnt 0x0
	s_delay_alu instid0(VALU_DEP_2) | instskip(NEXT) | instid1(VALU_DEP_2)
	v_add_f64_e32 v[6:7], v[6:7], v[10:11]
	v_add_f64_e32 v[8:9], v[8:9], v[12:13]
.LBB16_107:                             ;   in Loop: Header=BB16_4 Depth=1
	s_or_b32 exec_lo, exec_lo, s22
	s_mul_u64 s[22:23], s[40:41], s[34:35]
	s_and_not1_b32 vcc_lo, exec_lo, s53
	s_lshl_b64 s[22:23], s[22:23], 4
	s_delay_alu instid0(SALU_CYCLE_1)
	s_add_nc_u64 s[22:23], s[48:49], s[22:23]
	s_barrier_signal -1
	s_barrier_wait -1
	s_cbranch_vccnz .LBB16_165
; %bb.108:                              ;   in Loop: Header=BB16_4 Depth=1
	v_add_nc_u64_e32 v[228:229], v[4:5], v[194:195]
	v_add_nc_u64_e32 v[230:231], v[4:5], v[196:197]
	v_add_nc_u64_e32 v[232:233], v[4:5], v[198:199]
	v_add_nc_u64_e32 v[234:235], v[4:5], v[200:201]
	v_add_nc_u64_e32 v[236:237], v[4:5], v[202:203]
	v_add_nc_u64_e32 v[238:239], v[4:5], v[204:205]
	v_add_nc_u64_e32 v[240:241], v[4:5], v[206:207]
	v_add_nc_u64_e32 v[242:243], v[4:5], v[208:209]
	v_add_nc_u64_e32 v[244:245], v[4:5], v[210:211]
	v_add_nc_u64_e32 v[246:247], v[4:5], v[212:213]
	v_add_nc_u64_e32 v[248:249], v[4:5], v[214:215]
	v_add_nc_u64_e32 v[250:251], v[4:5], v[216:217]
	v_add_nc_u64_e32 v[252:253], v[4:5], v[218:219]
	v_add_nc_u64_e32 v[254:255], v[4:5], v[220:221]
	s_set_vgpr_msb 64                       ;  msbs: dst=1 src0=0 src1=0 src2=0
	v_add_nc_u64_e32 v[0:1] /*v[256:257]*/, v[4:5], v[222:223]
	v_add_nc_u64_e32 v[2:3] /*v[258:259]*/, v[4:5], v[224:225]
	v_lshl_add_u64 v[4:5] /*v[260:261]*/, s[62:63], 4, v[42:43]
	s_mov_b32 s70, s76
	s_mov_b32 s77, s54
	s_delay_alu instid0(SALU_CYCLE_1)
	s_cmp_eq_u32 s55, s77
	s_cselect_b32 s78, s72, 0
	s_and_saveexec_b32 s79, s0
	s_set_vgpr_msb 0                        ;  msbs: dst=0 src0=0 src1=0 src2=0
	s_cbranch_execz .LBB16_113
.LBB16_109:                             ;   in Loop: Header=BB16_4 Depth=1
	s_set_vgpr_msb 4                        ;  msbs: dst=0 src0=0 src1=1 src2=0
	v_cmp_le_i32_e32 vcc_lo, s78, v6 /*v262*/
	s_cmp_lg_u32 s78, 0
	s_cselect_b32 s71, -1, 0
	s_delay_alu instid0(SALU_CYCLE_1) | instskip(NEXT) | instid1(SALU_CYCLE_1)
	s_and_b32 s71, s71, vcc_lo
	s_and_saveexec_b32 s80, s71
	s_delay_alu instid0(SALU_CYCLE_1)
	s_xor_b32 s71, exec_lo, s80
; %bb.110:                              ;   in Loop: Header=BB16_4 Depth=1
	v_dual_mov_b32 v3, v2 :: v_dual_mov_b32 v4, v2
	v_mov_b32_e32 v5, v2
	s_set_vgpr_msb 1                        ;  msbs: dst=0 src0=1 src1=0 src2=0
	ds_store_b128 v32 /*v288*/, v[2:5]
; %bb.111:                              ;   in Loop: Header=BB16_4 Depth=1
	s_and_not1_saveexec_b32 s71, s71
	s_set_vgpr_msb 0                        ;  msbs: dst=0 src0=0 src1=0 src2=0
	s_cbranch_execz .LBB16_113
; %bb.112:                              ;   in Loop: Header=BB16_4 Depth=1
	s_ashr_i32 s71, s70, 31
	s_delay_alu instid0(SALU_CYCLE_1)
	s_mul_u64 s[80:81], s[24:25], s[70:71]
	s_set_vgpr_msb 16                       ;  msbs: dst=0 src0=0 src1=0 src2=1
	v_lshl_add_u64 v[4:5], s[80:81], 4, v[4:5] /*v[260:261]*/
	global_load_b128 v[10:13], v[4:5], off
	s_wait_loadcnt 0x0
	s_set_vgpr_msb 1                        ;  msbs: dst=0 src0=1 src1=0 src2=0
	ds_store_2addr_b64 v32 /*v288*/, v[10:11], v[12:13] offset1:1
.LBB16_113:                             ;   Parent Loop BB16_4 Depth=1
                                        ; =>  This Inner Loop Header: Depth=2
	s_wait_xcnt 0x0
	s_or_b32 exec_lo, exec_lo, s79
	s_cmp_eq_u32 s78, 0
	s_set_vgpr_msb 0                        ;  msbs: dst=0 src0=0 src1=0 src2=0
	v_add_nc_u64_e32 v[4:5], v[228:229], v[186:187]
	s_cselect_b32 s71, -1, 0
	s_cmp_lg_u32 s78, 0
	s_wait_dscnt 0x0
	s_cselect_b32 s79, -1, 0
	s_barrier_signal -1
	s_and_b32 vcc_lo, exec_lo, s79
	s_barrier_wait -1
	s_cbranch_vccz .LBB16_121
; %bb.114:                              ;   in Loop: Header=BB16_113 Depth=2
	v_mov_b64_e32 v[10:11], 0
	v_mov_b64_e32 v[14:15], 0
	;; [unrolled: 1-line block ×3, first 2 shown]
	s_mov_b32 s80, exec_lo
	s_set_vgpr_msb 4                        ;  msbs: dst=0 src0=0 src1=1 src2=0
	v_cmpx_gt_i32_e64 s78, v19 /*v275*/
	s_set_vgpr_msb 0                        ;  msbs: dst=0 src0=0 src1=0 src2=0
	s_cbranch_execz .LBB16_116
; %bb.115:                              ;   in Loop: Header=BB16_113 Depth=2
	global_load_b128 v[14:17], v[4:5], off offset:-8
.LBB16_116:                             ;   in Loop: Header=BB16_113 Depth=2
	s_wait_xcnt 0x0
	s_or_b32 exec_lo, exec_lo, s80
	v_mov_b64_e32 v[12:13], 0
	s_mov_b32 s80, exec_lo
	s_set_vgpr_msb 4                        ;  msbs: dst=0 src0=0 src1=1 src2=0
	v_cmpx_gt_i32_e64 s78, v33 /*v289*/
	s_set_vgpr_msb 0                        ;  msbs: dst=0 src0=0 src1=0 src2=0
	s_cbranch_execz .LBB16_118
; %bb.117:                              ;   in Loop: Header=BB16_113 Depth=2
	v_add_nc_u64_e32 v[10:11], v[236:237], v[186:187]
	global_load_b128 v[10:13], v[10:11], off offset:-8
.LBB16_118:                             ;   in Loop: Header=BB16_113 Depth=2
	s_wait_xcnt 0x0
	s_or_b32 exec_lo, exec_lo, s80
	v_mov_b64_e32 v[18:19], 0
	v_mov_b64_e32 v[20:21], 0
	s_mov_b32 s80, exec_lo
	s_set_vgpr_msb 4                        ;  msbs: dst=0 src0=0 src1=1 src2=0
	v_cmpx_gt_i32_e64 s78, v34 /*v290*/
	s_set_vgpr_msb 0                        ;  msbs: dst=0 src0=0 src1=0 src2=0
	s_cbranch_execz .LBB16_120
; %bb.119:                              ;   in Loop: Header=BB16_113 Depth=2
	v_add_nc_u64_e32 v[18:19], v[232:233], v[186:187]
	global_load_b128 v[18:21], v[18:19], off
.LBB16_120:                             ;   in Loop: Header=BB16_113 Depth=2
	s_wait_xcnt 0x0
	s_or_b32 exec_lo, exec_lo, s80
	s_set_vgpr_msb 4                        ;  msbs: dst=0 src0=0 src1=1 src2=0
	v_cmp_gt_i32_e64 s80, s78, v35 /*v291*/
	s_set_vgpr_msb 0                        ;  msbs: dst=0 src0=0 src1=0 src2=0
	s_branch .LBB16_123
.LBB16_121:                             ;   in Loop: Header=BB16_113 Depth=2
	s_mov_b32 s80, 0
                                        ; implicit-def: $vgpr20_vgpr21
                                        ; implicit-def: $vgpr12_vgpr13
                                        ; implicit-def: $vgpr16_vgpr17
	s_cbranch_execz .LBB16_123
; %bb.122:                              ;   in Loop: Header=BB16_113 Depth=2
	s_wait_loadcnt 0x0
	v_add_nc_u64_e32 v[10:11], v[236:237], v[186:187]
	v_add_nc_u64_e32 v[18:19], v[232:233], v[186:187]
	s_or_b32 s80, s80, exec_lo
	global_load_b128 v[14:17], v[4:5], off offset:-8
	global_load_b128 v[10:13], v[10:11], off offset:-8
	global_load_b128 v[18:21], v[18:19], off
.LBB16_123:                             ;   in Loop: Header=BB16_113 Depth=2
	v_mov_b64_e32 v[22:23], 0
	v_mov_b64_e32 v[24:25], 0
	s_wait_xcnt 0x0
	s_and_saveexec_b32 s81, s80
	s_cbranch_execz .LBB16_125
; %bb.124:                              ;   in Loop: Header=BB16_113 Depth=2
	v_add_nc_u64_e32 v[4:5], v[240:241], v[186:187]
	global_load_b128 v[22:25], v[4:5], off offset:-8
.LBB16_125:                             ;   in Loop: Header=BB16_113 Depth=2
	s_wait_xcnt 0x0
	s_or_b32 exec_lo, exec_lo, s81
	s_set_vgpr_msb 1                        ;  msbs: dst=0 src0=1 src1=0 src2=0
	ds_load_b128 v[30:33], v25 /*v281*/
	ds_load_b128 v[26:29], v8 /*v264*/
	v_cndmask_b32_e64 v3, 0, 1, s79
	s_and_not1_b32 vcc_lo, exec_lo, s79
	s_wait_loadcnt_dscnt 0x1
	s_set_vgpr_msb 0                        ;  msbs: dst=0 src0=0 src1=0 src2=0
	v_mul_f64_e32 v[42:43], v[16:17], v[32:33]
	v_mul_f64_e32 v[4:5], v[16:17], v[30:31]
	;; [unrolled: 1-line block ×8, first 2 shown]
	v_fmac_f64_e32 v[42:43], v[14:15], v[30:31]
	v_fma_f64 v[44:45], v[14:15], v[32:33], -v[4:5]
	v_fmac_f64_e32 v[46:47], v[10:11], v[30:31]
	v_fma_f64 v[48:49], v[10:11], v[32:33], -v[34:35]
	;; [unrolled: 2-line block ×4, first 2 shown]
	s_set_vgpr_msb 1                        ;  msbs: dst=0 src0=1 src1=0 src2=0
	ds_load_b128 v[38:41], v8 /*v264*/ offset:16
	ds_load_b128 v[34:37], v8 /*v264*/ offset:32
	;; [unrolled: 1-line block ×3, first 2 shown]
	s_set_vgpr_msb 0                        ;  msbs: dst=0 src0=0 src1=0 src2=0
	v_add_nc_u64_e32 v[4:5], v[244:245], v[186:187]
	s_set_vgpr_msb 1                        ;  msbs: dst=0 src0=1 src1=0 src2=0
	ds_store_b128 v20 /*v276*/, v[42:45]
	ds_store_b128 v20 /*v276*/, v[46:49] offset:1072
	ds_store_b128 v20 /*v276*/, v[50:53] offset:2144
	;; [unrolled: 1-line block ×3, first 2 shown]
	s_wait_dscnt 0x0
	s_barrier_signal -1
	s_barrier_wait -1
	ds_load_b128 v[98:101], v9 /*v265*/
	ds_load_b128 v[94:97], v9 /*v265*/ offset:16
	ds_load_b128 v[90:93], v9 /*v265*/ offset:32
	;; [unrolled: 1-line block ×3, first 2 shown]
	s_wait_dscnt 0x0
	s_barrier_signal -1
	s_barrier_wait -1
	s_set_vgpr_msb 0                        ;  msbs: dst=0 src0=0 src1=0 src2=0
	s_cbranch_vccnz .LBB16_133
; %bb.126:                              ;   in Loop: Header=BB16_113 Depth=2
	v_mov_b64_e32 v[42:43], 0
	v_mov_b64_e32 v[46:47], 0
	;; [unrolled: 1-line block ×3, first 2 shown]
	s_mov_b32 s79, exec_lo
	s_set_vgpr_msb 4                        ;  msbs: dst=0 src0=0 src1=1 src2=0
	v_cmpx_gt_i32_e64 s78, v36 /*v292*/
	s_set_vgpr_msb 0                        ;  msbs: dst=0 src0=0 src1=0 src2=0
	s_cbranch_execz .LBB16_128
; %bb.127:                              ;   in Loop: Header=BB16_113 Depth=2
	global_load_b128 v[46:49], v[4:5], off offset:-8
.LBB16_128:                             ;   in Loop: Header=BB16_113 Depth=2
	s_wait_xcnt 0x0
	s_or_b32 exec_lo, exec_lo, s79
	v_mov_b64_e32 v[44:45], 0
	s_mov_b32 s79, exec_lo
	s_set_vgpr_msb 4                        ;  msbs: dst=0 src0=0 src1=1 src2=0
	v_cmpx_gt_i32_e64 s78, v37 /*v293*/
	s_set_vgpr_msb 0                        ;  msbs: dst=0 src0=0 src1=0 src2=0
	s_cbranch_execz .LBB16_130
; %bb.129:                              ;   in Loop: Header=BB16_113 Depth=2
	v_add_nc_u64_e32 v[42:43], v[248:249], v[186:187]
	global_load_b128 v[42:45], v[42:43], off offset:-8
.LBB16_130:                             ;   in Loop: Header=BB16_113 Depth=2
	s_wait_xcnt 0x0
	s_or_b32 exec_lo, exec_lo, s79
	v_mov_b64_e32 v[50:51], 0
	v_mov_b64_e32 v[52:53], 0
	s_mov_b32 s79, exec_lo
	s_set_vgpr_msb 4                        ;  msbs: dst=0 src0=0 src1=1 src2=0
	v_cmpx_gt_i32_e64 s78, v38 /*v294*/
	s_set_vgpr_msb 0                        ;  msbs: dst=0 src0=0 src1=0 src2=0
	s_cbranch_execz .LBB16_132
; %bb.131:                              ;   in Loop: Header=BB16_113 Depth=2
	v_add_nc_u64_e32 v[50:51], v[252:253], v[186:187]
	global_load_b128 v[50:53], v[50:51], off offset:-8
.LBB16_132:                             ;   in Loop: Header=BB16_113 Depth=2
	s_wait_xcnt 0x0
	s_or_b32 exec_lo, exec_lo, s79
	s_set_vgpr_msb 4                        ;  msbs: dst=0 src0=0 src1=1 src2=0
	v_cmp_gt_i32_e64 s79, s78, v39 /*v295*/
	s_set_vgpr_msb 0                        ;  msbs: dst=0 src0=0 src1=0 src2=0
	s_branch .LBB16_135
.LBB16_133:                             ;   in Loop: Header=BB16_113 Depth=2
	s_mov_b32 s79, 0
                                        ; implicit-def: $vgpr52_vgpr53
                                        ; implicit-def: $vgpr44_vgpr45
                                        ; implicit-def: $vgpr48_vgpr49
	s_cbranch_execz .LBB16_135
; %bb.134:                              ;   in Loop: Header=BB16_113 Depth=2
	s_wait_loadcnt 0x0
	v_add_nc_u64_e32 v[42:43], v[248:249], v[186:187]
	v_add_nc_u64_e32 v[50:51], v[252:253], v[186:187]
	s_or_b32 s79, s79, exec_lo
	global_load_b128 v[46:49], v[4:5], off offset:-8
	global_load_b128 v[42:45], v[42:43], off offset:-8
	;; [unrolled: 1-line block ×3, first 2 shown]
.LBB16_135:                             ;   in Loop: Header=BB16_113 Depth=2
	v_mov_b64_e32 v[54:55], 0
	v_mov_b64_e32 v[56:57], 0
	s_wait_xcnt 0x0
	s_and_saveexec_b32 s80, s79
	s_cbranch_execz .LBB16_137
; %bb.136:                              ;   in Loop: Header=BB16_113 Depth=2
	s_set_vgpr_msb 1                        ;  msbs: dst=0 src0=1 src1=0 src2=0
	v_add_nc_u64_e32 v[4:5], v[0:1] /*v[256:257]*/, v[186:187]
	s_set_vgpr_msb 0                        ;  msbs: dst=0 src0=0 src1=0 src2=0
	global_load_b128 v[54:57], v[4:5], off offset:-8
.LBB16_137:                             ;   in Loop: Header=BB16_113 Depth=2
	s_wait_xcnt 0x0
	s_or_b32 exec_lo, exec_lo, s80
	s_set_vgpr_msb 1                        ;  msbs: dst=0 src0=1 src1=0 src2=0
	ds_load_b128 v[62:65], v25 /*v281*/
	ds_load_b128 v[58:61], v8 /*v264*/ offset:256
	v_cmp_ne_u32_e32 vcc_lo, 1, v3
	s_and_b32 vcc_lo, exec_lo, vcc_lo
	s_wait_loadcnt_dscnt 0x1
	s_set_vgpr_msb 0                        ;  msbs: dst=0 src0=0 src1=0 src2=0
	v_mul_f64_e32 v[70:71], v[48:49], v[64:65]
	v_mul_f64_e32 v[4:5], v[48:49], v[62:63]
	;; [unrolled: 1-line block ×8, first 2 shown]
	v_fmac_f64_e32 v[70:71], v[46:47], v[62:63]
	v_fma_f64 v[72:73], v[46:47], v[64:65], -v[4:5]
	v_fmac_f64_e32 v[78:79], v[42:43], v[62:63]
	v_fma_f64 v[80:81], v[42:43], v[64:65], -v[66:67]
	;; [unrolled: 2-line block ×4, first 2 shown]
	s_set_vgpr_msb 1                        ;  msbs: dst=0 src0=1 src1=0 src2=0
	ds_load_b128 v[74:77], v8 /*v264*/ offset:272
	ds_load_b128 v[66:69], v8 /*v264*/ offset:288
	;; [unrolled: 1-line block ×3, first 2 shown]
	v_add_nc_u64_e32 v[4:5], v[2:3] /*v[258:259]*/, v[186:187]
	ds_store_b128 v20 /*v276*/, v[70:73]
	ds_store_b128 v20 /*v276*/, v[78:81] offset:1072
	ds_store_b128 v20 /*v276*/, v[82:85] offset:2144
	;; [unrolled: 1-line block ×3, first 2 shown]
	s_wait_dscnt 0x0
	s_barrier_signal -1
	s_barrier_wait -1
	ds_load_b128 v[150:153], v9 /*v265*/
	ds_load_b128 v[146:149], v9 /*v265*/ offset:16
	ds_load_b128 v[138:141], v9 /*v265*/ offset:32
	;; [unrolled: 1-line block ×3, first 2 shown]
	s_wait_dscnt 0x0
	s_barrier_signal -1
	s_barrier_wait -1
	s_set_vgpr_msb 0                        ;  msbs: dst=0 src0=0 src1=0 src2=0
	s_cbranch_vccnz .LBB16_145
; %bb.138:                              ;   in Loop: Header=BB16_113 Depth=2
	v_mov_b64_e32 v[70:71], 0
	v_mov_b64_e32 v[78:79], 0
	;; [unrolled: 1-line block ×3, first 2 shown]
	s_mov_b32 s79, exec_lo
	s_set_vgpr_msb 4                        ;  msbs: dst=0 src0=0 src1=1 src2=0
	v_cmpx_gt_i32_e64 s78, v40 /*v296*/
	s_set_vgpr_msb 0                        ;  msbs: dst=0 src0=0 src1=0 src2=0
	s_cbranch_execz .LBB16_140
; %bb.139:                              ;   in Loop: Header=BB16_113 Depth=2
	global_load_b128 v[78:81], v[4:5], off offset:-8
.LBB16_140:                             ;   in Loop: Header=BB16_113 Depth=2
	s_wait_xcnt 0x0
	s_or_b32 exec_lo, exec_lo, s79
	v_mov_b64_e32 v[72:73], 0
	s_mov_b32 s79, exec_lo
	s_set_vgpr_msb 4                        ;  msbs: dst=0 src0=0 src1=1 src2=0
	v_cmpx_gt_i32_e64 s78, v41 /*v297*/
	s_set_vgpr_msb 0                        ;  msbs: dst=0 src0=0 src1=0 src2=0
	s_cbranch_execz .LBB16_142
; %bb.141:                              ;   in Loop: Header=BB16_113 Depth=2
	v_add_nc_u64_e32 v[70:71], v[254:255], v[186:187]
	global_load_b128 v[70:73], v[70:71], off
.LBB16_142:                             ;   in Loop: Header=BB16_113 Depth=2
	s_wait_xcnt 0x0
	s_or_b32 exec_lo, exec_lo, s79
	v_mov_b64_e32 v[82:83], 0
	v_mov_b64_e32 v[84:85], 0
	s_mov_b32 s79, exec_lo
	s_set_vgpr_msb 4                        ;  msbs: dst=0 src0=0 src1=1 src2=0
	v_cmpx_gt_i32_e64 s78, v42 /*v298*/
	s_set_vgpr_msb 0                        ;  msbs: dst=0 src0=0 src1=0 src2=0
	s_cbranch_execz .LBB16_144
; %bb.143:                              ;   in Loop: Header=BB16_113 Depth=2
	v_add_nc_u64_e32 v[82:83], v[250:251], v[186:187]
	global_load_b128 v[82:85], v[82:83], off
.LBB16_144:                             ;   in Loop: Header=BB16_113 Depth=2
	s_wait_xcnt 0x0
	s_or_b32 exec_lo, exec_lo, s79
	s_set_vgpr_msb 4                        ;  msbs: dst=0 src0=0 src1=1 src2=0
	v_cmp_gt_i32_e64 s79, s78, v43 /*v299*/
	s_set_vgpr_msb 0                        ;  msbs: dst=0 src0=0 src1=0 src2=0
	s_branch .LBB16_147
.LBB16_145:                             ;   in Loop: Header=BB16_113 Depth=2
	s_mov_b32 s79, 0
                                        ; implicit-def: $vgpr84_vgpr85
                                        ; implicit-def: $vgpr72_vgpr73
                                        ; implicit-def: $vgpr80_vgpr81
	s_cbranch_execz .LBB16_147
; %bb.146:                              ;   in Loop: Header=BB16_113 Depth=2
	s_wait_loadcnt 0x0
	v_add_nc_u64_e32 v[70:71], v[254:255], v[186:187]
	v_add_nc_u64_e32 v[82:83], v[250:251], v[186:187]
	s_or_b32 s79, s79, exec_lo
	global_load_b128 v[78:81], v[4:5], off offset:-8
	global_load_b128 v[70:73], v[70:71], off
	global_load_b128 v[82:85], v[82:83], off
.LBB16_147:                             ;   in Loop: Header=BB16_113 Depth=2
	v_mov_b64_e32 v[102:103], 0
	v_mov_b64_e32 v[104:105], 0
	s_wait_xcnt 0x0
	s_and_saveexec_b32 s80, s79
	s_cbranch_execz .LBB16_149
; %bb.148:                              ;   in Loop: Header=BB16_113 Depth=2
	v_add_nc_u64_e32 v[4:5], v[246:247], v[186:187]
	global_load_b128 v[102:105], v[4:5], off
.LBB16_149:                             ;   in Loop: Header=BB16_113 Depth=2
	s_wait_xcnt 0x0
	s_or_b32 exec_lo, exec_lo, s80
	s_set_vgpr_msb 1                        ;  msbs: dst=0 src0=1 src1=0 src2=0
	ds_load_b128 v[106:109], v25 /*v281*/
	v_cmp_ne_u32_e32 vcc_lo, 1, v3
	s_and_b32 vcc_lo, exec_lo, vcc_lo
	s_wait_loadcnt_dscnt 0x0
	s_set_vgpr_msb 0                        ;  msbs: dst=0 src0=0 src1=0 src2=0
	v_mul_f64_e32 v[118:119], v[80:81], v[108:109]
	v_mul_f64_e32 v[4:5], v[80:81], v[106:107]
	;; [unrolled: 1-line block ×8, first 2 shown]
	v_fmac_f64_e32 v[118:119], v[78:79], v[106:107]
	v_fma_f64 v[120:121], v[78:79], v[108:109], -v[4:5]
	v_fmac_f64_e32 v[126:127], v[70:71], v[106:107]
	v_fma_f64 v[128:129], v[70:71], v[108:109], -v[110:111]
	;; [unrolled: 2-line block ×4, first 2 shown]
	s_set_vgpr_msb 1                        ;  msbs: dst=0 src0=1 src1=0 src2=0
	ds_load_b128 v[122:125], v8 /*v264*/ offset:512
	ds_load_b128 v[114:117], v8 /*v264*/ offset:528
	;; [unrolled: 1-line block ×4, first 2 shown]
	s_set_vgpr_msb 0                        ;  msbs: dst=0 src0=0 src1=0 src2=0
	v_add_nc_u64_e32 v[4:5], v[242:243], v[186:187]
	s_set_vgpr_msb 1                        ;  msbs: dst=0 src0=1 src1=0 src2=0
	ds_store_b128 v20 /*v276*/, v[118:121]
	ds_store_b128 v20 /*v276*/, v[126:129] offset:1072
	ds_store_b128 v20 /*v276*/, v[130:133] offset:2144
	ds_store_b128 v20 /*v276*/, v[142:145] offset:3216
	s_wait_dscnt 0x0
	s_barrier_signal -1
	s_barrier_wait -1
	ds_load_b128 v[182:185], v9 /*v265*/
	ds_load_b128 v[178:181], v9 /*v265*/ offset:16
	ds_load_b128 v[174:177], v9 /*v265*/ offset:32
	;; [unrolled: 1-line block ×3, first 2 shown]
	s_wait_dscnt 0x0
	s_barrier_signal -1
	s_barrier_wait -1
	s_set_vgpr_msb 0                        ;  msbs: dst=0 src0=0 src1=0 src2=0
	s_cbranch_vccnz .LBB16_157
; %bb.150:                              ;   in Loop: Header=BB16_113 Depth=2
	v_mov_b64_e32 v[118:119], 0
	v_mov_b64_e32 v[126:127], 0
	v_mov_b64_e32 v[128:129], 0
	s_mov_b32 s79, exec_lo
	s_set_vgpr_msb 4                        ;  msbs: dst=0 src0=0 src1=1 src2=0
	v_cmpx_gt_i32_e64 s78, v44 /*v300*/
	s_set_vgpr_msb 0                        ;  msbs: dst=0 src0=0 src1=0 src2=0
	s_cbranch_execz .LBB16_152
; %bb.151:                              ;   in Loop: Header=BB16_113 Depth=2
	global_load_b128 v[126:129], v[4:5], off
.LBB16_152:                             ;   in Loop: Header=BB16_113 Depth=2
	s_wait_xcnt 0x0
	s_or_b32 exec_lo, exec_lo, s79
	v_mov_b64_e32 v[120:121], 0
	s_mov_b32 s79, exec_lo
	s_set_vgpr_msb 4                        ;  msbs: dst=0 src0=0 src1=1 src2=0
	v_cmpx_gt_i32_e64 s78, v45 /*v301*/
	s_set_vgpr_msb 0                        ;  msbs: dst=0 src0=0 src1=0 src2=0
	s_cbranch_execz .LBB16_154
; %bb.153:                              ;   in Loop: Header=BB16_113 Depth=2
	v_add_nc_u64_e32 v[118:119], v[238:239], v[186:187]
	global_load_b128 v[118:121], v[118:119], off
.LBB16_154:                             ;   in Loop: Header=BB16_113 Depth=2
	s_wait_xcnt 0x0
	s_or_b32 exec_lo, exec_lo, s79
	v_mov_b64_e32 v[130:131], 0
	v_mov_b64_e32 v[132:133], 0
	s_mov_b32 s79, exec_lo
	s_set_vgpr_msb 4                        ;  msbs: dst=0 src0=0 src1=1 src2=0
	v_cmpx_gt_i32_e64 s78, v46 /*v302*/
	s_set_vgpr_msb 0                        ;  msbs: dst=0 src0=0 src1=0 src2=0
	s_cbranch_execz .LBB16_156
; %bb.155:                              ;   in Loop: Header=BB16_113 Depth=2
	v_add_nc_u64_e32 v[130:131], v[234:235], v[186:187]
	global_load_b128 v[130:133], v[130:131], off
.LBB16_156:                             ;   in Loop: Header=BB16_113 Depth=2
	s_wait_xcnt 0x0
	s_or_b32 exec_lo, exec_lo, s79
	s_set_vgpr_msb 4                        ;  msbs: dst=0 src0=0 src1=1 src2=0
	v_cmp_gt_i32_e64 s79, s78, v47 /*v303*/
	s_set_vgpr_msb 0                        ;  msbs: dst=0 src0=0 src1=0 src2=0
	s_branch .LBB16_159
.LBB16_157:                             ;   in Loop: Header=BB16_113 Depth=2
	s_mov_b32 s79, 0
                                        ; implicit-def: $vgpr132_vgpr133
                                        ; implicit-def: $vgpr120_vgpr121
                                        ; implicit-def: $vgpr128_vgpr129
	s_cbranch_execz .LBB16_159
; %bb.158:                              ;   in Loop: Header=BB16_113 Depth=2
	s_wait_loadcnt 0x0
	v_add_nc_u64_e32 v[118:119], v[238:239], v[186:187]
	v_add_nc_u64_e32 v[130:131], v[234:235], v[186:187]
	s_or_b32 s79, s79, exec_lo
	global_load_b128 v[126:129], v[4:5], off
	global_load_b128 v[118:121], v[118:119], off
	;; [unrolled: 1-line block ×3, first 2 shown]
.LBB16_159:                             ;   in Loop: Header=BB16_113 Depth=2
	v_mov_b64_e32 v[142:143], 0
	v_mov_b64_e32 v[144:145], 0
	s_wait_xcnt 0x0
	s_and_saveexec_b32 s80, s79
	s_cbranch_execz .LBB16_161
; %bb.160:                              ;   in Loop: Header=BB16_113 Depth=2
	v_add_nc_u64_e32 v[4:5], v[230:231], v[186:187]
	global_load_b128 v[142:145], v[4:5], off
.LBB16_161:                             ;   in Loop: Header=BB16_113 Depth=2
	s_wait_xcnt 0x0
	s_or_b32 exec_lo, exec_lo, s80
	s_set_vgpr_msb 1                        ;  msbs: dst=0 src0=1 src1=0 src2=0
	ds_load_b128 v[158:161], v25 /*v281*/
	ds_load_b128 v[154:157], v8 /*v264*/ offset:768
	v_add_f64_e32 v[150:151], 0, v[150:151]
	v_add_f64_e32 v[152:153], 0, v[152:153]
	s_set_vgpr_msb 4                        ;  msbs: dst=0 src0=0 src1=1 src2=0
	v_cmp_gt_i32_e32 vcc_lo, s78, v6 /*v262*/
	s_or_b32 s71, s71, vcc_lo
	s_delay_alu instid0(SALU_CYCLE_1)
	s_and_b32 s78, s18, s71
	s_wait_loadcnt_dscnt 0x1
	s_set_vgpr_msb 64                       ;  msbs: dst=1 src0=0 src1=0 src2=0
	v_mul_f64_e32 v[48:49] /*v[304:305]*/, v[128:129], v[160:161]
	s_set_vgpr_msb 0                        ;  msbs: dst=0 src0=0 src1=0 src2=0
	v_mul_f64_e32 v[4:5], v[128:129], v[158:159]
	s_set_vgpr_msb 64                       ;  msbs: dst=1 src0=0 src1=0 src2=0
	v_mul_f64_e32 v[52:53] /*v[308:309]*/, v[120:121], v[160:161]
	s_set_vgpr_msb 0                        ;  msbs: dst=0 src0=0 src1=0 src2=0
	v_mul_f64_e32 v[162:163], v[120:121], v[158:159]
	;; [unrolled: 4-line block ×4, first 2 shown]
	v_add_f64_e32 v[146:147], v[150:151], v[146:147]
	v_add_f64_e32 v[148:149], v[152:153], v[148:149]
	s_set_vgpr_msb 64                       ;  msbs: dst=1 src0=0 src1=0 src2=0
	v_fmac_f64_e32 v[48:49] /*v[304:305]*/, v[126:127], v[158:159]
	v_fma_f64 v[50:51] /*v[306:307]*/, v[126:127], v[160:161], -v[4:5]
	v_fmac_f64_e32 v[52:53] /*v[308:309]*/, v[118:119], v[158:159]
	v_fma_f64 v[54:55] /*v[310:311]*/, v[118:119], v[160:161], -v[162:163]
	;; [unrolled: 2-line block ×4, first 2 shown]
	s_set_vgpr_msb 1                        ;  msbs: dst=0 src0=1 src1=0 src2=0
	ds_load_b128 v[166:169], v8 /*v264*/ offset:784
	ds_load_b128 v[162:165], v8 /*v264*/ offset:800
	ds_load_b128 v[158:161], v8 /*v264*/ offset:816
	v_add_f64_e32 v[4:5], 0, v[182:183]
	v_add_f64_e32 v[182:183], 0, v[184:185]
	;; [unrolled: 1-line block ×3, first 2 shown]
	s_set_vgpr_msb 5                        ;  msbs: dst=0 src0=1 src1=1 src2=0
	ds_store_b128 v20 /*v276*/, v[48:51] /*v[304:307]*/
	ds_store_b128 v20 /*v276*/, v[52:55] /*v[308:311]*/ offset:1072
	ds_store_b128 v20 /*v276*/, v[56:59] /*v[312:315]*/ offset:2144
	ds_store_b128 v20 /*v276*/, v[60:63] /*v[316:319]*/ offset:3216
	s_wait_dscnt 0x0
	s_barrier_signal -1
	s_barrier_wait -1
	s_set_vgpr_msb 0x41                     ;  msbs: dst=1 src0=1 src1=0 src2=0
	ds_load_b128 v[48:51] /*v[304:307]*/, v9 /*v265*/
	v_add_f64_e32 v[52:53] /*v[308:309]*/, 0, v[100:101]
	s_set_vgpr_msb 1                        ;  msbs: dst=0 src0=1 src1=0 src2=0
	ds_load_b128 v[98:101], v9 /*v265*/ offset:16
	s_set_vgpr_msb 0                        ;  msbs: dst=0 src0=0 src1=0 src2=0
	v_add_f64_e32 v[150:151], v[184:185], v[94:95]
	v_add_f64_e32 v[4:5], v[4:5], v[178:179]
	;; [unrolled: 1-line block ×5, first 2 shown]
	s_wait_dscnt 0x1
	s_set_vgpr_msb 0x44                     ;  msbs: dst=1 src0=0 src1=1 src2=0
	v_add_f64_e32 v[48:49] /*v[304:305]*/, 0, v[48:49] /*v[304:305]*/
	v_add_f64_e32 v[50:51] /*v[306:307]*/, 0, v[50:51] /*v[306:307]*/
	s_set_vgpr_msb 1                        ;  msbs: dst=0 src0=1 src1=0 src2=0
	v_add_f64_e32 v[152:153], v[52:53] /*v[308:309]*/, v[96:97]
	ds_load_b128 v[94:97], v9 /*v265*/ offset:32
	s_set_vgpr_msb 0                        ;  msbs: dst=0 src0=0 src1=0 src2=0
	v_add_f64_e32 v[146:147], v[150:151], v[90:91]
	v_add_f64_e32 v[4:5], v[4:5], v[174:175]
	;; [unrolled: 1-line block ×3, first 2 shown]
	s_wait_dscnt 0x1
	s_set_vgpr_msb 1                        ;  msbs: dst=0 src0=1 src1=0 src2=0
	v_add_f64_e32 v[98:99], v[48:49] /*v[304:305]*/, v[98:99]
	v_add_f64_e32 v[100:101], v[50:51] /*v[306:307]*/, v[100:101]
	s_set_vgpr_msb 0                        ;  msbs: dst=0 src0=0 src1=0 src2=0
	v_add_f64_e32 v[148:149], v[152:153], v[92:93]
	s_set_vgpr_msb 1                        ;  msbs: dst=0 src0=1 src1=0 src2=0
	ds_load_b128 v[90:93], v9 /*v265*/ offset:48
	s_set_vgpr_msb 0                        ;  msbs: dst=0 src0=0 src1=0 src2=0
	v_add_f64_e32 v[86:87], v[146:147], v[86:87]
	s_wait_dscnt 0x0
	s_barrier_signal -1
	s_barrier_wait -1
	v_add_f64_e32 v[150:151], v[98:99], v[94:95]
	v_add_f64_e32 v[152:153], v[100:101], v[96:97]
	;; [unrolled: 1-line block ×9, first 2 shown]
	s_set_vgpr_msb 1                        ;  msbs: dst=0 src0=1 src1=0 src2=0
	ds_store_b128 v24 /*v280*/, v[86:89]
	ds_store_b128 v24 /*v280*/, v[98:101] offset:256
	ds_store_b128 v24 /*v280*/, v[94:97] offset:512
	;; [unrolled: 1-line block ×3, first 2 shown]
	s_wait_dscnt 0x0
	s_barrier_signal -1
	s_barrier_wait -1
	s_and_saveexec_b32 s71, s78
	s_set_vgpr_msb 0                        ;  msbs: dst=0 src0=0 src1=0 src2=0
	s_cbranch_execz .LBB16_163
; %bb.162:                              ;   in Loop: Header=BB16_113 Depth=2
	s_set_vgpr_msb 1                        ;  msbs: dst=0 src0=1 src1=0 src2=0
	ds_load_b128 v[86:89], v10 /*v266*/
	ds_load_b128 v[90:93], v10 /*v266*/ offset:16
	s_set_vgpr_msb 4                        ;  msbs: dst=0 src0=0 src1=1 src2=0
	v_add_nc_u32_e32 v3, s70, v6 /*v262*/
	s_wait_dscnt 0x0
	s_set_vgpr_msb 0                        ;  msbs: dst=0 src0=0 src1=0 src2=0
	v_add_f64_e32 v[4:5], v[90:91], v[86:87]
	v_add_f64_e32 v[94:95], v[92:93], v[88:89]
	s_set_vgpr_msb 1                        ;  msbs: dst=0 src0=1 src1=0 src2=0
	ds_load_b128 v[86:89], v10 /*v266*/ offset:32
	ds_load_b128 v[90:93], v10 /*v266*/ offset:48
	s_wait_dscnt 0x1
	s_set_vgpr_msb 0                        ;  msbs: dst=0 src0=0 src1=0 src2=0
	v_add_f64_e32 v[4:5], v[4:5], v[86:87]
	v_add_f64_e32 v[86:87], v[94:95], v[88:89]
	s_wait_dscnt 0x0
	s_delay_alu instid0(VALU_DEP_2) | instskip(NEXT) | instid1(VALU_DEP_2)
	v_add_f64_e32 v[4:5], v[4:5], v[90:91]
	v_add_f64_e32 v[94:95], v[86:87], v[92:93]
	s_set_vgpr_msb 1                        ;  msbs: dst=0 src0=1 src1=0 src2=0
	ds_load_b128 v[86:89], v10 /*v266*/ offset:64
	ds_load_b128 v[90:93], v10 /*v266*/ offset:80
	s_wait_dscnt 0x1
	s_set_vgpr_msb 0                        ;  msbs: dst=0 src0=0 src1=0 src2=0
	v_add_f64_e32 v[4:5], v[4:5], v[86:87]
	v_add_f64_e32 v[86:87], v[94:95], v[88:89]
	s_wait_dscnt 0x0
	s_delay_alu instid0(VALU_DEP_2) | instskip(NEXT) | instid1(VALU_DEP_2)
	;; [unrolled: 11-line block ×6, first 2 shown]
	v_add_f64_e32 v[4:5], v[4:5], v[90:91]
	v_add_f64_e32 v[94:95], v[86:87], v[92:93]
	s_set_vgpr_msb 1                        ;  msbs: dst=0 src0=1 src1=0 src2=0
	ds_load_b128 v[86:89], v10 /*v266*/ offset:224
	ds_load_b128 v[90:93], v11 /*v267*/
	s_wait_dscnt 0x1
	s_set_vgpr_msb 0                        ;  msbs: dst=0 src0=0 src1=0 src2=0
	v_add_f64_e32 v[4:5], v[4:5], v[86:87]
	v_add_f64_e32 v[88:89], v[94:95], v[88:89]
	s_wait_dscnt 0x0
	s_delay_alu instid0(VALU_DEP_2) | instskip(NEXT) | instid1(VALU_DEP_2)
	v_add_f64_e32 v[86:87], v[4:5], v[90:91]
	v_add_f64_e32 v[88:89], v[88:89], v[92:93]
	global_store_b128 v3, v[86:89], s[22:23] scale_offset
.LBB16_163:                             ;   in Loop: Header=BB16_113 Depth=2
	s_wait_xcnt 0x0
	s_or_b32 exec_lo, exec_lo, s71
	v_mul_f64_e32 v[4:5], v[16:17], v[28:29]
	v_mul_f64_e32 v[28:29], v[14:15], v[28:29]
	;; [unrolled: 1-line block ×4, first 2 shown]
	v_add_nc_u64_e32 v[228:229], s[44:45], v[228:229]
	v_add_nc_u64_e32 v[230:231], s[44:45], v[230:231]
	v_add_nc_u64_e32 v[232:233], s[44:45], v[232:233]
	v_add_nc_u64_e32 v[234:235], s[44:45], v[234:235]
	v_add_nc_u64_e32 v[236:237], s[44:45], v[236:237]
	v_add_nc_u64_e32 v[238:239], s[44:45], v[238:239]
	v_add_nc_u64_e32 v[240:241], s[44:45], v[240:241]
	v_add_nc_u64_e32 v[242:243], s[44:45], v[242:243]
	v_add_nc_u64_e32 v[244:245], s[44:45], v[244:245]
	v_add_nc_u64_e32 v[246:247], s[44:45], v[246:247]
	v_add_nc_u64_e32 v[248:249], s[44:45], v[248:249]
	v_add_nc_u64_e32 v[250:251], s[44:45], v[250:251]
	v_add_nc_u64_e32 v[252:253], s[44:45], v[252:253]
	v_add_nc_u64_e32 v[254:255], s[44:45], v[254:255]
	s_set_vgpr_msb 0x44                     ;  msbs: dst=1 src0=0 src1=1 src2=0
	v_add_nc_u64_e32 v[0:1] /*v[256:257]*/, s[44:45], v[0:1] /*v[256:257]*/
	v_add_nc_u64_e32 v[2:3] /*v[258:259]*/, s[44:45], v[2:3] /*v[258:259]*/
	s_add_co_i32 s71, s77, 1
	s_add_co_i32 s77, s77, 2
	;; [unrolled: 1-line block ×3, first 2 shown]
	s_cmp_ge_u32 s77, s52
	s_wait_storecnt 0x0
	s_barrier_signal -1
	s_barrier_wait -1
	s_set_vgpr_msb 0                        ;  msbs: dst=0 src0=0 src1=0 src2=0
	v_fma_f64 v[4:5], v[14:15], v[26:27], -v[4:5]
	v_fmac_f64_e32 v[28:29], v[16:17], v[26:27]
	v_mul_f64_e32 v[14:15], v[20:21], v[36:37]
	v_mul_f64_e32 v[16:17], v[18:19], v[36:37]
	v_fma_f64 v[10:11], v[10:11], v[38:39], -v[86:87]
	v_fmac_f64_e32 v[40:41], v[12:13], v[38:39]
	v_mul_f64_e32 v[12:13], v[22:23], v[32:33]
	v_add_f64_e32 v[4:5], v[6:7], v[4:5]
	v_add_f64_e32 v[6:7], v[8:9], v[28:29]
	v_mul_f64_e32 v[8:9], v[24:25], v[32:33]
	v_fma_f64 v[14:15], v[18:19], v[34:35], -v[14:15]
	v_fmac_f64_e32 v[16:17], v[20:21], v[34:35]
	v_mul_f64_e32 v[18:19], v[46:47], v[60:61]
	v_fmac_f64_e32 v[12:13], v[24:25], v[30:31]
	v_add_f64_e32 v[4:5], v[4:5], v[10:11]
	v_add_f64_e32 v[6:7], v[6:7], v[40:41]
	v_mul_f64_e32 v[10:11], v[48:49], v[60:61]
	v_fma_f64 v[8:9], v[22:23], v[30:31], -v[8:9]
	v_fmac_f64_e32 v[18:19], v[48:49], v[58:59]
	v_add_f64_e32 v[4:5], v[4:5], v[14:15]
	v_add_f64_e32 v[6:7], v[6:7], v[16:17]
	v_mul_f64_e32 v[14:15], v[44:45], v[76:77]
	v_mul_f64_e32 v[16:17], v[42:43], v[76:77]
	v_fma_f64 v[10:11], v[46:47], v[58:59], -v[10:11]
	v_add_f64_e32 v[4:5], v[4:5], v[8:9]
	v_add_f64_e32 v[6:7], v[6:7], v[12:13]
	v_mul_f64_e32 v[8:9], v[52:53], v[68:69]
	v_mul_f64_e32 v[12:13], v[50:51], v[68:69]
	v_fma_f64 v[14:15], v[42:43], v[74:75], -v[14:15]
	v_fmac_f64_e32 v[16:17], v[44:45], v[74:75]
	v_add_f64_e32 v[4:5], v[4:5], v[10:11]
	v_add_f64_e32 v[6:7], v[6:7], v[18:19]
	v_mul_f64_e32 v[10:11], v[56:57], v[64:65]
	v_mul_f64_e32 v[18:19], v[54:55], v[64:65]
	v_fma_f64 v[8:9], v[50:51], v[66:67], -v[8:9]
	v_fmac_f64_e32 v[12:13], v[52:53], v[66:67]
	;; [unrolled: 6-line block ×10, first 2 shown]
	v_add_f64_e32 v[4:5], v[4:5], v[10:11]
	v_add_f64_e32 v[6:7], v[6:7], v[18:19]
	v_fma_f64 v[8:9], v[142:143], v[158:159], -v[8:9]
	v_fmac_f64_e32 v[12:13], v[144:145], v[158:159]
	s_delay_alu instid0(VALU_DEP_4) | instskip(NEXT) | instid1(VALU_DEP_4)
	v_add_f64_e32 v[4:5], v[4:5], v[14:15]
	v_add_f64_e32 v[10:11], v[6:7], v[16:17]
	s_delay_alu instid0(VALU_DEP_2) | instskip(NEXT) | instid1(VALU_DEP_2)
	v_add_f64_e32 v[6:7], v[4:5], v[8:9]
	v_add_f64_e32 v[8:9], v[10:11], v[12:13]
	s_cbranch_scc1 .LBB16_165
; %bb.164:                              ;   in Loop: Header=BB16_113 Depth=2
	s_mov_b32 s77, s71
	s_delay_alu instid0(SALU_CYCLE_1)
	s_cmp_eq_u32 s55, s77
	s_cselect_b32 s78, s72, 0
	s_and_saveexec_b32 s79, s0
	s_cbranch_execnz .LBB16_109
	s_branch .LBB16_113
.LBB16_165:                             ;   in Loop: Header=BB16_4 Depth=1
	s_set_vgpr_msb 1                        ;  msbs: dst=0 src0=1 src1=0 src2=0
	ds_store_b128 v21 /*v277*/, v[6:9]
	s_wait_dscnt 0x0
	s_barrier_signal -1
	s_barrier_wait -1
	s_and_saveexec_b32 s70, s75
	s_set_vgpr_msb 0                        ;  msbs: dst=0 src0=0 src1=0 src2=0
	s_cbranch_execz .LBB16_2
; %bb.166:                              ;   in Loop: Header=BB16_4 Depth=1
	ds_load_b128 v[4:7], v186 offset:1072
	ds_load_b128 v[8:11], v186
	s_wait_dscnt 0x0
	v_add_f64_e32 v[12:13], v[4:5], v[8:9]
	v_add_f64_e32 v[14:15], v[6:7], v[10:11]
	ds_load_b128 v[4:7], v186 offset:2144
	ds_load_b128 v[8:11], v186 offset:3216
	s_wait_dscnt 0x1
	v_add_f64_e32 v[4:5], v[12:13], v[4:5]
	v_add_f64_e32 v[6:7], v[14:15], v[6:7]
	s_wait_dscnt 0x0
	s_delay_alu instid0(VALU_DEP_2) | instskip(NEXT) | instid1(VALU_DEP_2)
	v_add_f64_e32 v[4:5], v[4:5], v[8:9]
	v_add_f64_e32 v[6:7], v[6:7], v[10:11]
	v_lshl_add_u64 v[8:9], v[188:189], 4, s[22:23]
	global_store_b128 v[8:9], v[4:7], off
	s_branch .LBB16_2
.LBB16_167:                             ;   in Loop: Header=BB16_4 Depth=1
	s_set_vgpr_msb 1                        ;  msbs: dst=0 src0=1 src1=0 src2=0
	ds_load_b128 v[4:7], v13 /*v269*/
	s_mov_b32 s22, exec_lo
	s_wait_dscnt 0x0
	v_xor_b32_e32 v7, 0x80000000, v7
	ds_store_b64 v29 /*v285*/, v[4:5]
	s_or_saveexec_b32 s23, s23
	v_mov_b32_e32 v3, v29 /*v285*/
	s_xor_b32 exec_lo, exec_lo, s23
	s_set_vgpr_msb 0                        ;  msbs: dst=0 src0=0 src1=0 src2=0
	s_cbranch_execz .LBB16_35
.LBB16_168:                             ;   in Loop: Header=BB16_4 Depth=1
	v_mov_b64_e32 v[6:7], 0
	s_set_vgpr_msb 1                        ;  msbs: dst=0 src0=1 src1=0 src2=0
	v_mov_b32_e32 v3, v14 /*v270*/
	s_and_not1_b32 s22, s22, exec_lo
	s_and_b32 s70, s19, exec_lo
	s_delay_alu instid0(SALU_CYCLE_1)
	s_or_b32 s22, s22, s70
	s_or_b32 exec_lo, exec_lo, s23
	s_and_saveexec_b32 s23, s22
	s_set_vgpr_msb 0                        ;  msbs: dst=0 src0=0 src1=0 src2=0
	s_cbranch_execnz .LBB16_36
	s_branch .LBB16_37
.LBB16_169:                             ;   in Loop: Header=BB16_4 Depth=1
	s_set_vgpr_msb 1                        ;  msbs: dst=0 src0=1 src1=0 src2=0
	ds_load_b128 v[10:13], v13 /*v269*/
	s_mov_b32 s22, exec_lo
	s_wait_dscnt 0x0
	v_xor_b32_e32 v13, 0x80000000, v13
	ds_store_b64 v29 /*v285*/, v[10:11]
	s_or_saveexec_b32 s23, s23
	v_mov_b32_e32 v3, v29 /*v285*/
	s_xor_b32 exec_lo, exec_lo, s23
	s_set_vgpr_msb 0                        ;  msbs: dst=0 src0=0 src1=0 src2=0
	s_cbranch_execz .LBB16_73
.LBB16_170:                             ;   in Loop: Header=BB16_4 Depth=1
	v_mov_b64_e32 v[12:13], 0
	s_set_vgpr_msb 1                        ;  msbs: dst=0 src0=1 src1=0 src2=0
	v_mov_b32_e32 v3, v14 /*v270*/
	s_and_not1_b32 s22, s22, exec_lo
	s_and_b32 s70, s19, exec_lo
	s_delay_alu instid0(SALU_CYCLE_1)
	s_or_b32 s22, s22, s70
	s_or_b32 exec_lo, exec_lo, s23
	s_and_saveexec_b32 s23, s22
	s_set_vgpr_msb 0                        ;  msbs: dst=0 src0=0 src1=0 src2=0
	s_cbranch_execnz .LBB16_74
	s_branch .LBB16_75
.LBB16_171:                             ;   in Loop: Header=BB16_4 Depth=1
	global_load_b128 v[10:13], v[8:9], off
	s_wait_loadcnt 0x0
	s_set_vgpr_msb 1                        ;  msbs: dst=0 src0=1 src1=0 src2=0
	ds_store_2addr_b64 v7 /*v263*/, v[10:11], v[12:13] offset1:1
	s_wait_xcnt 0x0
	s_or_b32 exec_lo, exec_lo, s22
	s_and_saveexec_b32 s22, s3
	s_delay_alu instid0(SALU_CYCLE_1)
	s_xor_b32 s22, exec_lo, s22
	s_set_vgpr_msb 0                        ;  msbs: dst=0 src0=0 src1=0 src2=0
	s_cbranch_execz .LBB16_18
.LBB16_172:                             ;   in Loop: Header=BB16_4 Depth=1
	v_dual_mov_b32 v3, v2 :: v_dual_mov_b32 v4, v2
	v_mov_b32_e32 v5, v2
	s_set_vgpr_msb 1                        ;  msbs: dst=0 src0=1 src1=0 src2=0
	ds_store_b128 v26 /*v282*/, v[2:5]
	s_and_not1_saveexec_b32 s22, s22
	s_set_vgpr_msb 0                        ;  msbs: dst=0 src0=0 src1=0 src2=0
	s_cbranch_execz .LBB16_19
.LBB16_173:                             ;   in Loop: Header=BB16_4 Depth=1
	v_add_nc_u64_e32 v[4:5], s[50:51], v[8:9]
	global_load_b128 v[10:13], v[4:5], off
	s_wait_loadcnt 0x0
	s_set_vgpr_msb 1                        ;  msbs: dst=0 src0=1 src1=0 src2=0
	ds_store_2addr_b64 v26 /*v282*/, v[10:11], v[12:13] offset1:1
	s_wait_xcnt 0x0
	s_or_b32 exec_lo, exec_lo, s22
	s_and_saveexec_b32 s22, s8
	s_delay_alu instid0(SALU_CYCLE_1)
	s_xor_b32 s22, exec_lo, s22
	s_set_vgpr_msb 0                        ;  msbs: dst=0 src0=0 src1=0 src2=0
	s_cbranch_execz .LBB16_20
.LBB16_174:                             ;   in Loop: Header=BB16_4 Depth=1
	v_dual_mov_b32 v3, v2 :: v_dual_mov_b32 v4, v2
	v_mov_b32_e32 v5, v2
	s_set_vgpr_msb 1                        ;  msbs: dst=0 src0=1 src1=0 src2=0
	ds_store_b128 v27 /*v283*/, v[2:5]
	s_and_not1_saveexec_b32 s22, s22
	s_set_vgpr_msb 0                        ;  msbs: dst=0 src0=0 src1=0 src2=0
	s_cbranch_execz .LBB16_21
.LBB16_175:                             ;   in Loop: Header=BB16_4 Depth=1
	v_add_nc_u64_e32 v[4:5], s[56:57], v[8:9]
	global_load_b128 v[10:13], v[4:5], off
	s_wait_loadcnt 0x0
	s_set_vgpr_msb 1                        ;  msbs: dst=0 src0=1 src1=0 src2=0
	ds_store_2addr_b64 v27 /*v283*/, v[10:11], v[12:13] offset1:1
	s_wait_xcnt 0x0
	s_or_b32 exec_lo, exec_lo, s22
	s_and_saveexec_b32 s22, s9
	s_delay_alu instid0(SALU_CYCLE_1)
	s_xor_b32 s22, exec_lo, s22
	s_set_vgpr_msb 0                        ;  msbs: dst=0 src0=0 src1=0 src2=0
	s_cbranch_execz .LBB16_22
.LBB16_176:                             ;   in Loop: Header=BB16_4 Depth=1
	v_dual_mov_b32 v3, v2 :: v_dual_mov_b32 v4, v2
	v_mov_b32_e32 v5, v2
	s_set_vgpr_msb 1                        ;  msbs: dst=0 src0=1 src1=0 src2=0
	ds_store_b128 v28 /*v284*/, v[2:5]
	s_and_not1_saveexec_b32 s22, s22
	s_set_vgpr_msb 0                        ;  msbs: dst=0 src0=0 src1=0 src2=0
	s_cbranch_execnz .LBB16_23
	s_branch .LBB16_24
.LBB16_177:                             ;   in Loop: Header=BB16_4 Depth=1
	global_load_b128 v[16:19], v[14:15], off
	s_wait_loadcnt 0x0
	s_set_vgpr_msb 1                        ;  msbs: dst=0 src0=1 src1=0 src2=0
	ds_store_2addr_b64 v7 /*v263*/, v[16:17], v[18:19] offset1:1
	s_wait_xcnt 0x0
	s_or_b32 exec_lo, exec_lo, s22
	s_and_saveexec_b32 s22, s13
	s_delay_alu instid0(SALU_CYCLE_1)
	s_xor_b32 s22, exec_lo, s22
	s_set_vgpr_msb 0                        ;  msbs: dst=0 src0=0 src1=0 src2=0
	s_cbranch_execz .LBB16_56
.LBB16_178:                             ;   in Loop: Header=BB16_4 Depth=1
	v_dual_mov_b32 v3, v2 :: v_dual_mov_b32 v4, v2
	v_mov_b32_e32 v5, v2
	s_set_vgpr_msb 1                        ;  msbs: dst=0 src0=1 src1=0 src2=0
	ds_store_b128 v26 /*v282*/, v[2:5]
	s_and_not1_saveexec_b32 s22, s22
	s_set_vgpr_msb 0                        ;  msbs: dst=0 src0=0 src1=0 src2=0
	s_cbranch_execz .LBB16_57
.LBB16_179:                             ;   in Loop: Header=BB16_4 Depth=1
	v_add_nc_u64_e32 v[4:5], s[50:51], v[14:15]
	global_load_b128 v[16:19], v[4:5], off
	s_wait_loadcnt 0x0
	s_set_vgpr_msb 1                        ;  msbs: dst=0 src0=1 src1=0 src2=0
	ds_store_2addr_b64 v26 /*v282*/, v[16:17], v[18:19] offset1:1
	s_wait_xcnt 0x0
	s_or_b32 exec_lo, exec_lo, s22
	s_and_saveexec_b32 s22, s16
	s_delay_alu instid0(SALU_CYCLE_1)
	s_xor_b32 s22, exec_lo, s22
	s_set_vgpr_msb 0                        ;  msbs: dst=0 src0=0 src1=0 src2=0
	s_cbranch_execz .LBB16_58
.LBB16_180:                             ;   in Loop: Header=BB16_4 Depth=1
	v_dual_mov_b32 v3, v2 :: v_dual_mov_b32 v4, v2
	v_mov_b32_e32 v5, v2
	s_set_vgpr_msb 1                        ;  msbs: dst=0 src0=1 src1=0 src2=0
	ds_store_b128 v27 /*v283*/, v[2:5]
	s_and_not1_saveexec_b32 s22, s22
	s_set_vgpr_msb 0                        ;  msbs: dst=0 src0=0 src1=0 src2=0
	s_cbranch_execz .LBB16_59
.LBB16_181:                             ;   in Loop: Header=BB16_4 Depth=1
	v_add_nc_u64_e32 v[4:5], s[56:57], v[14:15]
	global_load_b128 v[16:19], v[4:5], off
	s_wait_loadcnt 0x0
	s_set_vgpr_msb 1                        ;  msbs: dst=0 src0=1 src1=0 src2=0
	ds_store_2addr_b64 v27 /*v283*/, v[16:17], v[18:19] offset1:1
	s_wait_xcnt 0x0
	s_or_b32 exec_lo, exec_lo, s22
	s_and_saveexec_b32 s22, s17
	s_delay_alu instid0(SALU_CYCLE_1)
	s_xor_b32 s22, exec_lo, s22
	s_set_vgpr_msb 0                        ;  msbs: dst=0 src0=0 src1=0 src2=0
	s_cbranch_execz .LBB16_60
.LBB16_182:                             ;   in Loop: Header=BB16_4 Depth=1
	v_dual_mov_b32 v3, v2 :: v_dual_mov_b32 v4, v2
	v_mov_b32_e32 v5, v2
	s_set_vgpr_msb 1                        ;  msbs: dst=0 src0=1 src1=0 src2=0
	ds_store_b128 v28 /*v284*/, v[2:5]
	s_and_not1_saveexec_b32 s22, s22
	s_set_vgpr_msb 0                        ;  msbs: dst=0 src0=0 src1=0 src2=0
	s_cbranch_execnz .LBB16_61
	s_branch .LBB16_62
.LBB16_183:                             ;   in Loop: Header=BB16_4 Depth=1
	global_load_b128 v[16:19], v[12:13], off
	s_wait_loadcnt 0x0
	s_set_vgpr_msb 1                        ;  msbs: dst=0 src0=1 src1=0 src2=0
	ds_store_2addr_b64 v7 /*v263*/, v[16:17], v[18:19] offset1:1
	s_wait_xcnt 0x0
	s_or_b32 exec_lo, exec_lo, s22
	s_and_saveexec_b32 s22, s13
	s_delay_alu instid0(SALU_CYCLE_1)
	s_xor_b32 s22, exec_lo, s22
	s_set_vgpr_msb 0                        ;  msbs: dst=0 src0=0 src1=0 src2=0
	s_cbranch_execz .LBB16_94
.LBB16_184:                             ;   in Loop: Header=BB16_4 Depth=1
	v_dual_mov_b32 v3, v2 :: v_dual_mov_b32 v4, v2
	v_mov_b32_e32 v5, v2
	s_set_vgpr_msb 1                        ;  msbs: dst=0 src0=1 src1=0 src2=0
	ds_store_b128 v26 /*v282*/, v[2:5]
	s_and_not1_saveexec_b32 s22, s22
	s_set_vgpr_msb 0                        ;  msbs: dst=0 src0=0 src1=0 src2=0
	s_cbranch_execz .LBB16_95
.LBB16_185:                             ;   in Loop: Header=BB16_4 Depth=1
	v_add_nc_u64_e32 v[4:5], s[50:51], v[12:13]
	global_load_b128 v[16:19], v[4:5], off
	s_wait_loadcnt 0x0
	s_set_vgpr_msb 1                        ;  msbs: dst=0 src0=1 src1=0 src2=0
	ds_store_2addr_b64 v26 /*v282*/, v[16:17], v[18:19] offset1:1
	s_wait_xcnt 0x0
	s_or_b32 exec_lo, exec_lo, s22
	s_and_saveexec_b32 s22, s16
	s_delay_alu instid0(SALU_CYCLE_1)
	s_xor_b32 s22, exec_lo, s22
	s_set_vgpr_msb 0                        ;  msbs: dst=0 src0=0 src1=0 src2=0
	s_cbranch_execz .LBB16_96
.LBB16_186:                             ;   in Loop: Header=BB16_4 Depth=1
	v_dual_mov_b32 v3, v2 :: v_dual_mov_b32 v4, v2
	v_mov_b32_e32 v5, v2
	s_set_vgpr_msb 1                        ;  msbs: dst=0 src0=1 src1=0 src2=0
	ds_store_b128 v27 /*v283*/, v[2:5]
	s_and_not1_saveexec_b32 s22, s22
	s_set_vgpr_msb 0                        ;  msbs: dst=0 src0=0 src1=0 src2=0
	s_cbranch_execz .LBB16_97
.LBB16_187:                             ;   in Loop: Header=BB16_4 Depth=1
	v_add_nc_u64_e32 v[4:5], s[56:57], v[12:13]
	global_load_b128 v[16:19], v[4:5], off
	s_wait_loadcnt 0x0
	s_set_vgpr_msb 1                        ;  msbs: dst=0 src0=1 src1=0 src2=0
	ds_store_2addr_b64 v27 /*v283*/, v[16:17], v[18:19] offset1:1
	s_wait_xcnt 0x0
	s_or_b32 exec_lo, exec_lo, s22
	s_and_saveexec_b32 s22, s17
	s_delay_alu instid0(SALU_CYCLE_1)
	s_xor_b32 s22, exec_lo, s22
	s_set_vgpr_msb 0                        ;  msbs: dst=0 src0=0 src1=0 src2=0
	s_cbranch_execz .LBB16_98
.LBB16_188:                             ;   in Loop: Header=BB16_4 Depth=1
	v_dual_mov_b32 v3, v2 :: v_dual_mov_b32 v4, v2
	v_mov_b32_e32 v5, v2
	s_set_vgpr_msb 1                        ;  msbs: dst=0 src0=1 src1=0 src2=0
	ds_store_b128 v28 /*v284*/, v[2:5]
	s_and_not1_saveexec_b32 s22, s22
	s_set_vgpr_msb 0                        ;  msbs: dst=0 src0=0 src1=0 src2=0
	s_cbranch_execnz .LBB16_99
	s_branch .LBB16_100
.LBB16_189:
	s_sendmsg sendmsg(MSG_DEALLOC_VGPRS)
	s_endpgm
	.section	.rodata,"a",@progbits
	.p2align	6, 0x0
	.amdhsa_kernel _ZL26rocblas_hemvn_kernel_upperILb1ELi64ELi4ELi33ELi32ELi16ElPK19rocblas_complex_numIdES3_PS1_EviT6_lT7_lT5_lS6_lS7_lS5_lT8_i
		.amdhsa_group_segment_fixed_size 19200
		.amdhsa_private_segment_fixed_size 0
		.amdhsa_kernarg_size 376
		.amdhsa_user_sgpr_count 2
		.amdhsa_user_sgpr_dispatch_ptr 0
		.amdhsa_user_sgpr_queue_ptr 0
		.amdhsa_user_sgpr_kernarg_segment_ptr 1
		.amdhsa_user_sgpr_dispatch_id 0
		.amdhsa_user_sgpr_kernarg_preload_length 0
		.amdhsa_user_sgpr_kernarg_preload_offset 0
		.amdhsa_user_sgpr_private_segment_size 0
		.amdhsa_wavefront_size32 1
		.amdhsa_uses_dynamic_stack 0
		.amdhsa_enable_private_segment 0
		.amdhsa_system_sgpr_workgroup_id_x 1
		.amdhsa_system_sgpr_workgroup_id_y 0
		.amdhsa_system_sgpr_workgroup_id_z 1
		.amdhsa_system_sgpr_workgroup_info 0
		.amdhsa_system_vgpr_workitem_id 1
		.amdhsa_next_free_vgpr 320
		.amdhsa_next_free_sgpr 82
		.amdhsa_named_barrier_count 0
		.amdhsa_reserve_vcc 1
		.amdhsa_float_round_mode_32 0
		.amdhsa_float_round_mode_16_64 0
		.amdhsa_float_denorm_mode_32 3
		.amdhsa_float_denorm_mode_16_64 3
		.amdhsa_fp16_overflow 0
		.amdhsa_memory_ordered 1
		.amdhsa_forward_progress 1
		.amdhsa_inst_pref_size 85
		.amdhsa_round_robin_scheduling 0
		.amdhsa_exception_fp_ieee_invalid_op 0
		.amdhsa_exception_fp_denorm_src 0
		.amdhsa_exception_fp_ieee_div_zero 0
		.amdhsa_exception_fp_ieee_overflow 0
		.amdhsa_exception_fp_ieee_underflow 0
		.amdhsa_exception_fp_ieee_inexact 0
		.amdhsa_exception_int_div_zero 0
	.end_amdhsa_kernel
	.section	.text._ZL26rocblas_hemvn_kernel_upperILb1ELi64ELi4ELi33ELi32ELi16ElPK19rocblas_complex_numIdES3_PS1_EviT6_lT7_lT5_lS6_lS7_lS5_lT8_i,"axG",@progbits,_ZL26rocblas_hemvn_kernel_upperILb1ELi64ELi4ELi33ELi32ELi16ElPK19rocblas_complex_numIdES3_PS1_EviT6_lT7_lT5_lS6_lS7_lS5_lT8_i,comdat
.Lfunc_end16:
	.size	_ZL26rocblas_hemvn_kernel_upperILb1ELi64ELi4ELi33ELi32ELi16ElPK19rocblas_complex_numIdES3_PS1_EviT6_lT7_lT5_lS6_lS7_lS5_lT8_i, .Lfunc_end16-_ZL26rocblas_hemvn_kernel_upperILb1ELi64ELi4ELi33ELi32ELi16ElPK19rocblas_complex_numIdES3_PS1_EviT6_lT7_lT5_lS6_lS7_lS5_lT8_i
                                        ; -- End function
	.set _ZL26rocblas_hemvn_kernel_upperILb1ELi64ELi4ELi33ELi32ELi16ElPK19rocblas_complex_numIdES3_PS1_EviT6_lT7_lT5_lS6_lS7_lS5_lT8_i.num_vgpr, 320
	.set _ZL26rocblas_hemvn_kernel_upperILb1ELi64ELi4ELi33ELi32ELi16ElPK19rocblas_complex_numIdES3_PS1_EviT6_lT7_lT5_lS6_lS7_lS5_lT8_i.num_agpr, 0
	.set _ZL26rocblas_hemvn_kernel_upperILb1ELi64ELi4ELi33ELi32ELi16ElPK19rocblas_complex_numIdES3_PS1_EviT6_lT7_lT5_lS6_lS7_lS5_lT8_i.numbered_sgpr, 82
	.set _ZL26rocblas_hemvn_kernel_upperILb1ELi64ELi4ELi33ELi32ELi16ElPK19rocblas_complex_numIdES3_PS1_EviT6_lT7_lT5_lS6_lS7_lS5_lT8_i.num_named_barrier, 0
	.set _ZL26rocblas_hemvn_kernel_upperILb1ELi64ELi4ELi33ELi32ELi16ElPK19rocblas_complex_numIdES3_PS1_EviT6_lT7_lT5_lS6_lS7_lS5_lT8_i.private_seg_size, 0
	.set _ZL26rocblas_hemvn_kernel_upperILb1ELi64ELi4ELi33ELi32ELi16ElPK19rocblas_complex_numIdES3_PS1_EviT6_lT7_lT5_lS6_lS7_lS5_lT8_i.uses_vcc, 1
	.set _ZL26rocblas_hemvn_kernel_upperILb1ELi64ELi4ELi33ELi32ELi16ElPK19rocblas_complex_numIdES3_PS1_EviT6_lT7_lT5_lS6_lS7_lS5_lT8_i.uses_flat_scratch, 0
	.set _ZL26rocblas_hemvn_kernel_upperILb1ELi64ELi4ELi33ELi32ELi16ElPK19rocblas_complex_numIdES3_PS1_EviT6_lT7_lT5_lS6_lS7_lS5_lT8_i.has_dyn_sized_stack, 0
	.set _ZL26rocblas_hemvn_kernel_upperILb1ELi64ELi4ELi33ELi32ELi16ElPK19rocblas_complex_numIdES3_PS1_EviT6_lT7_lT5_lS6_lS7_lS5_lT8_i.has_recursion, 0
	.set _ZL26rocblas_hemvn_kernel_upperILb1ELi64ELi4ELi33ELi32ELi16ElPK19rocblas_complex_numIdES3_PS1_EviT6_lT7_lT5_lS6_lS7_lS5_lT8_i.has_indirect_call, 0
	.section	.AMDGPU.csdata,"",@progbits
; Kernel info:
; codeLenInByte = 10844
; TotalNumSgprs: 84
; NumVgprs: 320
; ScratchSize: 0
; MemoryBound: 1
; FloatMode: 240
; IeeeMode: 1
; LDSByteSize: 19200 bytes/workgroup (compile time only)
; SGPRBlocks: 0
; VGPRBlocks: 19
; NumSGPRsForWavesPerEU: 84
; NumVGPRsForWavesPerEU: 320
; NamedBarCnt: 0
; Occupancy: 3
; WaveLimiterHint : 0
; COMPUTE_PGM_RSRC2:SCRATCH_EN: 0
; COMPUTE_PGM_RSRC2:USER_SGPR: 2
; COMPUTE_PGM_RSRC2:TRAP_HANDLER: 0
; COMPUTE_PGM_RSRC2:TGID_X_EN: 1
; COMPUTE_PGM_RSRC2:TGID_Y_EN: 0
; COMPUTE_PGM_RSRC2:TGID_Z_EN: 1
; COMPUTE_PGM_RSRC2:TIDIG_COMP_CNT: 1
	.section	.text._ZL36rocblas_hemvn_kernel_upper_block_sumILi64ElPK19rocblas_complex_numIdEPS1_S1_EviT1_lS5_lT2_lT0_lPT3_i,"axG",@progbits,_ZL36rocblas_hemvn_kernel_upper_block_sumILi64ElPK19rocblas_complex_numIdEPS1_S1_EviT1_lS5_lT2_lT0_lPT3_i,comdat
	.globl	_ZL36rocblas_hemvn_kernel_upper_block_sumILi64ElPK19rocblas_complex_numIdEPS1_S1_EviT1_lS5_lT2_lT0_lPT3_i ; -- Begin function _ZL36rocblas_hemvn_kernel_upper_block_sumILi64ElPK19rocblas_complex_numIdEPS1_S1_EviT1_lS5_lT2_lT0_lPT3_i
	.p2align	8
	.type	_ZL36rocblas_hemvn_kernel_upper_block_sumILi64ElPK19rocblas_complex_numIdEPS1_S1_EviT1_lS5_lT2_lT0_lPT3_i,@function
_ZL36rocblas_hemvn_kernel_upper_block_sumILi64ElPK19rocblas_complex_numIdEPS1_S1_EviT1_lS5_lT2_lT0_lPT3_i: ; @_ZL36rocblas_hemvn_kernel_upper_block_sumILi64ElPK19rocblas_complex_numIdEPS1_S1_EviT1_lS5_lT2_lT0_lPT3_i
; %bb.0:
	s_load_b32 s3, s[0:1], 0x50
	s_bfe_u32 s2, ttmp6, 0x40014
	s_lshr_b32 s4, ttmp7, 16
	s_add_co_i32 s2, s2, 1
	s_bfe_u32 s6, ttmp6, 0x40008
	s_mul_i32 s5, s4, s2
	s_getreg_b32 s2, hwreg(HW_REG_IB_STS2, 6, 4)
	s_add_co_i32 s6, s6, s5
	s_cmp_eq_u32 s2, 0
	s_mov_b32 s25, 0
	s_cselect_b32 s24, s4, s6
	s_wait_kmcnt 0x0
	s_cmp_ge_u32 s24, s3
	s_cbranch_scc1 .LBB17_26
; %bb.1:
	s_load_b256 s[4:11], s[0:1], 0x30
	s_bfe_u32 s12, ttmp6, 0x4000c
	s_and_b32 s13, ttmp6, 15
	s_add_co_i32 s12, s12, 1
	s_delay_alu instid0(SALU_CYCLE_1) | instskip(NEXT) | instid1(SALU_CYCLE_1)
	s_mul_i32 s12, ttmp9, s12
	s_add_co_i32 s13, s13, s12
	s_wait_kmcnt 0x0
	s_lshl_b64 s[4:5], s[4:5], 4
	s_cmp_eq_u32 s2, 0
	s_cselect_b32 s31, ttmp9, s13
	s_delay_alu instid0(SALU_CYCLE_1) | instskip(NEXT) | instid1(VALU_DEP_1)
	v_lshl_or_b32 v0, s31, 6, v0
	v_ashrrev_i32_e32 v1, 31, v0
	s_delay_alu instid0(VALU_DEP_1)
	v_mul_u64_e32 v[4:5], s[6:7], v[0:1]
	s_clause 0x2
	s_load_b64 s[6:7], s[0:1], 0x28
	s_load_b32 s20, s[0:1], 0x0
	s_load_b256 s[12:19], s[0:1], 0x8
	v_lshl_add_u64 v[2:3], v[0:1], 4, s[10:11]
	s_wait_xcnt 0x0
	s_add_nc_u64 s[0:1], s[0:1], 0x58
	s_delay_alu instid0(VALU_DEP_1)
	v_add_nc_u64_e32 v[6:7], 8, v[2:3]
	s_wait_kmcnt 0x0
	s_add_nc_u64 s[10:11], s[6:7], s[4:5]
	v_cmp_gt_i32_e64 s2, s20, v0
	s_ashr_i32 s21, s20, 31
	s_cmp_gt_i32 s31, -1
	s_cselect_b32 s30, -1, 0
	s_add_co_i32 s31, s31, 1
	s_lshl_b64 s[26:27], s[20:21], 4
	s_branch .LBB17_4
.LBB17_2:                               ;   in Loop: Header=BB17_4 Depth=1
	s_wait_xcnt 0x0
	s_or_b32 exec_lo, exec_lo, s4
.LBB17_3:                               ;   in Loop: Header=BB17_4 Depth=1
	s_add_co_i32 s24, s24, 0x10000
	s_delay_alu instid0(SALU_CYCLE_1)
	s_cmp_lt_u32 s24, s3
	s_cbranch_scc0 .LBB17_26
.LBB17_4:                               ; =>This Loop Header: Depth=1
                                        ;     Child Loop BB17_17 Depth 2
	s_mul_u64 s[4:5], s[14:15], s[24:25]
	s_delay_alu instid0(SALU_CYCLE_1) | instskip(NEXT) | instid1(SALU_CYCLE_1)
	s_lshl_b64 s[4:5], s[4:5], 4
	s_add_nc_u64 s[4:5], s[12:13], s[4:5]
	s_load_b128 s[20:23], s[4:5], 0x0
	s_wait_xcnt 0x0
	s_mul_u64 s[4:5], s[18:19], s[24:25]
	s_delay_alu instid0(SALU_CYCLE_1) | instskip(NEXT) | instid1(SALU_CYCLE_1)
	s_lshl_b64 s[4:5], s[4:5], 4
	s_add_nc_u64 s[28:29], s[16:17], s[4:5]
	s_load_b128 s[4:7], s[28:29], 0x0
	s_wait_xcnt 0x0
	s_mov_b32 s29, -1
	s_wait_kmcnt 0x0
	v_cmp_neq_f64_e64 s33, s[20:21], 0
	v_cmp_neq_f64_e64 s34, s[22:23], 0
	s_or_b32 s28, s33, s34
	s_delay_alu instid0(SALU_CYCLE_1)
	s_and_b32 vcc_lo, exec_lo, s28
	s_cbranch_vccz .LBB17_6
; %bb.5:                                ;   in Loop: Header=BB17_4 Depth=1
	s_and_not1_b32 vcc_lo, exec_lo, s29
	s_cbranch_vccnz .LBB17_3
	s_branch .LBB17_7
.LBB17_6:                               ;   in Loop: Header=BB17_4 Depth=1
	v_cmp_neq_f64_e64 s29, s[4:5], 1.0
	v_cmp_neq_f64_e64 s33, s[6:7], 0
	s_or_b32 s29, s29, s33
	s_delay_alu instid0(SALU_CYCLE_1)
	s_and_not1_b32 vcc_lo, exec_lo, s29
	s_cbranch_vccnz .LBB17_3
.LBB17_7:                               ;   in Loop: Header=BB17_4 Depth=1
	s_xor_b32 s33, s28, -1
	s_mul_u64 s[28:29], s[8:9], s[24:25]
	s_and_not1_b32 vcc_lo, exec_lo, s33
	s_lshl_b64 s[28:29], s[28:29], 4
	s_delay_alu instid0(SALU_CYCLE_1)
	s_add_nc_u64 s[28:29], s[10:11], s[28:29]
	s_cbranch_vccnz .LBB17_12
; %bb.8:                                ;   in Loop: Header=BB17_4 Depth=1
	s_mov_b32 s34, 0
	s_mov_b32 s33, 0
                                        ; implicit-def: $vgpr2_vgpr3
	s_and_saveexec_b32 s35, s2
	s_cbranch_execz .LBB17_13
; %bb.9:                                ;   in Loop: Header=BB17_4 Depth=1
	v_cmp_neq_f64_e64 s33, s[4:5], 0
	v_cmp_neq_f64_e64 s36, s[6:7], 0
	v_mov_b64_e32 v[2:3], 0
	v_mov_b64_e32 v[0:1], 0
	s_or_b32 s33, s33, s36
	s_delay_alu instid0(SALU_CYCLE_1)
	s_and_not1_b32 vcc_lo, exec_lo, s33
	s_cbranch_vccnz .LBB17_11
; %bb.10:                               ;   in Loop: Header=BB17_4 Depth=1
	v_lshl_add_u64 v[0:1], v[4:5], 4, s[28:29]
	global_load_b128 v[8:11], v[0:1], off
	s_wait_loadcnt 0x0
	s_wait_xcnt 0x0
	v_mul_f64_e32 v[0:1], s[6:7], v[10:11]
	v_mul_f64_e32 v[2:3], s[4:5], v[10:11]
	s_delay_alu instid0(VALU_DEP_2) | instskip(NEXT) | instid1(VALU_DEP_2)
	v_fma_f64 v[0:1], s[4:5], v[8:9], -v[0:1]
	v_fmac_f64_e32 v[2:3], s[6:7], v[8:9]
.LBB17_11:                              ;   in Loop: Header=BB17_4 Depth=1
	s_mov_b32 s33, exec_lo
	s_or_b32 exec_lo, exec_lo, s35
	s_delay_alu instid0(SALU_CYCLE_1)
	s_and_b32 vcc_lo, exec_lo, s34
	s_cbranch_vccnz .LBB17_14
	s_branch .LBB17_24
.LBB17_12:                              ;   in Loop: Header=BB17_4 Depth=1
	s_mov_b32 s33, 0
                                        ; implicit-def: $vgpr2_vgpr3
	s_cbranch_execnz .LBB17_14
	s_branch .LBB17_24
.LBB17_13:                              ;   in Loop: Header=BB17_4 Depth=1
	s_or_b32 exec_lo, exec_lo, s35
	s_delay_alu instid0(SALU_CYCLE_1)
	s_and_b32 vcc_lo, exec_lo, s34
	s_cbranch_vccz .LBB17_24
.LBB17_14:                              ;   in Loop: Header=BB17_4 Depth=1
                                        ; implicit-def: $vgpr2_vgpr3
	s_and_saveexec_b32 s34, s2
	s_cbranch_execz .LBB17_23
; %bb.15:                               ;   in Loop: Header=BB17_4 Depth=1
	v_mov_b64_e32 v[0:1], 0
	v_mov_b64_e32 v[8:9], 0
	s_and_not1_b32 vcc_lo, exec_lo, s30
	s_cbranch_vccnz .LBB17_18
; %bb.16:                               ;   in Loop: Header=BB17_4 Depth=1
	s_load_b32 s36, s[0:1], 0x0
	s_mov_b32 s37, s25
	v_mov_b64_e32 v[0:1], 0
	v_mov_b64_e32 v[8:9], 0
	s_mov_b32 s35, s31
	s_wait_kmcnt 0x0
	s_mul_u64 s[36:37], s[26:27], s[36:37]
	s_delay_alu instid0(SALU_CYCLE_1) | instskip(NEXT) | instid1(VALU_DEP_1)
	v_mad_nc_u64_u32 v[2:3], s36, s24, v[6:7]
	v_mad_u32 v3, s37, s24, v3
.LBB17_17:                              ;   Parent Loop BB17_4 Depth=1
                                        ; =>  This Inner Loop Header: Depth=2
	global_load_b128 v[10:13], v[2:3], off offset:-8
	s_wait_xcnt 0x0
	v_add_nc_u64_e32 v[2:3], s[26:27], v[2:3]
	s_add_co_i32 s35, s35, -1
	s_delay_alu instid0(SALU_CYCLE_1)
	s_cmp_eq_u32 s35, 0
	s_wait_loadcnt 0x0
	v_add_f64_e32 v[8:9], v[8:9], v[10:11]
	v_add_f64_e32 v[0:1], v[0:1], v[12:13]
	s_cbranch_scc0 .LBB17_17
.LBB17_18:                              ;   in Loop: Header=BB17_4 Depth=1
	s_delay_alu instid0(VALU_DEP_1) | instskip(SKIP_3) | instid1(VALU_DEP_4)
	v_mul_f64_e32 v[10:11], s[22:23], v[0:1]
	v_mul_f64_e32 v[2:3], s[20:21], v[0:1]
	v_cmp_neq_f64_e64 s35, s[4:5], 0
	v_cmp_neq_f64_e64 s36, s[6:7], 0
	v_fma_f64 v[0:1], s[20:21], v[8:9], -v[10:11]
	s_delay_alu instid0(VALU_DEP_4) | instskip(SKIP_1) | instid1(SALU_CYCLE_1)
	v_fmac_f64_e32 v[2:3], s[22:23], v[8:9]
	s_or_b32 s20, s35, s36
	s_and_not1_b32 vcc_lo, exec_lo, s20
	s_mov_b32 s20, -1
	s_cbranch_vccz .LBB17_20
; %bb.19:                               ;   in Loop: Header=BB17_4 Depth=1
	s_mov_b32 s20, 0
.LBB17_20:                              ;   in Loop: Header=BB17_4 Depth=1
	s_delay_alu instid0(SALU_CYCLE_1)
	s_and_not1_b32 vcc_lo, exec_lo, s20
	s_cbranch_vccnz .LBB17_22
; %bb.21:                               ;   in Loop: Header=BB17_4 Depth=1
	v_lshl_add_u64 v[8:9], v[4:5], 4, s[28:29]
	global_load_b128 v[8:11], v[8:9], off
	s_wait_loadcnt 0x0
	v_mul_f64_e32 v[12:13], s[6:7], v[10:11]
	v_mul_f64_e32 v[10:11], s[4:5], v[10:11]
	s_delay_alu instid0(VALU_DEP_2) | instskip(NEXT) | instid1(VALU_DEP_2)
	v_fma_f64 v[12:13], s[4:5], v[8:9], -v[12:13]
	v_fmac_f64_e32 v[10:11], s[6:7], v[8:9]
	s_delay_alu instid0(VALU_DEP_2) | instskip(NEXT) | instid1(VALU_DEP_2)
	v_add_f64_e32 v[0:1], v[0:1], v[12:13]
	v_add_f64_e32 v[2:3], v[2:3], v[10:11]
.LBB17_22:                              ;   in Loop: Header=BB17_4 Depth=1
	s_or_b32 s33, s33, exec_lo
.LBB17_23:                              ;   in Loop: Header=BB17_4 Depth=1
	s_wait_xcnt 0x0
	s_or_b32 exec_lo, exec_lo, s34
.LBB17_24:                              ;   in Loop: Header=BB17_4 Depth=1
	s_and_saveexec_b32 s4, s33
	s_cbranch_execz .LBB17_2
; %bb.25:                               ;   in Loop: Header=BB17_4 Depth=1
	v_lshl_add_u64 v[8:9], v[4:5], 4, s[28:29]
	global_store_b128 v[8:9], v[0:3], off
	s_branch .LBB17_2
.LBB17_26:
	s_endpgm
	.section	.rodata,"a",@progbits
	.p2align	6, 0x0
	.amdhsa_kernel _ZL36rocblas_hemvn_kernel_upper_block_sumILi64ElPK19rocblas_complex_numIdEPS1_S1_EviT1_lS5_lT2_lT0_lPT3_i
		.amdhsa_group_segment_fixed_size 0
		.amdhsa_private_segment_fixed_size 0
		.amdhsa_kernarg_size 344
		.amdhsa_user_sgpr_count 2
		.amdhsa_user_sgpr_dispatch_ptr 0
		.amdhsa_user_sgpr_queue_ptr 0
		.amdhsa_user_sgpr_kernarg_segment_ptr 1
		.amdhsa_user_sgpr_dispatch_id 0
		.amdhsa_user_sgpr_kernarg_preload_length 0
		.amdhsa_user_sgpr_kernarg_preload_offset 0
		.amdhsa_user_sgpr_private_segment_size 0
		.amdhsa_wavefront_size32 1
		.amdhsa_uses_dynamic_stack 0
		.amdhsa_enable_private_segment 0
		.amdhsa_system_sgpr_workgroup_id_x 1
		.amdhsa_system_sgpr_workgroup_id_y 0
		.amdhsa_system_sgpr_workgroup_id_z 1
		.amdhsa_system_sgpr_workgroup_info 0
		.amdhsa_system_vgpr_workitem_id 0
		.amdhsa_next_free_vgpr 14
		.amdhsa_next_free_sgpr 38
		.amdhsa_named_barrier_count 0
		.amdhsa_reserve_vcc 1
		.amdhsa_float_round_mode_32 0
		.amdhsa_float_round_mode_16_64 0
		.amdhsa_float_denorm_mode_32 3
		.amdhsa_float_denorm_mode_16_64 3
		.amdhsa_fp16_overflow 0
		.amdhsa_memory_ordered 1
		.amdhsa_forward_progress 1
		.amdhsa_inst_pref_size 8
		.amdhsa_round_robin_scheduling 0
		.amdhsa_exception_fp_ieee_invalid_op 0
		.amdhsa_exception_fp_denorm_src 0
		.amdhsa_exception_fp_ieee_div_zero 0
		.amdhsa_exception_fp_ieee_overflow 0
		.amdhsa_exception_fp_ieee_underflow 0
		.amdhsa_exception_fp_ieee_inexact 0
		.amdhsa_exception_int_div_zero 0
	.end_amdhsa_kernel
	.section	.text._ZL36rocblas_hemvn_kernel_upper_block_sumILi64ElPK19rocblas_complex_numIdEPS1_S1_EviT1_lS5_lT2_lT0_lPT3_i,"axG",@progbits,_ZL36rocblas_hemvn_kernel_upper_block_sumILi64ElPK19rocblas_complex_numIdEPS1_S1_EviT1_lS5_lT2_lT0_lPT3_i,comdat
.Lfunc_end17:
	.size	_ZL36rocblas_hemvn_kernel_upper_block_sumILi64ElPK19rocblas_complex_numIdEPS1_S1_EviT1_lS5_lT2_lT0_lPT3_i, .Lfunc_end17-_ZL36rocblas_hemvn_kernel_upper_block_sumILi64ElPK19rocblas_complex_numIdEPS1_S1_EviT1_lS5_lT2_lT0_lPT3_i
                                        ; -- End function
	.set _ZL36rocblas_hemvn_kernel_upper_block_sumILi64ElPK19rocblas_complex_numIdEPS1_S1_EviT1_lS5_lT2_lT0_lPT3_i.num_vgpr, 14
	.set _ZL36rocblas_hemvn_kernel_upper_block_sumILi64ElPK19rocblas_complex_numIdEPS1_S1_EviT1_lS5_lT2_lT0_lPT3_i.num_agpr, 0
	.set _ZL36rocblas_hemvn_kernel_upper_block_sumILi64ElPK19rocblas_complex_numIdEPS1_S1_EviT1_lS5_lT2_lT0_lPT3_i.numbered_sgpr, 38
	.set _ZL36rocblas_hemvn_kernel_upper_block_sumILi64ElPK19rocblas_complex_numIdEPS1_S1_EviT1_lS5_lT2_lT0_lPT3_i.num_named_barrier, 0
	.set _ZL36rocblas_hemvn_kernel_upper_block_sumILi64ElPK19rocblas_complex_numIdEPS1_S1_EviT1_lS5_lT2_lT0_lPT3_i.private_seg_size, 0
	.set _ZL36rocblas_hemvn_kernel_upper_block_sumILi64ElPK19rocblas_complex_numIdEPS1_S1_EviT1_lS5_lT2_lT0_lPT3_i.uses_vcc, 1
	.set _ZL36rocblas_hemvn_kernel_upper_block_sumILi64ElPK19rocblas_complex_numIdEPS1_S1_EviT1_lS5_lT2_lT0_lPT3_i.uses_flat_scratch, 0
	.set _ZL36rocblas_hemvn_kernel_upper_block_sumILi64ElPK19rocblas_complex_numIdEPS1_S1_EviT1_lS5_lT2_lT0_lPT3_i.has_dyn_sized_stack, 0
	.set _ZL36rocblas_hemvn_kernel_upper_block_sumILi64ElPK19rocblas_complex_numIdEPS1_S1_EviT1_lS5_lT2_lT0_lPT3_i.has_recursion, 0
	.set _ZL36rocblas_hemvn_kernel_upper_block_sumILi64ElPK19rocblas_complex_numIdEPS1_S1_EviT1_lS5_lT2_lT0_lPT3_i.has_indirect_call, 0
	.section	.AMDGPU.csdata,"",@progbits
; Kernel info:
; codeLenInByte = 904
; TotalNumSgprs: 40
; NumVgprs: 14
; ScratchSize: 0
; MemoryBound: 0
; FloatMode: 240
; IeeeMode: 1
; LDSByteSize: 0 bytes/workgroup (compile time only)
; SGPRBlocks: 0
; VGPRBlocks: 0
; NumSGPRsForWavesPerEU: 40
; NumVGPRsForWavesPerEU: 14
; NamedBarCnt: 0
; Occupancy: 16
; WaveLimiterHint : 0
; COMPUTE_PGM_RSRC2:SCRATCH_EN: 0
; COMPUTE_PGM_RSRC2:USER_SGPR: 2
; COMPUTE_PGM_RSRC2:TRAP_HANDLER: 0
; COMPUTE_PGM_RSRC2:TGID_X_EN: 1
; COMPUTE_PGM_RSRC2:TGID_Y_EN: 0
; COMPUTE_PGM_RSRC2:TGID_Z_EN: 1
; COMPUTE_PGM_RSRC2:TIDIG_COMP_CNT: 0
	.section	.text._ZL26rocblas_hemvn_kernel_upperILb1ELi64ELi4ELi33ELi32ELi16EiPK19rocblas_complex_numIdES3_PS1_EviT6_lT7_lT5_lS6_lS7_lS5_lT8_i,"axG",@progbits,_ZL26rocblas_hemvn_kernel_upperILb1ELi64ELi4ELi33ELi32ELi16EiPK19rocblas_complex_numIdES3_PS1_EviT6_lT7_lT5_lS6_lS7_lS5_lT8_i,comdat
	.globl	_ZL26rocblas_hemvn_kernel_upperILb1ELi64ELi4ELi33ELi32ELi16EiPK19rocblas_complex_numIdES3_PS1_EviT6_lT7_lT5_lS6_lS7_lS5_lT8_i ; -- Begin function _ZL26rocblas_hemvn_kernel_upperILb1ELi64ELi4ELi33ELi32ELi16EiPK19rocblas_complex_numIdES3_PS1_EviT6_lT7_lT5_lS6_lS7_lS5_lT8_i
	.p2align	8
	.type	_ZL26rocblas_hemvn_kernel_upperILb1ELi64ELi4ELi33ELi32ELi16EiPK19rocblas_complex_numIdES3_PS1_EviT6_lT7_lT5_lS6_lS7_lS5_lT8_i,@function
_ZL26rocblas_hemvn_kernel_upperILb1ELi64ELi4ELi33ELi32ELi16EiPK19rocblas_complex_numIdES3_PS1_EviT6_lT7_lT5_lS6_lS7_lS5_lT8_i: ; @_ZL26rocblas_hemvn_kernel_upperILb1ELi64ELi4ELi33ELi32ELi16EiPK19rocblas_complex_numIdES3_PS1_EviT6_lT7_lT5_lS6_lS7_lS5_lT8_i
; %bb.0:
	s_clause 0x1
	s_load_b64 s[2:3], s[0:1], 0x84
	s_load_b32 s33, s[0:1], 0x70
	s_bfe_u32 s4, ttmp6, 0x40014
	s_lshr_b32 s5, ttmp7, 16
	s_add_co_i32 s4, s4, 1
	s_bfe_u32 s6, ttmp6, 0x40008
	s_mul_i32 s7, s5, s4
	s_getreg_b32 s4, hwreg(HW_REG_IB_STS2, 6, 4)
	s_add_co_i32 s6, s6, s7
	s_mov_b32 s35, 0
	s_wait_kmcnt 0x0
	s_lshr_b32 s7, s2, 16
	s_and_b32 s2, s2, 0xffff
	s_and_b32 s3, s3, 0xffff
	s_mul_i32 s2, s7, s2
	s_cmp_eq_u32 s4, 0
	s_mul_i32 s2, s2, s3
	s_cselect_b32 s34, s5, s6
	s_cmp_lg_u32 s2, 0x100
	s_cselect_b32 s2, -1, 0
	s_cmp_ge_u32 s34, s33
	s_cselect_b32 s3, -1, 0
	s_delay_alu instid0(SALU_CYCLE_1) | instskip(NEXT) | instid1(SALU_CYCLE_1)
	s_or_b32 s2, s2, s3
	s_and_b32 vcc_lo, exec_lo, s2
	s_cbranch_vccnz .LBB18_189
; %bb.1:
	s_clause 0x2
	s_load_b32 s2, s[0:1], 0x0
	s_load_b32 s66, s[0:1], 0x28
	s_load_b96 s[20:22], s[0:1], 0x40
	s_bfe_u32 s3, ttmp6, 0x4000c
	v_bfe_u32 v1, v0, 10, 10
	s_add_co_i32 s3, s3, 1
	s_and_b32 s5, ttmp6, 15
	s_mul_i32 s3, ttmp9, s3
	s_set_vgpr_msb 64                       ;  msbs: dst=1 src0=0 src1=0 src2=0
	v_and_b32_e32 v22 /*v278*/, 0x3ff, v0
	s_add_co_i32 s5, s5, s3
	s_set_vgpr_msb 0                        ;  msbs: dst=0 src0=0 src1=0 src2=0
	v_dual_lshlrev_b32 v10, 6, v1 :: v_dual_bitop2_b32 v4, 31, v0 bitop3:0x40
	s_add_nc_u64 s[6:7], s[0:1], 0x78
	s_clause 0x1
	s_load_b256 s[24:31], s[0:1], 0x8
	s_load_b128 s[44:47], s[0:1], 0x30
	s_load_b32 s48, s[6:7], 0x0
	s_load_b256 s[36:43], s[0:1], 0x50
	s_mov_b32 s49, s35
	s_set_vgpr_msb 0x44                     ;  msbs: dst=1 src0=0 src1=1 src2=0
	v_lshlrev_b32_e32 v23 /*v279*/, 4, v22 /*v278*/
	s_wait_xcnt 0x0
	s_set_vgpr_msb 0x50                     ;  msbs: dst=1 src0=0 src1=0 src2=1
	v_cmp_eq_u32_e64 s0, 0, v1
	v_add_nc_u32_e32 v32 /*v288*/, 0x4300, v10
	s_wait_kmcnt 0x0
	s_ashr_i32 s3, s2, 31
	s_ashr_i32 s67, s66, 31
	s_cmp_eq_u32 s4, 0
	v_mad_u32_u24 v33 /*v289*/, 0x10c0, v1, v23 /*v279*/
	s_cselect_b32 s50, ttmp9, s5
	s_lshr_b32 s6, s3, 26
	s_lshl_b32 s58, s50, 6
	s_set_vgpr_msb 4                        ;  msbs: dst=0 src0=0 src1=1 src2=0
	v_dual_add_nc_u32 v11, v10, v22 /*v278*/ :: v_dual_add_nc_u32 v186, s58, v22 /*v278*/
	s_add_co_i32 s8, s2, s6
	s_lshl_b64 s[4:5], s[20:21], 4
	s_and_not1_b32 s8, s8, 63
	s_lshl_b64 s[6:7], s[30:31], 4
	s_set_vgpr_msb 0                        ;  msbs: dst=0 src0=0 src1=0 src2=0
	v_mul_lo_u32 v6, s22, v186
	v_lshrrev_b32_e32 v12, 5, v11
	s_add_co_i32 s9, s48, -1
	s_sub_co_i32 s72, s2, s8
	s_add_nc_u64 s[4:5], s[46:47], s[4:5]
	s_cmp_eq_u32 s50, s9
	s_add_nc_u64 s[6:7], s[28:29], s[6:7]
	s_cselect_b32 s30, s72, 0
	s_mul_u64 s[28:29], s[48:49], s[2:3]
	s_cmp_lg_u32 s30, 0
	s_set_vgpr_msb 4                        ;  msbs: dst=0 src0=0 src1=1 src2=0
	v_cmp_gt_i32_e32 vcc_lo, s30, v22 /*v278*/
	s_set_vgpr_msb 0                        ;  msbs: dst=0 src0=0 src1=0 src2=0
	v_ashrrev_i32_e32 v7, 31, v6
	v_mad_u32 v2, s66, v12, v4
	v_dual_add_nc_u32 v13, 24, v12 :: v_dual_lshlrev_b32 v14, 2, v12
	s_cselect_b32 s73, -1, 0
	s_delay_alu instid0(VALU_DEP_3) | instskip(SKIP_1) | instid1(VALU_DEP_2)
	v_lshl_add_u64 v[188:189], v[6:7], 4, s[4:5]
	s_cmp_eq_u32 s30, 0
	v_dual_lshlrev_b32 v16, 6, v12 :: v_dual_bitop2_b32 v17, 1, v14 bitop3:0x54
	s_cselect_b32 s1, -1, 0
	s_ashr_i32 s59, s58, 31
	v_cmp_ge_u32_e64 s8, v14, v4
	v_ashrrev_i32_e32 v3, 31, v2
	s_lshl_b64 s[4:5], s[58:59], 4
	v_mul_u32_u24_e32 v19, 0x210, v17
	v_cmp_eq_u32_e64 s9, v17, v4
	v_mul_u32_u24_e32 v17, 33, v4
	v_lshlrev_b64_e32 v[6:7], 4, v[2:3]
	v_dual_mov_b32 v2, 0 :: v_dual_lshlrev_b32 v3, 4, v4
	s_add_nc_u64 s[4:5], s[6:7], s[4:5]
	v_cmp_le_u32_e64 s6, v14, v4
	v_cmp_eq_u32_e64 s7, v14, v4
	s_delay_alu instid0(VALU_DEP_3)
	v_mov_b32_e32 v5, v2
	v_lshl_or_b32 v15, v4, 9, v3
	v_add_nc_u64_e32 v[8:9], s[4:5], v[6:7]
	s_set_vgpr_msb 64                       ;  msbs: dst=1 src0=0 src1=0 src2=0
	v_lshlrev_b32_e32 v27 /*v283*/, 4, v17
	s_mul_i32 s4, s66, s58
	s_ashr_i32 s51, s50, 31
	v_add_nc_u32_e32 v26 /*v282*/, v15, v16
	s_set_vgpr_msb 0                        ;  msbs: dst=0 src0=0 src1=0 src2=0
	v_or_b32_e32 v15, 2, v14
	v_or_b32_e32 v14, 3, v14
	s_ashr_i32 s5, s4, 31
	s_mul_u64 s[2:3], s[2:3], s[50:51]
	v_lshl_add_u64 v[190:191], s[4:5], 4, v[8:9]
	v_cmp_le_u32_e64 s10, v15, v4
	v_cmp_eq_u32_e64 s11, v15, v4
	v_dual_lshlrev_b32 v15, 4, v12 :: v_dual_add_nc_u32 v8, 8, v12
	v_add_nc_u32_e32 v9, 16, v12
	s_set_vgpr_msb 0x41                     ;  msbs: dst=1 src0=1 src1=0 src2=0
	v_lshlrev_b32_e32 v30 /*v286*/, 2, v1
	s_lshl_b64 s[2:3], s[2:3], 4
	v_add_nc_u32_e32 v29 /*v285*/, v27 /*v283*/, v15
	s_sub_co_i32 s19, s30, 32
	s_add_nc_u64 s[42:43], s[42:43], s[2:3]
	v_cmp_le_i32_e64 s3, s30, v8
	v_cmp_le_i32_e64 s17, s19, v8
	s_set_vgpr_msb 20                       ;  msbs: dst=0 src0=0 src1=1 src2=1
	v_mad_u32 v8, s66, v30 /*v286*/, v22 /*v278*/
	s_set_vgpr_msb 0                        ;  msbs: dst=0 src0=0 src1=0 src2=0
	v_cmp_le_i32_e64 s5, s30, v13
	v_cmp_le_i32_e64 s16, s19, v12
	v_cmp_le_i32_e64 s18, s19, v9
	v_cmp_le_i32_e64 s19, s19, v13
	v_and_b32_e32 v13, 15, v0
	v_and_b32_e32 v0, 48, v0
	v_cmp_le_i32_e64 s4, s30, v9
	s_lshl_b32 s56, s66, 5
	s_set_vgpr_msb 0x50                     ;  msbs: dst=1 src0=0 src1=0 src2=1
	v_mad_u32_u24 v37 /*v293*/, 0x430, v1, v23 /*v279*/
	s_ashr_i32 s57, s56, 31
	s_set_vgpr_msb 0                        ;  msbs: dst=0 src0=0 src1=0 src2=0
	v_ashrrev_i32_e32 v9, 31, v8
	v_lshlrev_b32_e32 v0, 4, v0
	s_set_vgpr_msb 4                        ;  msbs: dst=0 src0=0 src1=1 src2=0
	v_or_b32_e32 v10, 0xf0, v23 /*v279*/
	s_or_b32 s23, s1, vcc_lo
	s_lshl_b32 s46, s66, 3
	s_lshl_b32 s52, s66, 4
	s_set_vgpr_msb 64                       ;  msbs: dst=1 src0=0 src1=0 src2=0
	v_mad_u32_u24 v35 /*v291*/, 0x430, v13, v0
	s_set_vgpr_msb 0                        ;  msbs: dst=0 src0=0 src1=0 src2=0
	v_add_nc_u64_e32 v[0:1], s[56:57], v[8:9]
	s_mul_i32 s54, s66, 24
	s_mul_i32 s58, s22, s58
	s_add_co_i32 s70, s50, 1
	s_xor_b32 s74, s23, -1
	s_ashr_i32 s31, s30, 31
	v_cmp_le_i32_e64 s2, s30, v12
	s_set_vgpr_msb 64                       ;  msbs: dst=1 src0=0 src1=0 src2=0
	v_mad_u32_u24 v24 /*v280*/, 0x210, v12, v3
	s_ashr_i32 s47, s46, 31
	s_ashr_i32 s53, s52, 31
	;; [unrolled: 1-line block ×3, first 2 shown]
	s_set_vgpr_msb 0                        ;  msbs: dst=0 src0=0 src1=0 src2=0
	v_mul_u32_u24_e32 v18, 0x840, v12
	v_cmp_gt_u32_e64 s14, 32, v11
	v_cmp_eq_u32_e64 s20, 1, v12
	s_set_vgpr_msb 64                       ;  msbs: dst=1 src0=0 src1=0 src2=0
	v_mul_i32_i24_e32 v31 /*v287*/, 0xffffffd0, v12
	s_ashr_i32 s59, s58, 31
	s_set_vgpr_msb 0                        ;  msbs: dst=0 src0=0 src1=0 src2=0
	v_lshrrev_b32_e32 v12, 4, v11
	v_cmp_gt_u32_e64 s21, 64, v11
	s_set_vgpr_msb 64                       ;  msbs: dst=1 src0=0 src1=0 src2=0
	v_mad_u32_u24 v36 /*v292*/, 0x430, v13, v10
	s_set_vgpr_msb 0                        ;  msbs: dst=0 src0=0 src1=0 src2=0
	v_lshlrev_b64_e32 v[10:11], 4, v[0:1]
	s_cmp_lt_u32 s70, s48
	s_mul_i32 s77, s22, s70
	s_cselect_b32 s49, -1, 0
	s_lshl_b32 s75, s22, 6
	s_and_b32 s76, s0, s23
	s_mul_u64 s[22:23], s[52:53], 48
	s_lshl_b64 s[80:81], s[66:67], 5
	s_lshl_b32 s62, s66, 1
	s_add_nc_u64 s[22:23], s[22:23], s[80:81]
	s_ashr_i32 s63, s62, 31
	v_add_nc_u64_e32 v[194:195], s[22:23], v[10:11]
	s_mul_i32 s64, s66, 3
	s_lshl_b64 s[78:79], s[56:57], 4
	s_lshl_b64 s[22:23], s[62:63], 4
	s_ashr_i32 s65, s64, 31
	s_add_nc_u64 s[70:71], s[78:79], s[22:23]
	s_lshl_b64 s[68:69], s[66:67], 4
	v_or_b32_e32 v194, 8, v194
	v_lshlrev_b64_e32 v[8:9], 4, v[8:9]
	v_cmp_le_u32_e64 s12, v14, v4
	v_cmp_eq_u32_e64 s13, v14, v4
	v_dual_ashrrev_i32 v187, 31, v186 :: v_dual_bitop2_b32 v14, 32, v4 bitop3:0x54
	s_add_nc_u64 s[62:63], s[68:69], s[78:79]
	v_mad_nc_i64_i32 v[200:201], s52, 48, v[10:11]
	v_add_nc_u64_e32 v[198:199], s[70:71], v[8:9]
	s_lshl_b64 s[70:71], s[64:65], 4
	s_add_nc_u64 s[64:65], s[80:81], s[78:79]
	s_lshl_b64 s[80:81], s[52:53], 4
	s_add_nc_u64 s[82:83], s[78:79], s[70:71]
	v_add_nc_u64_e32 v[196:197], s[62:63], v[8:9]
	v_add_nc_u64_e32 v[202:203], s[82:83], v[8:9]
	s_add_nc_u64 s[62:63], s[62:63], s[80:81]
	s_lshl_b64 s[82:83], s[52:53], 5
	s_add_nc_u64 s[84:85], s[78:79], s[80:81]
	v_add_nc_u64_e32 v[206:207], s[62:63], v[8:9]
	s_add_nc_u64 s[62:63], s[64:65], s[82:83]
	v_cmp_gt_i32_e64 s15, s30, v14
	v_dual_lshlrev_b32 v14, 6, v12 :: v_dual_bitop2_b32 v198, 8, v198 bitop3:0x54
	v_add_nc_u64_e32 v[204:205], s[84:85], v[8:9]
	s_add_nc_u64 s[86:87], s[84:85], s[22:23]
	v_add_nc_u64_e32 v[208:209], s[62:63], v[8:9]
	s_add_nc_u64 s[62:63], s[82:83], s[78:79]
	s_add_nc_u64 s[84:85], s[84:85], s[70:71]
	v_add_nc_u64_e32 v[0:1], s[78:79], v[8:9]
	v_add_nc_u64_e32 v[210:211], s[86:87], v[8:9]
	;; [unrolled: 1-line block ×4, first 2 shown]
	s_set_vgpr_msb 64                       ;  msbs: dst=1 src0=0 src1=0 src2=0
	v_mad_u32_u24 v34 /*v290*/, 0x430, v13, v14
	s_set_vgpr_msb 0                        ;  msbs: dst=0 src0=0 src1=0 src2=0
	v_mul_i32_i24_e32 v12, 0xffffffd0, v12
	s_add_nc_u64 s[78:79], s[62:63], s[70:71]
	s_add_nc_u64 s[82:83], s[62:63], s[22:23]
	;; [unrolled: 1-line block ×4, first 2 shown]
	v_sub_nc_u64_e32 v[192:193], 0, v[6:7]
	v_add_nc_u64_e32 v[216:217], s[64:65], v[8:9]
	v_add_nc_u64_e32 v[218:219], s[78:79], v[8:9]
	;; [unrolled: 1-line block ×5, first 2 shown]
	v_sub_nc_u64_e32 v[226:227], 0, v[4:5]
	v_add_nc_u64_e32 v[230:231], s[70:71], v[200:201]
	v_add_nc_u64_e32 v[232:233], s[22:23], v[200:201]
	;; [unrolled: 1-line block ×3, first 2 shown]
	v_cmp_gt_i32_e64 s1, s30, v4
	s_set_vgpr_msb 64                       ;  msbs: dst=1 src0=0 src1=0 src2=0
	v_mad_u32_u24 v25 /*v281*/, 0x210, v4, v3
	v_add_nc_u32_e32 v28 /*v284*/, 0x4700, v16
	v_add_nc_u32_e32 v38 /*v294*/, 0x4700, v15
	s_set_vgpr_msb 0                        ;  msbs: dst=0 src0=0 src1=0 src2=0
	v_or_b32_e32 v0, 8, v0
	v_or_b32_e32 v196, 8, v196
	v_dual_lshlrev_b32 v228, 4, v4 :: v_dual_bitop2_b32 v202, 8, v202 bitop3:0x54
	v_or_b32_e32 v204, 8, v204
	v_or_b32_e32 v206, 8, v206
	;; [unrolled: 1-line block ×4, first 2 shown]
	s_set_vgpr_msb 64                       ;  msbs: dst=1 src0=0 src1=0 src2=0
	v_dual_add_nc_u32 v39 /*v295*/, v3, v18 :: v_dual_add_nc_u32 v40 /*v296*/, v3, v19
	s_set_vgpr_msb 0                        ;  msbs: dst=0 src0=0 src1=0 src2=0
	v_or_b32_e32 v212, 8, v212
	v_or_b32_e32 v214, 8, v214
	s_set_vgpr_msb 0x41                     ;  msbs: dst=1 src0=1 src1=0 src2=0
	v_dual_add_nc_u32 v41 /*v297*/, v34 /*v290*/, v12 :: v_dual_add_nc_u32 v65 /*v321*/, 64, v186
	s_set_vgpr_msb 0x44                     ;  msbs: dst=1 src0=0 src1=1 src2=0
	v_add_nc_u32_e32 v42 /*v298*/, 0x4700, v23 /*v279*/
	v_add_nc_u32_e32 v43 /*v299*/, 0x1080, v24 /*v280*/
	v_add_nc_u32_e32 v44 /*v300*/, 0x2100, v24 /*v280*/
	v_add_nc_u32_e32 v45 /*v301*/, 0x3180, v24 /*v280*/
	v_dual_add_nc_u32 v46 /*v302*/, 16, v26 /*v282*/ :: v_dual_add_nc_u32 v47 /*v303*/, 32, v26 /*v282*/
	v_add_nc_u32_e32 v48 /*v304*/, 48, v26 /*v282*/
	v_add_nc_u32_e32 v49 /*v305*/, 0x4300, v23 /*v279*/
	v_dual_add_nc_u32 v53 /*v309*/, 16, v30 /*v286*/ :: v_dual_bitop2_b32 v50 /*v306*/, 1, v30 /*v286*/ bitop3:0x54
	v_dual_add_nc_u32 v54 /*v310*/, 17, v30 /*v286*/ :: v_dual_bitop2_b32 v51 /*v307*/, 2, v30 /*v286*/ bitop3:0x54
	;; [unrolled: 1-line block ×3, first 2 shown]
	v_dual_add_nc_u32 v56 /*v312*/, 19, v30 /*v286*/ :: v_dual_add_nc_u32 v57 /*v313*/, 32, v30 /*v286*/
	v_dual_add_nc_u32 v58 /*v314*/, 33, v30 /*v286*/ :: v_dual_add_nc_u32 v59 /*v315*/, 34, v30 /*v286*/
	;; [unrolled: 1-line block ×4, first 2 shown]
	v_add_nc_u32_e32 v64 /*v320*/, 51, v30 /*v286*/
	s_sub_nc_u64 s[58:59], 0, s[58:59]
	s_add_co_i32 s51, s48, -2
	s_sub_nc_u64 s[60:61], 0, s[30:31]
	s_mov_b64 s[62:63], 0xfffffffffffffe00
	s_mov_b64 s[64:65], 0xfffffffffffffdf0
	s_lshl_b64 s[66:67], s[66:67], 7
	s_lshl_b32 s77, s77, 6
	s_lshl_b64 s[68:69], s[52:53], 6
	s_set_vgpr_msb 0                        ;  msbs: dst=0 src0=0 src1=0 src2=0
	s_branch .LBB18_4
.LBB18_2:                               ;   in Loop: Header=BB18_4 Depth=1
	s_wait_xcnt 0x0
	s_or_b32 exec_lo, exec_lo, s70
.LBB18_3:                               ;   in Loop: Header=BB18_4 Depth=1
	s_add_co_i32 s34, s34, 0x10000
	s_delay_alu instid0(SALU_CYCLE_1)
	s_cmp_lt_u32 s34, s33
	s_cbranch_scc0 .LBB18_189
.LBB18_4:                               ; =>This Loop Header: Depth=1
                                        ;     Child Loop BB18_113 Depth 2
	s_mul_u64 s[22:23], s[26:27], s[34:35]
	s_delay_alu instid0(SALU_CYCLE_1) | instskip(NEXT) | instid1(SALU_CYCLE_1)
	s_lshl_b64 s[22:23], s[22:23], 4
	s_add_nc_u64 s[22:23], s[24:25], s[22:23]
	global_load_b128 v[4:7], v2, s[22:23]
	s_wait_loadcnt 0x0
	v_cmp_neq_f64_e32 vcc_lo, 0, v[4:5]
	s_wait_xcnt 0x0
	v_cmp_neq_f64_e64 s22, 0, v[6:7]
	s_or_b32 s23, vcc_lo, s22
	s_mov_b32 s22, -1
	s_and_b32 vcc_lo, exec_lo, s23
	s_cbranch_vccnz .LBB18_6
; %bb.5:                                ;   in Loop: Header=BB18_4 Depth=1
	s_mul_u64 s[70:71], s[40:41], s[34:35]
	s_delay_alu instid0(SALU_CYCLE_1) | instskip(NEXT) | instid1(SALU_CYCLE_1)
	s_lshl_b64 s[70:71], s[70:71], 4
	s_add_nc_u64 s[70:71], s[38:39], s[70:71]
	global_load_b128 v[4:7], v2, s[70:71]
	s_wait_loadcnt 0x0
	v_cmp_neq_f64_e32 vcc_lo, 1.0, v[4:5]
	v_cmp_neq_f64_e64 s22, 0, v[6:7]
	s_or_b32 s22, vcc_lo, s22
.LBB18_6:                               ;   in Loop: Header=BB18_4 Depth=1
	s_delay_alu instid0(SALU_CYCLE_1)
	s_and_not1_b32 vcc_lo, exec_lo, s22
	s_cbranch_vccnz .LBB18_3
; %bb.7:                                ;   in Loop: Header=BB18_4 Depth=1
	s_and_not1_b32 vcc_lo, exec_lo, s23
	s_cbranch_vccnz .LBB18_3
; %bb.8:                                ;   in Loop: Header=BB18_4 Depth=1
	s_mul_u64 s[22:23], s[36:37], s[34:35]
	s_delay_alu instid0(SALU_CYCLE_1)
	v_lshl_add_u64 v[42:43], s[22:23], 4, v[188:189]
	s_wait_xcnt 0x0
	s_and_saveexec_b32 s22, s0
	s_cbranch_execz .LBB18_13
; %bb.9:                                ;   in Loop: Header=BB18_4 Depth=1
	s_and_saveexec_b32 s23, s74
	s_delay_alu instid0(SALU_CYCLE_1)
	s_xor_b32 s23, exec_lo, s23
; %bb.10:                               ;   in Loop: Header=BB18_4 Depth=1
	v_dual_mov_b32 v3, v2 :: v_dual_mov_b32 v4, v2
	v_mov_b32_e32 v5, v2
	s_set_vgpr_msb 1                        ;  msbs: dst=0 src0=1 src1=0 src2=0
	ds_store_b128 v42 /*v298*/, v[2:5]
; %bb.11:                               ;   in Loop: Header=BB18_4 Depth=1
	s_and_not1_saveexec_b32 s23, s23
	s_set_vgpr_msb 0                        ;  msbs: dst=0 src0=0 src1=0 src2=0
	s_cbranch_execz .LBB18_13
; %bb.12:                               ;   in Loop: Header=BB18_4 Depth=1
	global_load_b128 v[4:7], v[42:43], off
	s_wait_loadcnt 0x0
	s_set_vgpr_msb 1                        ;  msbs: dst=0 src0=1 src1=0 src2=0
	ds_store_2addr_b64 v42 /*v298*/, v[4:5], v[6:7] offset1:1
.LBB18_13:                              ;   in Loop: Header=BB18_4 Depth=1
	s_wait_xcnt 0x0
	s_or_b32 exec_lo, exec_lo, s22
	s_mul_u64 s[22:23], s[44:45], s[34:35]
	s_and_b32 vcc_lo, exec_lo, s73
	s_set_vgpr_msb 0                        ;  msbs: dst=0 src0=0 src1=0 src2=0
	v_lshl_add_u64 v[6:7], s[22:23], 4, v[190:191]
	s_mov_b32 s22, -1
                                        ; implicit-def: $vgpr10_vgpr11
	s_cbranch_vccz .LBB18_25
; %bb.14:                               ;   in Loop: Header=BB18_4 Depth=1
	s_and_saveexec_b32 s22, s2
	s_delay_alu instid0(SALU_CYCLE_1)
	s_xor_b32 s22, exec_lo, s22
; %bb.15:                               ;   in Loop: Header=BB18_4 Depth=1
	v_dual_mov_b32 v3, v2 :: v_dual_mov_b32 v4, v2
	v_mov_b32_e32 v5, v2
	s_set_vgpr_msb 1                        ;  msbs: dst=0 src0=1 src1=0 src2=0
	ds_store_b128 v24 /*v280*/, v[2:5]
; %bb.16:                               ;   in Loop: Header=BB18_4 Depth=1
	s_or_saveexec_b32 s22, s22
	s_set_vgpr_msb 0                        ;  msbs: dst=0 src0=0 src1=0 src2=0
	v_lshl_add_u64 v[4:5], v[226:227], 4, v[6:7]
	s_delay_alu instid0(VALU_DEP_1) | instskip(NEXT) | instid1(VALU_DEP_1)
	v_lshl_add_u64 v[4:5], s[30:31], 4, v[4:5]
	v_add_nc_u64_e32 v[4:5], -16, v[4:5]
	s_delay_alu instid0(VALU_DEP_1)
	v_dual_cndmask_b32 v9, v5, v7, s1 :: v_dual_cndmask_b32 v8, v4, v6, s1
	s_xor_b32 exec_lo, exec_lo, s22
	s_cbranch_execnz .LBB18_171
; %bb.17:                               ;   in Loop: Header=BB18_4 Depth=1
	s_or_b32 exec_lo, exec_lo, s22
	s_and_saveexec_b32 s22, s3
	s_delay_alu instid0(SALU_CYCLE_1)
	s_xor_b32 s22, exec_lo, s22
	s_cbranch_execnz .LBB18_172
.LBB18_18:                              ;   in Loop: Header=BB18_4 Depth=1
	s_and_not1_saveexec_b32 s22, s22
	s_cbranch_execnz .LBB18_173
.LBB18_19:                              ;   in Loop: Header=BB18_4 Depth=1
	s_or_b32 exec_lo, exec_lo, s22
	s_and_saveexec_b32 s22, s4
	s_delay_alu instid0(SALU_CYCLE_1)
	s_xor_b32 s22, exec_lo, s22
	s_cbranch_execnz .LBB18_174
.LBB18_20:                              ;   in Loop: Header=BB18_4 Depth=1
	s_and_not1_saveexec_b32 s22, s22
	s_cbranch_execnz .LBB18_175
.LBB18_21:                              ;   in Loop: Header=BB18_4 Depth=1
	s_or_b32 exec_lo, exec_lo, s22
	s_and_saveexec_b32 s22, s5
	s_delay_alu instid0(SALU_CYCLE_1)
	s_xor_b32 s22, exec_lo, s22
	s_cbranch_execnz .LBB18_176
.LBB18_22:                              ;   in Loop: Header=BB18_4 Depth=1
	s_and_not1_saveexec_b32 s22, s22
	s_cbranch_execz .LBB18_24
.LBB18_23:                              ;   in Loop: Header=BB18_4 Depth=1
	v_lshl_add_u64 v[4:5], s[54:55], 4, v[8:9]
	global_load_b128 v[10:13], v[4:5], off
	s_wait_loadcnt 0x0
	s_set_vgpr_msb 1                        ;  msbs: dst=0 src0=1 src1=0 src2=0
	ds_store_2addr_b64 v45 /*v301*/, v[10:11], v[12:13] offset1:1
.LBB18_24:                              ;   in Loop: Header=BB18_4 Depth=1
	s_wait_xcnt 0x0
	s_or_b32 exec_lo, exec_lo, s22
	s_set_vgpr_msb 0                        ;  msbs: dst=0 src0=0 src1=0 src2=0
	v_mov_b32_e32 v229, v2
	s_mov_b32 s22, 0
	s_delay_alu instid0(VALU_DEP_1) | instskip(NEXT) | instid1(VALU_DEP_1)
	v_add_nc_u64_e32 v[4:5], v[8:9], v[228:229]
	v_lshl_add_u64 v[4:5], s[60:61], 4, v[4:5]
	s_delay_alu instid0(VALU_DEP_1) | instskip(NEXT) | instid1(VALU_DEP_1)
	v_add_nc_u64_e32 v[4:5], 16, v[4:5]
	v_dual_cndmask_b32 v11, v5, v7, s1 :: v_dual_cndmask_b32 v10, v4, v6, s1
.LBB18_25:                              ;   in Loop: Header=BB18_4 Depth=1
	s_and_b32 vcc_lo, exec_lo, s22
	s_cbranch_vccz .LBB18_27
; %bb.26:                               ;   in Loop: Header=BB18_4 Depth=1
	v_lshl_add_u64 v[4:5], s[46:47], 4, v[6:7]
	s_delay_alu instid0(VALU_DEP_1) | instskip(NEXT) | instid1(VALU_DEP_1)
	v_add_nc_u64_e32 v[8:9], s[66:67], v[4:5]
	v_add_nc_u64_e32 v[10:11], s[66:67], v[8:9]
	s_clause 0x3
	global_load_b128 v[12:15], v[6:7], off
	global_load_b128 v[16:19], v[4:5], off
	;; [unrolled: 1-line block ×4, first 2 shown]
	s_wait_xcnt 0x0
	v_mov_b64_e32 v[10:11], v[6:7]
	s_wait_loadcnt 0x3
	s_set_vgpr_msb 1                        ;  msbs: dst=0 src0=1 src1=0 src2=0
	ds_store_2addr_b64 v24 /*v280*/, v[12:13], v[14:15] offset1:1
	s_wait_loadcnt 0x2
	ds_store_2addr_b64 v43 /*v299*/, v[16:17], v[18:19] offset1:1
	s_wait_loadcnt 0x1
	;; [unrolled: 2-line block ×3, first 2 shown]
	ds_store_2addr_b64 v45 /*v301*/, v[24:25], v[26:27] offset1:1
.LBB18_27:                              ;   in Loop: Header=BB18_4 Depth=1
	s_mov_b32 s22, 0
	s_wait_dscnt 0x0
	s_barrier_signal -1
	s_barrier_wait -1
	s_and_saveexec_b32 s23, s6
	s_delay_alu instid0(SALU_CYCLE_1)
	s_xor_b32 s23, exec_lo, s23
; %bb.28:                               ;   in Loop: Header=BB18_4 Depth=1
	s_and_b32 s22, s7, exec_lo
; %bb.29:                               ;   in Loop: Header=BB18_4 Depth=1
	s_or_saveexec_b32 s23, s23
	s_set_vgpr_msb 1                        ;  msbs: dst=0 src0=1 src1=0 src2=0
	v_mov_b64_e32 v[6:7], 0
	v_mov_b32_e32 v3, v25 /*v281*/
	s_xor_b32 exec_lo, exec_lo, s23
	s_set_vgpr_msb 0                        ;  msbs: dst=0 src0=0 src1=0 src2=0
	s_cbranch_execz .LBB18_31
; %bb.30:                               ;   in Loop: Header=BB18_4 Depth=1
	s_set_vgpr_msb 1                        ;  msbs: dst=0 src0=1 src1=0 src2=0
	ds_load_b128 v[4:7], v39 /*v295*/
	v_mov_b32_e32 v3, v26 /*v282*/
	s_or_b32 s22, s22, exec_lo
	s_wait_dscnt 0x0
	v_xor_b32_e32 v7, 0x80000000, v7
	ds_store_b64 v26 /*v282*/, v[4:5]
.LBB18_31:                              ;   in Loop: Header=BB18_4 Depth=1
	s_or_b32 exec_lo, exec_lo, s23
	s_and_saveexec_b32 s23, s22
; %bb.32:                               ;   in Loop: Header=BB18_4 Depth=1
	s_set_vgpr_msb 0                        ;  msbs: dst=0 src0=0 src1=0 src2=0
	ds_store_b64 v3, v[6:7] offset:8
; %bb.33:                               ;   in Loop: Header=BB18_4 Depth=1
	s_or_b32 exec_lo, exec_lo, s23
	s_mov_b32 s22, 0
                                        ; implicit-def: $vgpr6_vgpr7
	s_and_saveexec_b32 s23, s8
	s_delay_alu instid0(SALU_CYCLE_1)
	s_xor_b32 s23, exec_lo, s23
	s_cbranch_execnz .LBB18_167
; %bb.34:                               ;   in Loop: Header=BB18_4 Depth=1
	s_or_saveexec_b32 s23, s23
	s_set_vgpr_msb 1                        ;  msbs: dst=0 src0=1 src1=0 src2=0
	v_mov_b32_e32 v3, v46 /*v302*/
	s_xor_b32 exec_lo, exec_lo, s23
	s_set_vgpr_msb 0                        ;  msbs: dst=0 src0=0 src1=0 src2=0
	s_cbranch_execnz .LBB18_168
.LBB18_35:                              ;   in Loop: Header=BB18_4 Depth=1
	s_or_b32 exec_lo, exec_lo, s23
	s_and_saveexec_b32 s23, s22
.LBB18_36:                              ;   in Loop: Header=BB18_4 Depth=1
	ds_store_b64 v3, v[6:7] offset:8
.LBB18_37:                              ;   in Loop: Header=BB18_4 Depth=1
	s_or_b32 exec_lo, exec_lo, s23
	s_mov_b32 s22, 0
	s_and_saveexec_b32 s23, s10
	s_delay_alu instid0(SALU_CYCLE_1)
	s_xor_b32 s23, exec_lo, s23
; %bb.38:                               ;   in Loop: Header=BB18_4 Depth=1
	s_and_b32 s22, s11, exec_lo
; %bb.39:                               ;   in Loop: Header=BB18_4 Depth=1
	s_or_saveexec_b32 s23, s23
	v_mov_b64_e32 v[6:7], 0
	s_set_vgpr_msb 1                        ;  msbs: dst=0 src0=1 src1=0 src2=0
	v_mov_b32_e32 v3, v25 /*v281*/
	s_xor_b32 exec_lo, exec_lo, s23
	s_set_vgpr_msb 0                        ;  msbs: dst=0 src0=0 src1=0 src2=0
	s_cbranch_execz .LBB18_41
; %bb.40:                               ;   in Loop: Header=BB18_4 Depth=1
	s_set_vgpr_msb 1                        ;  msbs: dst=0 src0=1 src1=0 src2=0
	ds_load_b128 v[4:7], v40 /*v296*/ offset:528
	v_mov_b32_e32 v3, v47 /*v303*/
	s_or_b32 s22, s22, exec_lo
	s_wait_dscnt 0x0
	v_xor_b32_e32 v7, 0x80000000, v7
	ds_store_b64 v47 /*v303*/, v[4:5]
.LBB18_41:                              ;   in Loop: Header=BB18_4 Depth=1
	s_or_b32 exec_lo, exec_lo, s23
	s_and_saveexec_b32 s23, s22
; %bb.42:                               ;   in Loop: Header=BB18_4 Depth=1
	s_set_vgpr_msb 0                        ;  msbs: dst=0 src0=0 src1=0 src2=0
	ds_store_b64 v3, v[6:7] offset:8
; %bb.43:                               ;   in Loop: Header=BB18_4 Depth=1
	s_or_b32 exec_lo, exec_lo, s23
	s_mov_b32 s22, 0
	s_and_saveexec_b32 s23, s12
	s_delay_alu instid0(SALU_CYCLE_1)
	s_xor_b32 s23, exec_lo, s23
; %bb.44:                               ;   in Loop: Header=BB18_4 Depth=1
	s_and_b32 s22, s13, exec_lo
; %bb.45:                               ;   in Loop: Header=BB18_4 Depth=1
	s_or_saveexec_b32 s23, s23
	v_mov_b64_e32 v[6:7], 0
	s_set_vgpr_msb 1                        ;  msbs: dst=0 src0=1 src1=0 src2=0
	v_mov_b32_e32 v3, v25 /*v281*/
	s_xor_b32 exec_lo, exec_lo, s23
	s_set_vgpr_msb 0                        ;  msbs: dst=0 src0=0 src1=0 src2=0
	s_cbranch_execz .LBB18_47
; %bb.46:                               ;   in Loop: Header=BB18_4 Depth=1
	s_set_vgpr_msb 1                        ;  msbs: dst=0 src0=1 src1=0 src2=0
	ds_load_b128 v[4:7], v40 /*v296*/ offset:1056
	v_mov_b32_e32 v3, v48 /*v304*/
	s_or_b32 s22, s22, exec_lo
	s_wait_dscnt 0x0
	v_xor_b32_e32 v7, 0x80000000, v7
	ds_store_b64 v48 /*v304*/, v[4:5]
.LBB18_47:                              ;   in Loop: Header=BB18_4 Depth=1
	s_or_b32 exec_lo, exec_lo, s23
	s_and_saveexec_b32 s23, s22
; %bb.48:                               ;   in Loop: Header=BB18_4 Depth=1
	s_set_vgpr_msb 0                        ;  msbs: dst=0 src0=0 src1=0 src2=0
	ds_store_b64 v3, v[6:7] offset:8
; %bb.49:                               ;   in Loop: Header=BB18_4 Depth=1
	s_or_b32 exec_lo, exec_lo, s23
	s_wait_dscnt 0x0
	s_barrier_signal -1
	s_barrier_wait -1
	s_set_vgpr_msb 1                        ;  msbs: dst=0 src0=1 src1=0 src2=0
	ds_load_b128 v[4:7], v39 /*v295*/
	ds_load_b128 v[12:15], v28 /*v284*/
	ds_load_b128 v[16:19], v28 /*v284*/ offset:16
	ds_load_b128 v[20:23], v40 /*v296*/
	s_wait_dscnt 0x2
	s_set_vgpr_msb 0                        ;  msbs: dst=0 src0=0 src1=0 src2=0
	v_mul_f64_e32 v[8:9], v[14:15], v[6:7]
	v_mul_f64_e32 v[30:31], v[12:13], v[6:7]
	s_wait_dscnt 0x0
	v_mul_f64_e32 v[32:33], v[18:19], v[22:23]
	v_mul_f64_e32 v[34:35], v[16:17], v[22:23]
	s_delay_alu instid0(VALU_DEP_4) | instskip(NEXT) | instid1(VALU_DEP_4)
	v_fma_f64 v[8:9], v[12:13], v[4:5], -v[8:9]
	v_fmac_f64_e32 v[30:31], v[14:15], v[4:5]
	s_set_vgpr_msb 1                        ;  msbs: dst=0 src0=1 src1=0 src2=0
	ds_load_b128 v[4:7], v40 /*v296*/ offset:528
	ds_load_b128 v[12:15], v28 /*v284*/ offset:32
	;; [unrolled: 1-line block ×4, first 2 shown]
	s_set_vgpr_msb 0                        ;  msbs: dst=0 src0=0 src1=0 src2=0
	v_fma_f64 v[16:17], v[16:17], v[20:21], -v[32:33]
	v_fmac_f64_e32 v[34:35], v[18:19], v[20:21]
	s_wait_dscnt 0x0
	s_barrier_signal -1
	s_barrier_wait -1
	v_mul_f64_e32 v[36:37], v[14:15], v[6:7]
	v_mul_f64_e32 v[6:7], v[12:13], v[6:7]
	;; [unrolled: 1-line block ×4, first 2 shown]
	v_add_f64_e32 v[8:9], 0, v[8:9]
	v_add_f64_e32 v[18:19], 0, v[30:31]
	v_fma_f64 v[12:13], v[12:13], v[4:5], -v[36:37]
	v_fmac_f64_e32 v[6:7], v[14:15], v[4:5]
	v_fma_f64 v[14:15], v[22:23], v[26:27], -v[20:21]
	v_fmac_f64_e32 v[28:29], v[24:25], v[26:27]
	v_add_f64_e32 v[4:5], v[8:9], v[16:17]
	v_add_f64_e32 v[8:9], v[18:19], v[34:35]
	s_delay_alu instid0(VALU_DEP_2) | instskip(NEXT) | instid1(VALU_DEP_2)
	v_add_f64_e32 v[4:5], v[4:5], v[12:13]
	v_add_f64_e32 v[6:7], v[8:9], v[6:7]
	v_mov_b64_e32 v[8:9], 0
	s_delay_alu instid0(VALU_DEP_3) | instskip(NEXT) | instid1(VALU_DEP_3)
	v_add_f64_e32 v[12:13], v[4:5], v[14:15]
	v_add_f64_e32 v[14:15], v[6:7], v[28:29]
	v_mov_b64_e32 v[6:7], 0
	s_set_vgpr_msb 1                        ;  msbs: dst=0 src0=1 src1=0 src2=0
	ds_store_b128 v29 /*v285*/, v[12:15]
	s_wait_dscnt 0x0
	s_barrier_signal -1
	s_barrier_wait -1
	s_and_saveexec_b32 s22, s14
	s_set_vgpr_msb 0                        ;  msbs: dst=0 src0=0 src1=0 src2=0
	s_cbranch_execz .LBB18_51
; %bb.50:                               ;   in Loop: Header=BB18_4 Depth=1
	s_set_vgpr_msb 1                        ;  msbs: dst=0 src0=1 src1=0 src2=0
	ds_load_b128 v[4:7], v27 /*v283*/
	ds_load_b128 v[12:15], v27 /*v283*/ offset:16
	s_wait_dscnt 0x0
	s_set_vgpr_msb 0                        ;  msbs: dst=0 src0=0 src1=0 src2=0
	v_add_f64_e32 v[8:9], v[12:13], v[4:5]
	v_add_f64_e32 v[16:17], v[14:15], v[6:7]
	s_set_vgpr_msb 1                        ;  msbs: dst=0 src0=1 src1=0 src2=0
	ds_load_b128 v[4:7], v27 /*v283*/ offset:32
	ds_load_b128 v[12:15], v27 /*v283*/ offset:48
	s_wait_dscnt 0x1
	s_set_vgpr_msb 0                        ;  msbs: dst=0 src0=0 src1=0 src2=0
	v_add_f64_e32 v[4:5], v[8:9], v[4:5]
	v_add_f64_e32 v[6:7], v[16:17], v[6:7]
	s_wait_dscnt 0x0
	s_delay_alu instid0(VALU_DEP_2) | instskip(NEXT) | instid1(VALU_DEP_2)
	v_add_f64_e32 v[8:9], v[4:5], v[12:13]
	v_add_f64_e32 v[16:17], v[6:7], v[14:15]
	s_set_vgpr_msb 1                        ;  msbs: dst=0 src0=1 src1=0 src2=0
	ds_load_b128 v[4:7], v27 /*v283*/ offset:64
	ds_load_b128 v[12:15], v27 /*v283*/ offset:80
	s_wait_dscnt 0x1
	s_set_vgpr_msb 0                        ;  msbs: dst=0 src0=0 src1=0 src2=0
	v_add_f64_e32 v[4:5], v[8:9], v[4:5]
	v_add_f64_e32 v[6:7], v[16:17], v[6:7]
	s_wait_dscnt 0x0
	s_delay_alu instid0(VALU_DEP_2) | instskip(NEXT) | instid1(VALU_DEP_2)
	;; [unrolled: 11-line block ×3, first 2 shown]
	v_add_f64_e32 v[6:7], v[4:5], v[12:13]
	v_add_f64_e32 v[8:9], v[8:9], v[14:15]
.LBB18_51:                              ;   in Loop: Header=BB18_4 Depth=1
	s_or_b32 exec_lo, exec_lo, s22
	v_lshl_add_u64 v[12:13], s[56:57], 4, v[10:11]
	s_and_b32 vcc_lo, exec_lo, s73
	s_mov_b32 s22, -1
	s_barrier_signal -1
	s_delay_alu instid0(VALU_DEP_1)
	v_add_nc_u64_e32 v[10:11], 0x200, v[12:13]
	s_barrier_wait -1
                                        ; implicit-def: $vgpr14_vgpr15
	s_cbranch_vccz .LBB18_63
; %bb.52:                               ;   in Loop: Header=BB18_4 Depth=1
	s_and_saveexec_b32 s22, s16
	s_delay_alu instid0(SALU_CYCLE_1)
	s_xor_b32 s22, exec_lo, s22
; %bb.53:                               ;   in Loop: Header=BB18_4 Depth=1
	v_dual_mov_b32 v3, v2 :: v_dual_mov_b32 v4, v2
	v_mov_b32_e32 v5, v2
	s_set_vgpr_msb 1                        ;  msbs: dst=0 src0=1 src1=0 src2=0
	ds_store_b128 v24 /*v280*/, v[2:5]
; %bb.54:                               ;   in Loop: Header=BB18_4 Depth=1
	s_or_saveexec_b32 s22, s22
	s_set_vgpr_msb 0                        ;  msbs: dst=0 src0=0 src1=0 src2=0
	v_lshl_add_u64 v[4:5], v[226:227], 4, v[12:13]
	s_delay_alu instid0(VALU_DEP_1) | instskip(NEXT) | instid1(VALU_DEP_1)
	v_lshl_add_u64 v[4:5], s[30:31], 4, v[4:5]
	v_add_nc_u64_e32 v[4:5], -16, v[4:5]
	s_delay_alu instid0(VALU_DEP_1)
	v_dual_cndmask_b32 v15, v5, v11, s15 :: v_dual_cndmask_b32 v14, v4, v10, s15
	s_xor_b32 exec_lo, exec_lo, s22
	s_cbranch_execnz .LBB18_177
; %bb.55:                               ;   in Loop: Header=BB18_4 Depth=1
	s_or_b32 exec_lo, exec_lo, s22
	s_and_saveexec_b32 s22, s17
	s_delay_alu instid0(SALU_CYCLE_1)
	s_xor_b32 s22, exec_lo, s22
	s_cbranch_execnz .LBB18_178
.LBB18_56:                              ;   in Loop: Header=BB18_4 Depth=1
	s_and_not1_saveexec_b32 s22, s22
	s_cbranch_execnz .LBB18_179
.LBB18_57:                              ;   in Loop: Header=BB18_4 Depth=1
	s_or_b32 exec_lo, exec_lo, s22
	s_and_saveexec_b32 s22, s18
	s_delay_alu instid0(SALU_CYCLE_1)
	s_xor_b32 s22, exec_lo, s22
	s_cbranch_execnz .LBB18_180
.LBB18_58:                              ;   in Loop: Header=BB18_4 Depth=1
	s_and_not1_saveexec_b32 s22, s22
	s_cbranch_execnz .LBB18_181
.LBB18_59:                              ;   in Loop: Header=BB18_4 Depth=1
	s_or_b32 exec_lo, exec_lo, s22
	s_and_saveexec_b32 s22, s19
	s_delay_alu instid0(SALU_CYCLE_1)
	s_xor_b32 s22, exec_lo, s22
	s_cbranch_execnz .LBB18_182
.LBB18_60:                              ;   in Loop: Header=BB18_4 Depth=1
	s_and_not1_saveexec_b32 s22, s22
	s_cbranch_execz .LBB18_62
.LBB18_61:                              ;   in Loop: Header=BB18_4 Depth=1
	v_lshl_add_u64 v[4:5], s[54:55], 4, v[14:15]
	global_load_b128 v[16:19], v[4:5], off
	s_wait_loadcnt 0x0
	s_set_vgpr_msb 1                        ;  msbs: dst=0 src0=1 src1=0 src2=0
	ds_store_2addr_b64 v45 /*v301*/, v[16:17], v[18:19] offset1:1
.LBB18_62:                              ;   in Loop: Header=BB18_4 Depth=1
	s_wait_xcnt 0x0
	s_or_b32 exec_lo, exec_lo, s22
	s_set_vgpr_msb 0                        ;  msbs: dst=0 src0=0 src1=0 src2=0
	v_mov_b32_e32 v229, v2
	s_mov_b32 s22, 0
	s_delay_alu instid0(VALU_DEP_1) | instskip(NEXT) | instid1(VALU_DEP_1)
	v_add_nc_u64_e32 v[4:5], v[14:15], v[228:229]
	v_lshl_add_u64 v[4:5], s[60:61], 4, v[4:5]
	s_delay_alu instid0(VALU_DEP_1) | instskip(NEXT) | instid1(VALU_DEP_1)
	v_add_nc_u64_e32 v[4:5], 0x210, v[4:5]
	v_dual_cndmask_b32 v15, v5, v11, s15 :: v_dual_cndmask_b32 v14, v4, v10, s15
.LBB18_63:                              ;   in Loop: Header=BB18_4 Depth=1
	s_and_b32 vcc_lo, exec_lo, s22
	s_cbranch_vccz .LBB18_65
; %bb.64:                               ;   in Loop: Header=BB18_4 Depth=1
	v_lshl_add_u64 v[4:5], s[46:47], 4, v[12:13]
	s_delay_alu instid0(VALU_DEP_1) | instskip(NEXT) | instid1(VALU_DEP_1)
	v_add_nc_u64_e32 v[12:13], s[66:67], v[4:5]
	v_add_nc_u64_e32 v[14:15], s[66:67], v[12:13]
	s_clause 0x3
	global_load_b128 v[16:19], v[10:11], off
	global_load_b128 v[20:23], v[4:5], off offset:512
	global_load_b128 v[24:27], v[12:13], off offset:512
	;; [unrolled: 1-line block ×3, first 2 shown]
	s_wait_xcnt 0x0
	v_mov_b64_e32 v[14:15], v[10:11]
	s_wait_loadcnt 0x3
	s_set_vgpr_msb 1                        ;  msbs: dst=0 src0=1 src1=0 src2=0
	ds_store_2addr_b64 v24 /*v280*/, v[16:17], v[18:19] offset1:1
	s_wait_loadcnt 0x2
	ds_store_2addr_b64 v43 /*v299*/, v[20:21], v[22:23] offset1:1
	s_wait_loadcnt 0x1
	;; [unrolled: 2-line block ×3, first 2 shown]
	ds_store_2addr_b64 v45 /*v301*/, v[28:29], v[30:31] offset1:1
.LBB18_65:                              ;   in Loop: Header=BB18_4 Depth=1
	s_mov_b32 s22, 0
	s_wait_dscnt 0x0
	s_barrier_signal -1
	s_barrier_wait -1
	s_and_saveexec_b32 s23, s6
	s_delay_alu instid0(SALU_CYCLE_1)
	s_xor_b32 s23, exec_lo, s23
; %bb.66:                               ;   in Loop: Header=BB18_4 Depth=1
	s_and_b32 s22, s7, exec_lo
; %bb.67:                               ;   in Loop: Header=BB18_4 Depth=1
	s_or_saveexec_b32 s23, s23
	s_set_vgpr_msb 1                        ;  msbs: dst=0 src0=1 src1=0 src2=0
	v_mov_b64_e32 v[12:13], 0
	v_mov_b32_e32 v3, v25 /*v281*/
	s_xor_b32 exec_lo, exec_lo, s23
	s_set_vgpr_msb 0                        ;  msbs: dst=0 src0=0 src1=0 src2=0
	s_cbranch_execz .LBB18_69
; %bb.68:                               ;   in Loop: Header=BB18_4 Depth=1
	s_set_vgpr_msb 1                        ;  msbs: dst=0 src0=1 src1=0 src2=0
	ds_load_b128 v[10:13], v39 /*v295*/
	v_mov_b32_e32 v3, v26 /*v282*/
	s_or_b32 s22, s22, exec_lo
	s_wait_dscnt 0x0
	v_xor_b32_e32 v13, 0x80000000, v13
	ds_store_b64 v26 /*v282*/, v[10:11]
.LBB18_69:                              ;   in Loop: Header=BB18_4 Depth=1
	s_or_b32 exec_lo, exec_lo, s23
	s_and_saveexec_b32 s23, s22
; %bb.70:                               ;   in Loop: Header=BB18_4 Depth=1
	s_set_vgpr_msb 0                        ;  msbs: dst=0 src0=0 src1=0 src2=0
	ds_store_b64 v3, v[12:13] offset:8
; %bb.71:                               ;   in Loop: Header=BB18_4 Depth=1
	s_or_b32 exec_lo, exec_lo, s23
	s_mov_b32 s22, 0
                                        ; implicit-def: $vgpr12_vgpr13
	s_and_saveexec_b32 s23, s8
	s_delay_alu instid0(SALU_CYCLE_1)
	s_xor_b32 s23, exec_lo, s23
	s_cbranch_execnz .LBB18_169
; %bb.72:                               ;   in Loop: Header=BB18_4 Depth=1
	s_or_saveexec_b32 s23, s23
	s_set_vgpr_msb 1                        ;  msbs: dst=0 src0=1 src1=0 src2=0
	v_mov_b32_e32 v3, v46 /*v302*/
	s_xor_b32 exec_lo, exec_lo, s23
	s_set_vgpr_msb 0                        ;  msbs: dst=0 src0=0 src1=0 src2=0
	s_cbranch_execnz .LBB18_170
.LBB18_73:                              ;   in Loop: Header=BB18_4 Depth=1
	s_or_b32 exec_lo, exec_lo, s23
	s_and_saveexec_b32 s23, s22
.LBB18_74:                              ;   in Loop: Header=BB18_4 Depth=1
	ds_store_b64 v3, v[12:13] offset:8
.LBB18_75:                              ;   in Loop: Header=BB18_4 Depth=1
	s_or_b32 exec_lo, exec_lo, s23
	s_mov_b32 s22, 0
	s_and_saveexec_b32 s23, s10
	s_delay_alu instid0(SALU_CYCLE_1)
	s_xor_b32 s23, exec_lo, s23
; %bb.76:                               ;   in Loop: Header=BB18_4 Depth=1
	s_and_b32 s22, s11, exec_lo
; %bb.77:                               ;   in Loop: Header=BB18_4 Depth=1
	s_or_saveexec_b32 s23, s23
	v_mov_b64_e32 v[12:13], 0
	s_set_vgpr_msb 1                        ;  msbs: dst=0 src0=1 src1=0 src2=0
	v_mov_b32_e32 v3, v25 /*v281*/
	s_xor_b32 exec_lo, exec_lo, s23
	s_set_vgpr_msb 0                        ;  msbs: dst=0 src0=0 src1=0 src2=0
	s_cbranch_execz .LBB18_79
; %bb.78:                               ;   in Loop: Header=BB18_4 Depth=1
	s_set_vgpr_msb 1                        ;  msbs: dst=0 src0=1 src1=0 src2=0
	ds_load_b128 v[10:13], v40 /*v296*/ offset:528
	v_mov_b32_e32 v3, v47 /*v303*/
	s_or_b32 s22, s22, exec_lo
	s_wait_dscnt 0x0
	v_xor_b32_e32 v13, 0x80000000, v13
	ds_store_b64 v47 /*v303*/, v[10:11]
.LBB18_79:                              ;   in Loop: Header=BB18_4 Depth=1
	s_or_b32 exec_lo, exec_lo, s23
	s_and_saveexec_b32 s23, s22
; %bb.80:                               ;   in Loop: Header=BB18_4 Depth=1
	s_set_vgpr_msb 0                        ;  msbs: dst=0 src0=0 src1=0 src2=0
	ds_store_b64 v3, v[12:13] offset:8
; %bb.81:                               ;   in Loop: Header=BB18_4 Depth=1
	s_or_b32 exec_lo, exec_lo, s23
	s_mov_b32 s22, 0
	s_and_saveexec_b32 s23, s12
	s_delay_alu instid0(SALU_CYCLE_1)
	s_xor_b32 s23, exec_lo, s23
; %bb.82:                               ;   in Loop: Header=BB18_4 Depth=1
	s_and_b32 s22, s13, exec_lo
; %bb.83:                               ;   in Loop: Header=BB18_4 Depth=1
	s_or_saveexec_b32 s23, s23
	v_mov_b64_e32 v[12:13], 0
	s_set_vgpr_msb 1                        ;  msbs: dst=0 src0=1 src1=0 src2=0
	v_mov_b32_e32 v3, v25 /*v281*/
	s_xor_b32 exec_lo, exec_lo, s23
	s_set_vgpr_msb 0                        ;  msbs: dst=0 src0=0 src1=0 src2=0
	s_cbranch_execz .LBB18_85
; %bb.84:                               ;   in Loop: Header=BB18_4 Depth=1
	s_set_vgpr_msb 1                        ;  msbs: dst=0 src0=1 src1=0 src2=0
	ds_load_b128 v[10:13], v40 /*v296*/ offset:1056
	v_mov_b32_e32 v3, v48 /*v304*/
	s_or_b32 s22, s22, exec_lo
	s_wait_dscnt 0x0
	v_xor_b32_e32 v13, 0x80000000, v13
	ds_store_b64 v48 /*v304*/, v[10:11]
.LBB18_85:                              ;   in Loop: Header=BB18_4 Depth=1
	s_or_b32 exec_lo, exec_lo, s23
	s_and_saveexec_b32 s23, s22
; %bb.86:                               ;   in Loop: Header=BB18_4 Depth=1
	s_set_vgpr_msb 0                        ;  msbs: dst=0 src0=0 src1=0 src2=0
	ds_store_b64 v3, v[12:13] offset:8
; %bb.87:                               ;   in Loop: Header=BB18_4 Depth=1
	s_or_b32 exec_lo, exec_lo, s23
	s_wait_dscnt 0x0
	s_barrier_signal -1
	s_barrier_wait -1
	s_set_vgpr_msb 1                        ;  msbs: dst=0 src0=1 src1=0 src2=0
	ds_load_b128 v[10:13], v39 /*v295*/
	ds_load_b128 v[16:19], v28 /*v284*/ offset:512
	ds_load_b128 v[20:23], v28 /*v284*/ offset:528
	ds_load_b128 v[24:27], v40 /*v296*/
	s_wait_dscnt 0x2
	s_set_vgpr_msb 0                        ;  msbs: dst=0 src0=0 src1=0 src2=0
	v_mul_f64_e32 v[4:5], v[18:19], v[12:13]
	v_mul_f64_e32 v[34:35], v[16:17], v[12:13]
	s_wait_dscnt 0x0
	v_mul_f64_e32 v[36:37], v[22:23], v[26:27]
	v_mul_f64_e32 v[38:39], v[20:21], v[26:27]
	s_delay_alu instid0(VALU_DEP_4) | instskip(NEXT) | instid1(VALU_DEP_4)
	v_fma_f64 v[4:5], v[16:17], v[10:11], -v[4:5]
	v_fmac_f64_e32 v[34:35], v[18:19], v[10:11]
	s_set_vgpr_msb 1                        ;  msbs: dst=0 src0=1 src1=0 src2=0
	ds_load_b128 v[10:13], v40 /*v296*/ offset:528
	ds_load_b128 v[16:19], v28 /*v284*/ offset:544
	;; [unrolled: 1-line block ×4, first 2 shown]
	s_set_vgpr_msb 0                        ;  msbs: dst=0 src0=0 src1=0 src2=0
	v_fma_f64 v[20:21], v[20:21], v[24:25], -v[36:37]
	v_fmac_f64_e32 v[38:39], v[22:23], v[24:25]
	s_wait_dscnt 0x0
	s_barrier_signal -1
	s_barrier_wait -1
	v_mul_f64_e32 v[40:41], v[18:19], v[12:13]
	v_mul_f64_e32 v[12:13], v[16:17], v[12:13]
	;; [unrolled: 1-line block ×4, first 2 shown]
	v_add_f64_e32 v[4:5], 0, v[4:5]
	v_add_f64_e32 v[22:23], 0, v[34:35]
	v_fma_f64 v[16:17], v[16:17], v[10:11], -v[40:41]
	v_fmac_f64_e32 v[12:13], v[18:19], v[10:11]
	v_fma_f64 v[18:19], v[26:27], v[30:31], -v[24:25]
	v_fmac_f64_e32 v[32:33], v[28:29], v[30:31]
	v_add_f64_e32 v[4:5], v[4:5], v[20:21]
	v_add_f64_e32 v[10:11], v[22:23], v[38:39]
	s_delay_alu instid0(VALU_DEP_2) | instskip(NEXT) | instid1(VALU_DEP_2)
	v_add_f64_e32 v[4:5], v[4:5], v[16:17]
	v_add_f64_e32 v[12:13], v[10:11], v[12:13]
	s_delay_alu instid0(VALU_DEP_2) | instskip(NEXT) | instid1(VALU_DEP_2)
	v_add_f64_e32 v[10:11], v[4:5], v[18:19]
	v_add_f64_e32 v[12:13], v[12:13], v[32:33]
	s_set_vgpr_msb 1                        ;  msbs: dst=0 src0=1 src1=0 src2=0
	ds_store_b128 v29 /*v285*/, v[10:13]
	s_wait_dscnt 0x0
	s_barrier_signal -1
	s_barrier_wait -1
	s_and_saveexec_b32 s22, s20
	s_set_vgpr_msb 0                        ;  msbs: dst=0 src0=0 src1=0 src2=0
	s_cbranch_execz .LBB18_89
; %bb.88:                               ;   in Loop: Header=BB18_4 Depth=1
	s_set_vgpr_msb 1                        ;  msbs: dst=0 src0=1 src1=0 src2=0
	ds_load_b128 v[4:7], v27 /*v283*/
	ds_load_b128 v[8:11], v27 /*v283*/ offset:16
	s_wait_dscnt 0x0
	s_set_vgpr_msb 0                        ;  msbs: dst=0 src0=0 src1=0 src2=0
	v_add_f64_e32 v[12:13], v[8:9], v[4:5]
	v_add_f64_e32 v[16:17], v[10:11], v[6:7]
	s_set_vgpr_msb 1                        ;  msbs: dst=0 src0=1 src1=0 src2=0
	ds_load_b128 v[4:7], v27 /*v283*/ offset:32
	ds_load_b128 v[8:11], v27 /*v283*/ offset:48
	s_wait_dscnt 0x1
	s_set_vgpr_msb 0                        ;  msbs: dst=0 src0=0 src1=0 src2=0
	v_add_f64_e32 v[4:5], v[12:13], v[4:5]
	v_add_f64_e32 v[6:7], v[16:17], v[6:7]
	s_wait_dscnt 0x0
	s_delay_alu instid0(VALU_DEP_2) | instskip(NEXT) | instid1(VALU_DEP_2)
	v_add_f64_e32 v[12:13], v[4:5], v[8:9]
	v_add_f64_e32 v[16:17], v[6:7], v[10:11]
	s_set_vgpr_msb 1                        ;  msbs: dst=0 src0=1 src1=0 src2=0
	ds_load_b128 v[4:7], v27 /*v283*/ offset:64
	ds_load_b128 v[8:11], v27 /*v283*/ offset:80
	s_wait_dscnt 0x1
	s_set_vgpr_msb 0                        ;  msbs: dst=0 src0=0 src1=0 src2=0
	v_add_f64_e32 v[4:5], v[12:13], v[4:5]
	v_add_f64_e32 v[6:7], v[16:17], v[6:7]
	s_wait_dscnt 0x0
	s_delay_alu instid0(VALU_DEP_2) | instskip(NEXT) | instid1(VALU_DEP_2)
	;; [unrolled: 11-line block ×3, first 2 shown]
	v_add_f64_e32 v[6:7], v[4:5], v[8:9]
	v_add_f64_e32 v[8:9], v[12:13], v[10:11]
.LBB18_89:                              ;   in Loop: Header=BB18_4 Depth=1
	s_or_b32 exec_lo, exec_lo, s22
	v_add_nc_u64_e32 v[10:11], s[62:63], v[14:15]
	s_and_b32 vcc_lo, exec_lo, s73
	s_mov_b32 s22, -1
	s_barrier_signal -1
	s_barrier_wait -1
                                        ; implicit-def: $vgpr4_vgpr5
	s_cbranch_vccz .LBB18_101
; %bb.90:                               ;   in Loop: Header=BB18_4 Depth=1
	s_and_saveexec_b32 s22, s16
	s_delay_alu instid0(SALU_CYCLE_1)
	s_xor_b32 s22, exec_lo, s22
; %bb.91:                               ;   in Loop: Header=BB18_4 Depth=1
	v_dual_mov_b32 v3, v2 :: v_dual_mov_b32 v4, v2
	v_mov_b32_e32 v5, v2
	s_set_vgpr_msb 1                        ;  msbs: dst=0 src0=1 src1=0 src2=0
	ds_store_b128 v24 /*v280*/, v[2:5]
; %bb.92:                               ;   in Loop: Header=BB18_4 Depth=1
	s_or_saveexec_b32 s22, s22
	s_set_vgpr_msb 0                        ;  msbs: dst=0 src0=0 src1=0 src2=0
	v_lshl_add_u64 v[4:5], v[226:227], 4, v[14:15]
	s_delay_alu instid0(VALU_DEP_1) | instskip(NEXT) | instid1(VALU_DEP_1)
	v_lshl_add_u64 v[4:5], s[30:31], 4, v[4:5]
	v_add_nc_u64_e32 v[4:5], s[64:65], v[4:5]
	s_delay_alu instid0(VALU_DEP_1)
	v_dual_cndmask_b32 v13, v5, v11, s1 :: v_dual_cndmask_b32 v12, v4, v10, s1
	s_xor_b32 exec_lo, exec_lo, s22
	s_cbranch_execnz .LBB18_183
; %bb.93:                               ;   in Loop: Header=BB18_4 Depth=1
	s_or_b32 exec_lo, exec_lo, s22
	s_and_saveexec_b32 s22, s17
	s_delay_alu instid0(SALU_CYCLE_1)
	s_xor_b32 s22, exec_lo, s22
	s_cbranch_execnz .LBB18_184
.LBB18_94:                              ;   in Loop: Header=BB18_4 Depth=1
	s_and_not1_saveexec_b32 s22, s22
	s_cbranch_execnz .LBB18_185
.LBB18_95:                              ;   in Loop: Header=BB18_4 Depth=1
	s_or_b32 exec_lo, exec_lo, s22
	s_and_saveexec_b32 s22, s18
	s_delay_alu instid0(SALU_CYCLE_1)
	s_xor_b32 s22, exec_lo, s22
	s_cbranch_execnz .LBB18_186
.LBB18_96:                              ;   in Loop: Header=BB18_4 Depth=1
	s_and_not1_saveexec_b32 s22, s22
	s_cbranch_execnz .LBB18_187
.LBB18_97:                              ;   in Loop: Header=BB18_4 Depth=1
	s_or_b32 exec_lo, exec_lo, s22
	s_and_saveexec_b32 s22, s19
	s_delay_alu instid0(SALU_CYCLE_1)
	s_xor_b32 s22, exec_lo, s22
	s_cbranch_execnz .LBB18_188
.LBB18_98:                              ;   in Loop: Header=BB18_4 Depth=1
	s_and_not1_saveexec_b32 s22, s22
	s_cbranch_execz .LBB18_100
.LBB18_99:                              ;   in Loop: Header=BB18_4 Depth=1
	v_lshl_add_u64 v[4:5], s[54:55], 4, v[12:13]
	global_load_b128 v[16:19], v[4:5], off
	s_wait_loadcnt 0x0
	s_set_vgpr_msb 1                        ;  msbs: dst=0 src0=1 src1=0 src2=0
	ds_store_2addr_b64 v45 /*v301*/, v[16:17], v[18:19] offset1:1
.LBB18_100:                             ;   in Loop: Header=BB18_4 Depth=1
	s_wait_xcnt 0x0
	s_or_b32 exec_lo, exec_lo, s22
	s_set_vgpr_msb 0                        ;  msbs: dst=0 src0=0 src1=0 src2=0
	v_mov_b32_e32 v229, v2
	s_mov_b32 s22, 0
	s_delay_alu instid0(VALU_DEP_1) | instskip(NEXT) | instid1(VALU_DEP_1)
	v_add_nc_u64_e32 v[4:5], v[12:13], v[228:229]
	v_lshl_add_u64 v[4:5], s[60:61], 4, v[4:5]
	s_delay_alu instid0(VALU_DEP_1) | instskip(NEXT) | instid1(VALU_DEP_1)
	v_add_nc_u64_e32 v[4:5], 16, v[4:5]
	v_dual_cndmask_b32 v5, v5, v11, s1 :: v_dual_cndmask_b32 v4, v4, v10, s1
.LBB18_101:                             ;   in Loop: Header=BB18_4 Depth=1
	s_and_b32 vcc_lo, exec_lo, s22
	s_cbranch_vccz .LBB18_103
; %bb.102:                              ;   in Loop: Header=BB18_4 Depth=1
	v_lshl_add_u64 v[4:5], s[46:47], 4, v[14:15]
	s_delay_alu instid0(VALU_DEP_1) | instskip(NEXT) | instid1(VALU_DEP_1)
	v_add_nc_u64_e32 v[20:21], s[66:67], v[4:5]
	v_add_nc_u64_e32 v[24:25], s[66:67], v[20:21]
	s_clause 0x3
	global_load_b128 v[12:15], v[10:11], off
	global_load_b128 v[16:19], v[4:5], off offset:-512
	global_load_b128 v[20:23], v[20:21], off offset:-512
	global_load_b128 v[24:27], v[24:25], off offset:-512
	s_wait_xcnt 0x2
	v_mov_b64_e32 v[4:5], v[10:11]
	s_wait_loadcnt 0x3
	s_set_vgpr_msb 1                        ;  msbs: dst=0 src0=1 src1=0 src2=0
	ds_store_2addr_b64 v24 /*v280*/, v[12:13], v[14:15] offset1:1
	s_wait_loadcnt 0x2
	ds_store_2addr_b64 v43 /*v299*/, v[16:17], v[18:19] offset1:1
	s_wait_loadcnt 0x1
	;; [unrolled: 2-line block ×3, first 2 shown]
	ds_store_2addr_b64 v45 /*v301*/, v[24:25], v[26:27] offset1:1
.LBB18_103:                             ;   in Loop: Header=BB18_4 Depth=1
	s_set_vgpr_msb 5                        ;  msbs: dst=0 src0=1 src1=1 src2=0
	v_dual_add_nc_u32 v3, v28 /*v284*/, v31 /*v287*/ :: v_dual_add_nc_u32 v10, v26 /*v282*/, v31 /*v287*/
	s_wait_dscnt 0x0
	s_barrier_signal -1
	s_barrier_wait -1
	s_set_vgpr_msb 0                        ;  msbs: dst=0 src0=0 src1=0 src2=0
	ds_load_b128 v[14:17], v3
	s_wait_xcnt 0x0
	ds_load_b128 v[22:25], v10
	s_set_vgpr_msb 1                        ;  msbs: dst=0 src0=1 src1=0 src2=0
	ds_load_b128 v[18:21], v39 /*v295*/
	ds_load_b128 v[10:13], v40 /*v296*/
	s_wait_dscnt 0x2
	s_set_vgpr_msb 0                        ;  msbs: dst=0 src0=0 src1=0 src2=0
	v_mul_f64_e32 v[40:41], v[24:25], v[16:17]
	v_mul_f64_e32 v[44:45], v[24:25], v[14:15]
	s_set_vgpr_msb 1                        ;  msbs: dst=0 src0=1 src1=0 src2=0
	ds_load_b128 v[24:27], v38 /*v294*/ offset:128
	ds_load_b128 v[28:31], v29 /*v285*/ offset:128
	;; [unrolled: 1-line block ×4, first 2 shown]
	s_wait_dscnt 0x2
	s_set_vgpr_msb 0                        ;  msbs: dst=0 src0=0 src1=0 src2=0
	v_mul_f64_e32 v[48:49], v[30:31], v[26:27]
	v_mul_f64_e32 v[30:31], v[30:31], v[24:25]
	v_fmac_f64_e32 v[40:41], v[22:23], v[14:15]
	v_fma_f64 v[22:23], v[22:23], v[16:17], -v[44:45]
	s_set_vgpr_msb 1                        ;  msbs: dst=0 src0=1 src1=0 src2=0
	ds_load_b128 v[14:17], v38 /*v294*/ offset:256
	ds_load_b128 v[44:47], v38 /*v294*/ offset:384
	s_set_vgpr_msb 0                        ;  msbs: dst=0 src0=0 src1=0 src2=0
	v_fmac_f64_e32 v[48:49], v[28:29], v[24:25]
	s_wait_dscnt 0x1
	v_mul_f64_e32 v[50:51], v[34:35], v[16:17]
	v_mul_f64_e32 v[34:35], v[34:35], v[14:15]
	v_fma_f64 v[24:25], v[28:29], v[26:27], -v[30:31]
	s_wait_dscnt 0x0
	v_mul_f64_e32 v[28:29], v[38:39], v[46:47]
	v_mul_f64_e32 v[30:31], v[38:39], v[44:45]
	v_add_f64_e32 v[26:27], 0, v[40:41]
	v_add_f64_e32 v[22:23], 0, v[22:23]
	v_fmac_f64_e32 v[50:51], v[32:33], v[14:15]
	v_fma_f64 v[14:15], v[32:33], v[16:17], -v[34:35]
	v_fmac_f64_e32 v[28:29], v[36:37], v[44:45]
	v_add_f64_e32 v[16:17], v[26:27], v[48:49]
	v_add_f64_e32 v[22:23], v[22:23], v[24:25]
	v_fma_f64 v[24:25], v[36:37], v[46:47], -v[30:31]
	s_delay_alu instid0(VALU_DEP_3) | instskip(NEXT) | instid1(VALU_DEP_3)
	v_add_f64_e32 v[16:17], v[16:17], v[50:51]
	v_add_f64_e32 v[14:15], v[22:23], v[14:15]
	s_delay_alu instid0(VALU_DEP_2) | instskip(NEXT) | instid1(VALU_DEP_2)
	v_add_f64_e32 v[44:45], v[16:17], v[28:29]
	v_add_f64_e32 v[46:47], v[14:15], v[24:25]
	s_set_vgpr_msb 1                        ;  msbs: dst=0 src0=1 src1=0 src2=0
	ds_load_b128 v[38:41], v28 /*v284*/ offset:512
	ds_load_b128 v[34:37], v28 /*v284*/ offset:528
	ds_load_b128 v[26:29], v28 /*v284*/ offset:544
	ds_load_b128 v[14:17], v28 /*v284*/ offset:560
	ds_load_b128 v[30:33], v40 /*v296*/ offset:528
	ds_load_b128 v[22:25], v40 /*v296*/ offset:1056
	s_wait_dscnt 0x0
	s_barrier_signal -1
	s_barrier_wait -1
	ds_store_b128 v29 /*v285*/, v[44:47]
	s_wait_dscnt 0x0
	s_barrier_signal -1
	s_barrier_wait -1
	s_and_saveexec_b32 s22, s20
	s_set_vgpr_msb 0                        ;  msbs: dst=0 src0=0 src1=0 src2=0
	s_cbranch_execz .LBB18_105
; %bb.104:                              ;   in Loop: Header=BB18_4 Depth=1
	s_set_vgpr_msb 1                        ;  msbs: dst=0 src0=1 src1=0 src2=0
	ds_load_b128 v[44:47], v27 /*v283*/
	ds_load_b128 v[48:51], v27 /*v283*/ offset:16
	s_wait_dscnt 0x1
	s_set_vgpr_msb 0                        ;  msbs: dst=0 src0=0 src1=0 src2=0
	v_add_f64_e32 v[6:7], v[6:7], v[44:45]
	v_add_f64_e32 v[8:9], v[8:9], v[46:47]
	s_wait_dscnt 0x0
	s_delay_alu instid0(VALU_DEP_2) | instskip(NEXT) | instid1(VALU_DEP_2)
	v_add_f64_e32 v[48:49], v[6:7], v[48:49]
	v_add_f64_e32 v[50:51], v[8:9], v[50:51]
	s_set_vgpr_msb 1                        ;  msbs: dst=0 src0=1 src1=0 src2=0
	ds_load_b128 v[6:9], v27 /*v283*/ offset:32
	ds_load_b128 v[44:47], v27 /*v283*/ offset:48
	s_wait_dscnt 0x1
	s_set_vgpr_msb 0                        ;  msbs: dst=0 src0=0 src1=0 src2=0
	v_add_f64_e32 v[6:7], v[48:49], v[6:7]
	v_add_f64_e32 v[8:9], v[50:51], v[8:9]
	s_wait_dscnt 0x0
	s_delay_alu instid0(VALU_DEP_2) | instskip(NEXT) | instid1(VALU_DEP_2)
	v_add_f64_e32 v[48:49], v[6:7], v[44:45]
	v_add_f64_e32 v[50:51], v[8:9], v[46:47]
	s_set_vgpr_msb 1                        ;  msbs: dst=0 src0=1 src1=0 src2=0
	ds_load_b128 v[6:9], v27 /*v283*/ offset:64
	;; [unrolled: 11-line block ×3, first 2 shown]
	ds_load_b128 v[44:47], v27 /*v283*/ offset:112
	s_wait_dscnt 0x1
	s_set_vgpr_msb 0                        ;  msbs: dst=0 src0=0 src1=0 src2=0
	v_add_f64_e32 v[6:7], v[48:49], v[6:7]
	v_add_f64_e32 v[8:9], v[50:51], v[8:9]
	s_wait_dscnt 0x0
	s_delay_alu instid0(VALU_DEP_2) | instskip(NEXT) | instid1(VALU_DEP_2)
	v_add_f64_e32 v[6:7], v[6:7], v[44:45]
	v_add_f64_e32 v[8:9], v[8:9], v[46:47]
.LBB18_105:                             ;   in Loop: Header=BB18_4 Depth=1
	s_or_b32 exec_lo, exec_lo, s22
	v_mul_f64_e32 v[44:45], v[40:41], v[20:21]
	v_mul_f64_e32 v[20:21], v[38:39], v[20:21]
	;; [unrolled: 1-line block ×4, first 2 shown]
	s_barrier_signal -1
	s_barrier_wait -1
	s_delay_alu instid0(VALU_DEP_4) | instskip(NEXT) | instid1(VALU_DEP_4)
	v_fma_f64 v[38:39], v[38:39], v[18:19], -v[44:45]
	v_fmac_f64_e32 v[20:21], v[40:41], v[18:19]
	v_mul_f64_e32 v[18:19], v[28:29], v[32:33]
	v_mul_f64_e32 v[32:33], v[26:27], v[32:33]
	v_fma_f64 v[34:35], v[34:35], v[10:11], -v[46:47]
	v_fmac_f64_e32 v[12:13], v[36:37], v[10:11]
	v_mul_f64_e32 v[36:37], v[16:17], v[24:25]
	v_mul_f64_e32 v[24:25], v[14:15], v[24:25]
	v_add_f64_e32 v[10:11], 0, v[38:39]
	v_add_f64_e32 v[20:21], 0, v[20:21]
	v_fma_f64 v[18:19], v[26:27], v[30:31], -v[18:19]
	v_fmac_f64_e32 v[32:33], v[28:29], v[30:31]
	v_fma_f64 v[14:15], v[14:15], v[22:23], -v[36:37]
	v_fmac_f64_e32 v[24:25], v[16:17], v[22:23]
	v_add_f64_e32 v[10:11], v[10:11], v[34:35]
	v_add_f64_e32 v[12:13], v[20:21], v[12:13]
	s_delay_alu instid0(VALU_DEP_2) | instskip(NEXT) | instid1(VALU_DEP_2)
	v_add_f64_e32 v[10:11], v[10:11], v[18:19]
	v_add_f64_e32 v[12:13], v[12:13], v[32:33]
	s_delay_alu instid0(VALU_DEP_2) | instskip(NEXT) | instid1(VALU_DEP_2)
	v_add_f64_e32 v[10:11], v[10:11], v[14:15]
	v_add_f64_e32 v[12:13], v[12:13], v[24:25]
	s_set_vgpr_msb 1                        ;  msbs: dst=0 src0=1 src1=0 src2=0
	ds_store_b128 v29 /*v285*/, v[10:13]
	s_wait_dscnt 0x0
	s_barrier_signal -1
	s_barrier_wait -1
	s_and_saveexec_b32 s22, s14
	s_set_vgpr_msb 0                        ;  msbs: dst=0 src0=0 src1=0 src2=0
	s_cbranch_execz .LBB18_107
; %bb.106:                              ;   in Loop: Header=BB18_4 Depth=1
	s_set_vgpr_msb 1                        ;  msbs: dst=0 src0=1 src1=0 src2=0
	ds_load_b128 v[10:13], v27 /*v283*/
	ds_load_b128 v[14:17], v27 /*v283*/ offset:16
	s_wait_dscnt 0x1
	s_set_vgpr_msb 0                        ;  msbs: dst=0 src0=0 src1=0 src2=0
	v_add_f64_e32 v[6:7], v[6:7], v[10:11]
	v_add_f64_e32 v[8:9], v[8:9], v[12:13]
	s_wait_dscnt 0x0
	s_delay_alu instid0(VALU_DEP_2) | instskip(NEXT) | instid1(VALU_DEP_2)
	v_add_f64_e32 v[14:15], v[6:7], v[14:15]
	v_add_f64_e32 v[16:17], v[8:9], v[16:17]
	s_set_vgpr_msb 1                        ;  msbs: dst=0 src0=1 src1=0 src2=0
	ds_load_b128 v[6:9], v27 /*v283*/ offset:32
	ds_load_b128 v[10:13], v27 /*v283*/ offset:48
	s_wait_dscnt 0x1
	s_set_vgpr_msb 0                        ;  msbs: dst=0 src0=0 src1=0 src2=0
	v_add_f64_e32 v[6:7], v[14:15], v[6:7]
	v_add_f64_e32 v[8:9], v[16:17], v[8:9]
	s_wait_dscnt 0x0
	s_delay_alu instid0(VALU_DEP_2) | instskip(NEXT) | instid1(VALU_DEP_2)
	v_add_f64_e32 v[14:15], v[6:7], v[10:11]
	v_add_f64_e32 v[16:17], v[8:9], v[12:13]
	s_set_vgpr_msb 1                        ;  msbs: dst=0 src0=1 src1=0 src2=0
	ds_load_b128 v[6:9], v27 /*v283*/ offset:64
	ds_load_b128 v[10:13], v27 /*v283*/ offset:80
	s_wait_dscnt 0x1
	s_set_vgpr_msb 0                        ;  msbs: dst=0 src0=0 src1=0 src2=0
	v_add_f64_e32 v[6:7], v[14:15], v[6:7]
	v_add_f64_e32 v[8:9], v[16:17], v[8:9]
	s_wait_dscnt 0x0
	s_delay_alu instid0(VALU_DEP_2) | instskip(NEXT) | instid1(VALU_DEP_2)
	v_add_f64_e32 v[14:15], v[6:7], v[10:11]
	v_add_f64_e32 v[16:17], v[8:9], v[12:13]
	s_set_vgpr_msb 1                        ;  msbs: dst=0 src0=1 src1=0 src2=0
	ds_load_b128 v[6:9], v27 /*v283*/ offset:96
	ds_load_b128 v[10:13], v27 /*v283*/ offset:112
	s_wait_dscnt 0x1
	s_set_vgpr_msb 0                        ;  msbs: dst=0 src0=0 src1=0 src2=0
	v_add_f64_e32 v[6:7], v[14:15], v[6:7]
	v_add_f64_e32 v[8:9], v[16:17], v[8:9]
	s_wait_dscnt 0x0
	s_delay_alu instid0(VALU_DEP_2) | instskip(NEXT) | instid1(VALU_DEP_2)
	v_add_f64_e32 v[6:7], v[6:7], v[10:11]
	v_add_f64_e32 v[8:9], v[8:9], v[12:13]
.LBB18_107:                             ;   in Loop: Header=BB18_4 Depth=1
	s_or_b32 exec_lo, exec_lo, s22
	s_mul_u64 s[22:23], s[28:29], s[34:35]
	s_and_not1_b32 vcc_lo, exec_lo, s49
	s_lshl_b64 s[22:23], s[22:23], 4
	s_delay_alu instid0(SALU_CYCLE_1)
	s_add_nc_u64 s[22:23], s[42:43], s[22:23]
	s_barrier_signal -1
	s_barrier_wait -1
	s_cbranch_vccnz .LBB18_165
; %bb.108:                              ;   in Loop: Header=BB18_4 Depth=1
	v_add_nc_u64_e32 v[236:237], v[4:5], v[0:1]
	v_add_nc_u64_e32 v[238:239], v[4:5], v[230:231]
	;; [unrolled: 1-line block ×10, first 2 shown]
	s_set_vgpr_msb 64                       ;  msbs: dst=1 src0=0 src1=0 src2=0
	v_add_nc_u64_e32 v[0:1] /*v[256:257]*/, v[4:5], v[204:205]
	v_add_nc_u64_e32 v[2:3] /*v[258:259]*/, v[4:5], v[218:219]
	;; [unrolled: 1-line block ×10, first 2 shown]
	v_lshl_add_u64 v[20:21] /*v[276:277]*/, s[58:59], 4, v[42:43]
	s_set_vgpr_msb 1                        ;  msbs: dst=0 src0=1 src1=0 src2=0
	v_mov_b32_e32 v229, v65 /*v321*/
	s_mov_b32 s70, s77
	s_mov_b32 s78, s50
	s_delay_alu instid0(SALU_CYCLE_1)
	s_cmp_eq_u32 s51, s78
	s_cselect_b32 s79, s72, 0
	s_and_saveexec_b32 s80, s0
	s_set_vgpr_msb 0                        ;  msbs: dst=0 src0=0 src1=0 src2=0
	s_cbranch_execz .LBB18_113
.LBB18_109:                             ;   in Loop: Header=BB18_4 Depth=1
	s_set_vgpr_msb 4                        ;  msbs: dst=0 src0=0 src1=1 src2=0
	v_cmp_le_i32_e32 vcc_lo, s79, v22 /*v278*/
	s_cmp_lg_u32 s79, 0
	s_cselect_b32 s71, -1, 0
	s_delay_alu instid0(SALU_CYCLE_1) | instskip(NEXT) | instid1(SALU_CYCLE_1)
	s_and_b32 s71, s71, vcc_lo
	s_and_saveexec_b32 s81, s71
	s_delay_alu instid0(SALU_CYCLE_1)
	s_xor_b32 s71, exec_lo, s81
; %bb.110:                              ;   in Loop: Header=BB18_4 Depth=1
	v_dual_mov_b32 v3, v2 :: v_dual_mov_b32 v4, v2
	v_mov_b32_e32 v5, v2
	s_set_vgpr_msb 1                        ;  msbs: dst=0 src0=1 src1=0 src2=0
	ds_store_b128 v49 /*v305*/, v[2:5]
; %bb.111:                              ;   in Loop: Header=BB18_4 Depth=1
	s_and_not1_saveexec_b32 s71, s71
	s_set_vgpr_msb 0                        ;  msbs: dst=0 src0=0 src1=0 src2=0
	s_cbranch_execz .LBB18_113
; %bb.112:                              ;   in Loop: Header=BB18_4 Depth=1
	s_ashr_i32 s71, s70, 31
	s_set_vgpr_msb 16                       ;  msbs: dst=0 src0=0 src1=0 src2=1
	v_lshl_add_u64 v[4:5], s[70:71], 4, v[20:21] /*v[276:277]*/
	global_load_b128 v[10:13], v[4:5], off
	s_wait_loadcnt 0x0
	s_set_vgpr_msb 1                        ;  msbs: dst=0 src0=1 src1=0 src2=0
	ds_store_2addr_b64 v49 /*v305*/, v[10:11], v[12:13] offset1:1
.LBB18_113:                             ;   Parent Loop BB18_4 Depth=1
                                        ; =>  This Inner Loop Header: Depth=2
	s_wait_xcnt 0x0
	s_or_b32 exec_lo, exec_lo, s80
	s_cmp_eq_u32 s79, 0
	s_set_vgpr_msb 0                        ;  msbs: dst=0 src0=0 src1=0 src2=0
	v_add_nc_u64_e32 v[4:5], v[236:237], v[192:193]
	s_cselect_b32 s71, -1, 0
	s_cmp_lg_u32 s79, 0
	s_wait_dscnt 0x0
	s_cselect_b32 s80, -1, 0
	s_barrier_signal -1
	s_and_b32 vcc_lo, exec_lo, s80
	s_barrier_wait -1
	s_cbranch_vccz .LBB18_121
; %bb.114:                              ;   in Loop: Header=BB18_113 Depth=2
	v_mov_b64_e32 v[10:11], 0
	v_mov_b64_e32 v[14:15], 0
	v_mov_b64_e32 v[16:17], 0
	s_mov_b32 s81, exec_lo
	s_set_vgpr_msb 4                        ;  msbs: dst=0 src0=0 src1=1 src2=0
	v_cmpx_gt_i32_e64 s79, v30 /*v286*/
	s_set_vgpr_msb 0                        ;  msbs: dst=0 src0=0 src1=0 src2=0
	s_cbranch_execz .LBB18_116
; %bb.115:                              ;   in Loop: Header=BB18_113 Depth=2
	global_load_b128 v[14:17], v[4:5], off offset:-8
.LBB18_116:                             ;   in Loop: Header=BB18_113 Depth=2
	s_wait_xcnt 0x0
	s_or_b32 exec_lo, exec_lo, s81
	v_mov_b64_e32 v[12:13], 0
	s_mov_b32 s81, exec_lo
	s_set_vgpr_msb 4                        ;  msbs: dst=0 src0=0 src1=1 src2=0
	v_cmpx_gt_i32_e64 s79, v50 /*v306*/
	s_set_vgpr_msb 0                        ;  msbs: dst=0 src0=0 src1=0 src2=0
	s_cbranch_execz .LBB18_118
; %bb.117:                              ;   in Loop: Header=BB18_113 Depth=2
	v_add_nc_u64_e32 v[10:11], v[244:245], v[192:193]
	global_load_b128 v[10:13], v[10:11], off offset:-8
.LBB18_118:                             ;   in Loop: Header=BB18_113 Depth=2
	s_wait_xcnt 0x0
	s_or_b32 exec_lo, exec_lo, s81
	v_mov_b64_e32 v[18:19], 0
	v_mov_b64_e32 v[20:21], 0
	s_mov_b32 s81, exec_lo
	s_set_vgpr_msb 4                        ;  msbs: dst=0 src0=0 src1=1 src2=0
	v_cmpx_gt_i32_e64 s79, v51 /*v307*/
	s_set_vgpr_msb 0                        ;  msbs: dst=0 src0=0 src1=0 src2=0
	s_cbranch_execz .LBB18_120
; %bb.119:                              ;   in Loop: Header=BB18_113 Depth=2
	v_add_nc_u64_e32 v[18:19], v[248:249], v[192:193]
	global_load_b128 v[18:21], v[18:19], off offset:-8
.LBB18_120:                             ;   in Loop: Header=BB18_113 Depth=2
	s_wait_xcnt 0x0
	s_or_b32 exec_lo, exec_lo, s81
	s_set_vgpr_msb 4                        ;  msbs: dst=0 src0=0 src1=1 src2=0
	v_cmp_gt_i32_e64 s81, s79, v52 /*v308*/
	s_set_vgpr_msb 0                        ;  msbs: dst=0 src0=0 src1=0 src2=0
	s_branch .LBB18_123
.LBB18_121:                             ;   in Loop: Header=BB18_113 Depth=2
	s_mov_b32 s81, 0
                                        ; implicit-def: $vgpr20_vgpr21
                                        ; implicit-def: $vgpr12_vgpr13
                                        ; implicit-def: $vgpr16_vgpr17
	s_cbranch_execz .LBB18_123
; %bb.122:                              ;   in Loop: Header=BB18_113 Depth=2
	s_wait_loadcnt 0x0
	v_add_nc_u64_e32 v[10:11], v[244:245], v[192:193]
	v_add_nc_u64_e32 v[18:19], v[240:241], v[192:193]
	s_or_b32 s81, s81, exec_lo
	global_load_b128 v[14:17], v[4:5], off offset:-8
	global_load_b128 v[10:13], v[10:11], off offset:-8
	global_load_b128 v[18:21], v[18:19], off
.LBB18_123:                             ;   in Loop: Header=BB18_113 Depth=2
	v_mov_b64_e32 v[22:23], 0
	v_mov_b64_e32 v[24:25], 0
	s_wait_xcnt 0x0
	s_and_saveexec_b32 s82, s81
	s_cbranch_execz .LBB18_125
; %bb.124:                              ;   in Loop: Header=BB18_113 Depth=2
	v_add_nc_u64_e32 v[4:5], v[252:253], v[192:193]
	global_load_b128 v[22:25], v[4:5], off offset:-8
.LBB18_125:                             ;   in Loop: Header=BB18_113 Depth=2
	s_wait_xcnt 0x0
	s_or_b32 exec_lo, exec_lo, s82
	s_set_vgpr_msb 1                        ;  msbs: dst=0 src0=1 src1=0 src2=0
	ds_load_b128 v[30:33], v42 /*v298*/
	ds_load_b128 v[26:29], v32 /*v288*/
	v_cndmask_b32_e64 v3, 0, 1, s80
	s_and_not1_b32 vcc_lo, exec_lo, s80
	s_wait_loadcnt_dscnt 0x1
	s_set_vgpr_msb 0                        ;  msbs: dst=0 src0=0 src1=0 src2=0
	v_mul_f64_e32 v[42:43], v[16:17], v[32:33]
	v_mul_f64_e32 v[4:5], v[16:17], v[30:31]
	;; [unrolled: 1-line block ×8, first 2 shown]
	v_fmac_f64_e32 v[42:43], v[14:15], v[30:31]
	v_fma_f64 v[44:45], v[14:15], v[32:33], -v[4:5]
	v_fmac_f64_e32 v[46:47], v[10:11], v[30:31]
	v_fma_f64 v[48:49], v[10:11], v[32:33], -v[34:35]
	v_fmac_f64_e32 v[50:51], v[18:19], v[30:31]
	v_fma_f64 v[52:53], v[18:19], v[32:33], -v[36:37]
	v_fmac_f64_e32 v[54:55], v[22:23], v[30:31]
	v_fma_f64 v[56:57], v[22:23], v[32:33], -v[38:39]
	s_set_vgpr_msb 1                        ;  msbs: dst=0 src0=1 src1=0 src2=0
	ds_load_b128 v[38:41], v32 /*v288*/ offset:16
	ds_load_b128 v[34:37], v32 /*v288*/ offset:32
	ds_load_b128 v[30:33], v32 /*v288*/ offset:48
	v_add_nc_u64_e32 v[4:5], v[0:1] /*v[256:257]*/, v[192:193]
	ds_store_b128 v33 /*v289*/, v[42:45]
	ds_store_b128 v33 /*v289*/, v[46:49] offset:1072
	ds_store_b128 v33 /*v289*/, v[50:53] offset:2144
	;; [unrolled: 1-line block ×3, first 2 shown]
	s_wait_dscnt 0x0
	s_barrier_signal -1
	s_barrier_wait -1
	ds_load_b128 v[98:101], v34 /*v290*/
	ds_load_b128 v[94:97], v34 /*v290*/ offset:16
	ds_load_b128 v[90:93], v34 /*v290*/ offset:32
	;; [unrolled: 1-line block ×3, first 2 shown]
	s_wait_dscnt 0x0
	s_barrier_signal -1
	s_barrier_wait -1
	s_set_vgpr_msb 0                        ;  msbs: dst=0 src0=0 src1=0 src2=0
	s_cbranch_vccnz .LBB18_133
; %bb.126:                              ;   in Loop: Header=BB18_113 Depth=2
	v_mov_b64_e32 v[42:43], 0
	v_mov_b64_e32 v[46:47], 0
	;; [unrolled: 1-line block ×3, first 2 shown]
	s_mov_b32 s80, exec_lo
	s_set_vgpr_msb 4                        ;  msbs: dst=0 src0=0 src1=1 src2=0
	v_cmpx_gt_i32_e64 s79, v53 /*v309*/
	s_set_vgpr_msb 0                        ;  msbs: dst=0 src0=0 src1=0 src2=0
	s_cbranch_execz .LBB18_128
; %bb.127:                              ;   in Loop: Header=BB18_113 Depth=2
	global_load_b128 v[46:49], v[4:5], off offset:-8
.LBB18_128:                             ;   in Loop: Header=BB18_113 Depth=2
	s_wait_xcnt 0x0
	s_or_b32 exec_lo, exec_lo, s80
	v_mov_b64_e32 v[44:45], 0
	s_mov_b32 s80, exec_lo
	s_set_vgpr_msb 4                        ;  msbs: dst=0 src0=0 src1=1 src2=0
	v_cmpx_gt_i32_e64 s79, v54 /*v310*/
	s_set_vgpr_msb 0                        ;  msbs: dst=0 src0=0 src1=0 src2=0
	s_cbranch_execz .LBB18_130
; %bb.129:                              ;   in Loop: Header=BB18_113 Depth=2
	s_set_vgpr_msb 1                        ;  msbs: dst=0 src0=1 src1=0 src2=0
	v_add_nc_u64_e32 v[42:43], v[4:5] /*v[260:261]*/, v[192:193]
	s_set_vgpr_msb 0                        ;  msbs: dst=0 src0=0 src1=0 src2=0
	global_load_b128 v[42:45], v[42:43], off offset:-8
.LBB18_130:                             ;   in Loop: Header=BB18_113 Depth=2
	s_wait_xcnt 0x0
	s_or_b32 exec_lo, exec_lo, s80
	v_mov_b64_e32 v[50:51], 0
	v_mov_b64_e32 v[52:53], 0
	s_mov_b32 s80, exec_lo
	s_set_vgpr_msb 4                        ;  msbs: dst=0 src0=0 src1=1 src2=0
	v_cmpx_gt_i32_e64 s79, v55 /*v311*/
	s_set_vgpr_msb 0                        ;  msbs: dst=0 src0=0 src1=0 src2=0
	s_cbranch_execz .LBB18_132
; %bb.131:                              ;   in Loop: Header=BB18_113 Depth=2
	s_set_vgpr_msb 1                        ;  msbs: dst=0 src0=1 src1=0 src2=0
	v_add_nc_u64_e32 v[50:51], v[8:9] /*v[264:265]*/, v[192:193]
	s_set_vgpr_msb 0                        ;  msbs: dst=0 src0=0 src1=0 src2=0
	global_load_b128 v[50:53], v[50:51], off offset:-8
.LBB18_132:                             ;   in Loop: Header=BB18_113 Depth=2
	s_wait_xcnt 0x0
	s_or_b32 exec_lo, exec_lo, s80
	s_set_vgpr_msb 4                        ;  msbs: dst=0 src0=0 src1=1 src2=0
	v_cmp_gt_i32_e64 s80, s79, v56 /*v312*/
	s_set_vgpr_msb 0                        ;  msbs: dst=0 src0=0 src1=0 src2=0
	s_branch .LBB18_135
.LBB18_133:                             ;   in Loop: Header=BB18_113 Depth=2
	s_mov_b32 s80, 0
                                        ; implicit-def: $vgpr52_vgpr53
                                        ; implicit-def: $vgpr44_vgpr45
                                        ; implicit-def: $vgpr48_vgpr49
	s_cbranch_execz .LBB18_135
; %bb.134:                              ;   in Loop: Header=BB18_113 Depth=2
	s_wait_loadcnt 0x0
	s_set_vgpr_msb 1                        ;  msbs: dst=0 src0=1 src1=0 src2=0
	v_add_nc_u64_e32 v[42:43], v[4:5] /*v[260:261]*/, v[192:193]
	v_add_nc_u64_e32 v[50:51], v[12:13] /*v[268:269]*/, v[192:193]
	s_or_b32 s80, s80, exec_lo
	s_set_vgpr_msb 0                        ;  msbs: dst=0 src0=0 src1=0 src2=0
	global_load_b128 v[46:49], v[4:5], off offset:-8
	global_load_b128 v[42:45], v[42:43], off offset:-8
	global_load_b128 v[50:53], v[50:51], off
.LBB18_135:                             ;   in Loop: Header=BB18_113 Depth=2
	v_mov_b64_e32 v[54:55], 0
	v_mov_b64_e32 v[56:57], 0
	s_wait_xcnt 0x0
	s_and_saveexec_b32 s81, s80
	s_cbranch_execz .LBB18_137
; %bb.136:                              ;   in Loop: Header=BB18_113 Depth=2
	s_set_vgpr_msb 1                        ;  msbs: dst=0 src0=1 src1=0 src2=0
	v_add_nc_u64_e32 v[4:5], v[16:17] /*v[272:273]*/, v[192:193]
	s_set_vgpr_msb 0                        ;  msbs: dst=0 src0=0 src1=0 src2=0
	global_load_b128 v[54:57], v[4:5], off offset:-8
.LBB18_137:                             ;   in Loop: Header=BB18_113 Depth=2
	s_wait_xcnt 0x0
	s_or_b32 exec_lo, exec_lo, s81
	s_set_vgpr_msb 1                        ;  msbs: dst=0 src0=1 src1=0 src2=0
	ds_load_b128 v[62:65], v42 /*v298*/
	ds_load_b128 v[58:61], v32 /*v288*/ offset:256
	v_cmp_ne_u32_e32 vcc_lo, 1, v3
	s_and_b32 vcc_lo, exec_lo, vcc_lo
	s_wait_loadcnt_dscnt 0x1
	s_set_vgpr_msb 0                        ;  msbs: dst=0 src0=0 src1=0 src2=0
	v_mul_f64_e32 v[70:71], v[48:49], v[64:65]
	v_mul_f64_e32 v[4:5], v[48:49], v[62:63]
	;; [unrolled: 1-line block ×8, first 2 shown]
	v_fmac_f64_e32 v[70:71], v[46:47], v[62:63]
	v_fma_f64 v[72:73], v[46:47], v[64:65], -v[4:5]
	v_fmac_f64_e32 v[78:79], v[42:43], v[62:63]
	v_fma_f64 v[80:81], v[42:43], v[64:65], -v[66:67]
	;; [unrolled: 2-line block ×4, first 2 shown]
	s_set_vgpr_msb 1                        ;  msbs: dst=0 src0=1 src1=0 src2=0
	ds_load_b128 v[74:77], v32 /*v288*/ offset:272
	ds_load_b128 v[66:69], v32 /*v288*/ offset:288
	;; [unrolled: 1-line block ×3, first 2 shown]
	v_add_nc_u64_e32 v[4:5], v[18:19] /*v[274:275]*/, v[192:193]
	ds_store_b128 v33 /*v289*/, v[70:73]
	ds_store_b128 v33 /*v289*/, v[78:81] offset:1072
	ds_store_b128 v33 /*v289*/, v[86:89] offset:2144
	ds_store_b128 v33 /*v289*/, v[102:105] offset:3216
	s_wait_dscnt 0x0
	s_barrier_signal -1
	s_barrier_wait -1
	ds_load_b128 v[150:153], v34 /*v290*/
	ds_load_b128 v[146:149], v34 /*v290*/ offset:16
	ds_load_b128 v[138:141], v34 /*v290*/ offset:32
	;; [unrolled: 1-line block ×3, first 2 shown]
	s_wait_dscnt 0x0
	s_barrier_signal -1
	s_barrier_wait -1
	s_set_vgpr_msb 0                        ;  msbs: dst=0 src0=0 src1=0 src2=0
	s_cbranch_vccnz .LBB18_145
; %bb.138:                              ;   in Loop: Header=BB18_113 Depth=2
	v_mov_b64_e32 v[70:71], 0
	v_mov_b64_e32 v[78:79], 0
	;; [unrolled: 1-line block ×3, first 2 shown]
	s_mov_b32 s80, exec_lo
	s_set_vgpr_msb 4                        ;  msbs: dst=0 src0=0 src1=1 src2=0
	v_cmpx_gt_i32_e64 s79, v57 /*v313*/
	s_set_vgpr_msb 0                        ;  msbs: dst=0 src0=0 src1=0 src2=0
	s_cbranch_execz .LBB18_140
; %bb.139:                              ;   in Loop: Header=BB18_113 Depth=2
	global_load_b128 v[78:81], v[4:5], off offset:-8
.LBB18_140:                             ;   in Loop: Header=BB18_113 Depth=2
	s_wait_xcnt 0x0
	s_or_b32 exec_lo, exec_lo, s80
	v_mov_b64_e32 v[72:73], 0
	s_mov_b32 s80, exec_lo
	s_set_vgpr_msb 4                        ;  msbs: dst=0 src0=0 src1=1 src2=0
	v_cmpx_gt_i32_e64 s79, v58 /*v314*/
	s_set_vgpr_msb 0                        ;  msbs: dst=0 src0=0 src1=0 src2=0
	s_cbranch_execz .LBB18_142
; %bb.141:                              ;   in Loop: Header=BB18_113 Depth=2
	s_set_vgpr_msb 1                        ;  msbs: dst=0 src0=1 src1=0 src2=0
	v_add_nc_u64_e32 v[70:71], v[14:15] /*v[270:271]*/, v[192:193]
	s_set_vgpr_msb 0                        ;  msbs: dst=0 src0=0 src1=0 src2=0
	global_load_b128 v[70:73], v[70:71], off
.LBB18_142:                             ;   in Loop: Header=BB18_113 Depth=2
	s_wait_xcnt 0x0
	s_or_b32 exec_lo, exec_lo, s80
	v_mov_b64_e32 v[86:87], 0
	v_mov_b64_e32 v[88:89], 0
	s_mov_b32 s80, exec_lo
	s_set_vgpr_msb 4                        ;  msbs: dst=0 src0=0 src1=1 src2=0
	v_cmpx_gt_i32_e64 s79, v59 /*v315*/
	s_set_vgpr_msb 0                        ;  msbs: dst=0 src0=0 src1=0 src2=0
	s_cbranch_execz .LBB18_144
; %bb.143:                              ;   in Loop: Header=BB18_113 Depth=2
	s_set_vgpr_msb 1                        ;  msbs: dst=0 src0=1 src1=0 src2=0
	v_add_nc_u64_e32 v[86:87], v[10:11] /*v[266:267]*/, v[192:193]
	s_set_vgpr_msb 0                        ;  msbs: dst=0 src0=0 src1=0 src2=0
	global_load_b128 v[86:89], v[86:87], off
.LBB18_144:                             ;   in Loop: Header=BB18_113 Depth=2
	s_wait_xcnt 0x0
	s_or_b32 exec_lo, exec_lo, s80
	s_set_vgpr_msb 4                        ;  msbs: dst=0 src0=0 src1=1 src2=0
	v_cmp_gt_i32_e64 s80, s79, v60 /*v316*/
	s_set_vgpr_msb 0                        ;  msbs: dst=0 src0=0 src1=0 src2=0
	s_branch .LBB18_147
.LBB18_145:                             ;   in Loop: Header=BB18_113 Depth=2
	s_mov_b32 s80, 0
                                        ; implicit-def: $vgpr88_vgpr89
                                        ; implicit-def: $vgpr72_vgpr73
                                        ; implicit-def: $vgpr80_vgpr81
	s_cbranch_execz .LBB18_147
; %bb.146:                              ;   in Loop: Header=BB18_113 Depth=2
	s_wait_loadcnt 0x0
	s_set_vgpr_msb 1                        ;  msbs: dst=0 src0=1 src1=0 src2=0
	v_add_nc_u64_e32 v[70:71], v[14:15] /*v[270:271]*/, v[192:193]
	v_add_nc_u64_e32 v[86:87], v[6:7] /*v[262:263]*/, v[192:193]
	s_or_b32 s80, s80, exec_lo
	s_set_vgpr_msb 0                        ;  msbs: dst=0 src0=0 src1=0 src2=0
	global_load_b128 v[78:81], v[4:5], off offset:-8
	global_load_b128 v[70:73], v[70:71], off
	global_load_b128 v[86:89], v[86:87], off offset:-8
.LBB18_147:                             ;   in Loop: Header=BB18_113 Depth=2
	v_mov_b64_e32 v[102:103], 0
	v_mov_b64_e32 v[104:105], 0
	s_wait_xcnt 0x0
	s_and_saveexec_b32 s81, s80
	s_cbranch_execz .LBB18_149
; %bb.148:                              ;   in Loop: Header=BB18_113 Depth=2
	s_set_vgpr_msb 1                        ;  msbs: dst=0 src0=1 src1=0 src2=0
	v_add_nc_u64_e32 v[4:5], v[2:3] /*v[258:259]*/, v[192:193]
	s_set_vgpr_msb 0                        ;  msbs: dst=0 src0=0 src1=0 src2=0
	global_load_b128 v[102:105], v[4:5], off
.LBB18_149:                             ;   in Loop: Header=BB18_113 Depth=2
	s_wait_xcnt 0x0
	s_or_b32 exec_lo, exec_lo, s81
	s_set_vgpr_msb 1                        ;  msbs: dst=0 src0=1 src1=0 src2=0
	ds_load_b128 v[110:113], v42 /*v298*/
	ds_load_b128 v[106:109], v32 /*v288*/ offset:512
	v_cmp_ne_u32_e32 vcc_lo, 1, v3
	s_and_b32 vcc_lo, exec_lo, vcc_lo
	s_wait_loadcnt_dscnt 0x1
	s_set_vgpr_msb 0                        ;  msbs: dst=0 src0=0 src1=0 src2=0
	v_mul_f64_e32 v[122:123], v[80:81], v[112:113]
	v_mul_f64_e32 v[4:5], v[80:81], v[110:111]
	;; [unrolled: 1-line block ×8, first 2 shown]
	v_fmac_f64_e32 v[122:123], v[78:79], v[110:111]
	v_fma_f64 v[124:125], v[78:79], v[112:113], -v[4:5]
	v_fmac_f64_e32 v[126:127], v[70:71], v[110:111]
	v_fma_f64 v[128:129], v[70:71], v[112:113], -v[114:115]
	;; [unrolled: 2-line block ×4, first 2 shown]
	s_set_vgpr_msb 1                        ;  msbs: dst=0 src0=1 src1=0 src2=0
	ds_load_b128 v[118:121], v32 /*v288*/ offset:528
	ds_load_b128 v[114:117], v32 /*v288*/ offset:544
	;; [unrolled: 1-line block ×3, first 2 shown]
	s_set_vgpr_msb 0                        ;  msbs: dst=0 src0=0 src1=0 src2=0
	v_add_nc_u64_e32 v[4:5], v[254:255], v[192:193]
	s_set_vgpr_msb 1                        ;  msbs: dst=0 src0=1 src1=0 src2=0
	ds_store_b128 v33 /*v289*/, v[122:125]
	ds_store_b128 v33 /*v289*/, v[126:129] offset:1072
	ds_store_b128 v33 /*v289*/, v[130:133] offset:2144
	;; [unrolled: 1-line block ×3, first 2 shown]
	s_wait_dscnt 0x0
	s_barrier_signal -1
	s_barrier_wait -1
	ds_load_b128 v[182:185], v34 /*v290*/
	ds_load_b128 v[178:181], v34 /*v290*/ offset:16
	ds_load_b128 v[174:177], v34 /*v290*/ offset:32
	;; [unrolled: 1-line block ×3, first 2 shown]
	s_wait_dscnt 0x0
	s_barrier_signal -1
	s_barrier_wait -1
	s_set_vgpr_msb 0                        ;  msbs: dst=0 src0=0 src1=0 src2=0
	s_cbranch_vccnz .LBB18_157
; %bb.150:                              ;   in Loop: Header=BB18_113 Depth=2
	v_mov_b64_e32 v[122:123], 0
	v_mov_b64_e32 v[126:127], 0
	;; [unrolled: 1-line block ×3, first 2 shown]
	s_mov_b32 s80, exec_lo
	s_set_vgpr_msb 4                        ;  msbs: dst=0 src0=0 src1=1 src2=0
	v_cmpx_gt_i32_e64 s79, v61 /*v317*/
	s_set_vgpr_msb 0                        ;  msbs: dst=0 src0=0 src1=0 src2=0
	s_cbranch_execz .LBB18_152
; %bb.151:                              ;   in Loop: Header=BB18_113 Depth=2
	global_load_b128 v[126:129], v[4:5], off
.LBB18_152:                             ;   in Loop: Header=BB18_113 Depth=2
	s_wait_xcnt 0x0
	s_or_b32 exec_lo, exec_lo, s80
	v_mov_b64_e32 v[124:125], 0
	s_mov_b32 s80, exec_lo
	s_set_vgpr_msb 4                        ;  msbs: dst=0 src0=0 src1=1 src2=0
	v_cmpx_gt_i32_e64 s79, v62 /*v318*/
	s_set_vgpr_msb 0                        ;  msbs: dst=0 src0=0 src1=0 src2=0
	s_cbranch_execz .LBB18_154
; %bb.153:                              ;   in Loop: Header=BB18_113 Depth=2
	v_add_nc_u64_e32 v[122:123], v[250:251], v[192:193]
	global_load_b128 v[122:125], v[122:123], off
.LBB18_154:                             ;   in Loop: Header=BB18_113 Depth=2
	s_wait_xcnt 0x0
	s_or_b32 exec_lo, exec_lo, s80
	v_mov_b64_e32 v[130:131], 0
	v_mov_b64_e32 v[132:133], 0
	s_mov_b32 s80, exec_lo
	s_set_vgpr_msb 4                        ;  msbs: dst=0 src0=0 src1=1 src2=0
	v_cmpx_gt_i32_e64 s79, v63 /*v319*/
	s_set_vgpr_msb 0                        ;  msbs: dst=0 src0=0 src1=0 src2=0
	s_cbranch_execz .LBB18_156
; %bb.155:                              ;   in Loop: Header=BB18_113 Depth=2
	v_add_nc_u64_e32 v[130:131], v[246:247], v[192:193]
	global_load_b128 v[130:133], v[130:131], off
.LBB18_156:                             ;   in Loop: Header=BB18_113 Depth=2
	s_wait_xcnt 0x0
	s_or_b32 exec_lo, exec_lo, s80
	s_set_vgpr_msb 4                        ;  msbs: dst=0 src0=0 src1=1 src2=0
	v_cmp_gt_i32_e64 s80, s79, v64 /*v320*/
	s_set_vgpr_msb 0                        ;  msbs: dst=0 src0=0 src1=0 src2=0
	s_branch .LBB18_159
.LBB18_157:                             ;   in Loop: Header=BB18_113 Depth=2
	s_mov_b32 s80, 0
                                        ; implicit-def: $vgpr132_vgpr133
                                        ; implicit-def: $vgpr124_vgpr125
                                        ; implicit-def: $vgpr128_vgpr129
	s_cbranch_execz .LBB18_159
; %bb.158:                              ;   in Loop: Header=BB18_113 Depth=2
	s_wait_loadcnt 0x0
	v_add_nc_u64_e32 v[122:123], v[250:251], v[192:193]
	v_add_nc_u64_e32 v[130:131], v[242:243], v[192:193]
	s_or_b32 s80, s80, exec_lo
	global_load_b128 v[126:129], v[4:5], off
	global_load_b128 v[122:125], v[122:123], off
	global_load_b128 v[130:133], v[130:131], off offset:-8
.LBB18_159:                             ;   in Loop: Header=BB18_113 Depth=2
	v_mov_b64_e32 v[142:143], 0
	v_mov_b64_e32 v[144:145], 0
	s_wait_xcnt 0x0
	s_and_saveexec_b32 s81, s80
	s_cbranch_execz .LBB18_161
; %bb.160:                              ;   in Loop: Header=BB18_113 Depth=2
	v_add_nc_u64_e32 v[4:5], v[238:239], v[192:193]
	global_load_b128 v[142:145], v[4:5], off
.LBB18_161:                             ;   in Loop: Header=BB18_113 Depth=2
	s_wait_xcnt 0x0
	s_or_b32 exec_lo, exec_lo, s81
	s_set_vgpr_msb 1                        ;  msbs: dst=0 src0=1 src1=0 src2=0
	ds_load_b128 v[158:161], v42 /*v298*/
	ds_load_b128 v[154:157], v32 /*v288*/ offset:768
	v_add_f64_e32 v[150:151], 0, v[150:151]
	v_add_f64_e32 v[152:153], 0, v[152:153]
	s_set_vgpr_msb 4                        ;  msbs: dst=0 src0=0 src1=1 src2=0
	v_cmp_gt_i32_e32 vcc_lo, s79, v22 /*v278*/
	s_or_b32 s71, s71, vcc_lo
	s_delay_alu instid0(SALU_CYCLE_1)
	s_and_b32 s79, s21, s71
	s_wait_loadcnt_dscnt 0x1
	s_set_vgpr_msb 64                       ;  msbs: dst=1 src0=0 src1=0 src2=0
	v_mul_f64_e32 v[66:67] /*v[322:323]*/, v[128:129], v[160:161]
	s_set_vgpr_msb 0                        ;  msbs: dst=0 src0=0 src1=0 src2=0
	v_mul_f64_e32 v[4:5], v[128:129], v[158:159]
	s_set_vgpr_msb 64                       ;  msbs: dst=1 src0=0 src1=0 src2=0
	v_mul_f64_e32 v[70:71] /*v[326:327]*/, v[124:125], v[160:161]
	s_set_vgpr_msb 0                        ;  msbs: dst=0 src0=0 src1=0 src2=0
	v_mul_f64_e32 v[162:163], v[124:125], v[158:159]
	;; [unrolled: 4-line block ×4, first 2 shown]
	v_add_f64_e32 v[146:147], v[150:151], v[146:147]
	v_add_f64_e32 v[148:149], v[152:153], v[148:149]
	s_set_vgpr_msb 64                       ;  msbs: dst=1 src0=0 src1=0 src2=0
	v_fmac_f64_e32 v[66:67] /*v[322:323]*/, v[126:127], v[158:159]
	v_fma_f64 v[68:69] /*v[324:325]*/, v[126:127], v[160:161], -v[4:5]
	v_fmac_f64_e32 v[70:71] /*v[326:327]*/, v[122:123], v[158:159]
	v_fma_f64 v[72:73] /*v[328:329]*/, v[122:123], v[160:161], -v[162:163]
	;; [unrolled: 2-line block ×4, first 2 shown]
	s_set_vgpr_msb 1                        ;  msbs: dst=0 src0=1 src1=0 src2=0
	ds_load_b128 v[166:169], v32 /*v288*/ offset:784
	ds_load_b128 v[162:165], v32 /*v288*/ offset:800
	;; [unrolled: 1-line block ×3, first 2 shown]
	v_add_f64_e32 v[4:5], 0, v[182:183]
	v_add_f64_e32 v[182:183], 0, v[184:185]
	;; [unrolled: 1-line block ×3, first 2 shown]
	s_set_vgpr_msb 5                        ;  msbs: dst=0 src0=1 src1=1 src2=0
	ds_store_b128 v33 /*v289*/, v[66:69] /*v[322:325]*/
	ds_store_b128 v33 /*v289*/, v[70:73] /*v[326:329]*/ offset:1072
	ds_store_b128 v33 /*v289*/, v[74:77] /*v[330:333]*/ offset:2144
	;; [unrolled: 1-line block ×3, first 2 shown]
	s_wait_dscnt 0x0
	s_barrier_signal -1
	s_barrier_wait -1
	s_set_vgpr_msb 0x41                     ;  msbs: dst=1 src0=1 src1=0 src2=0
	ds_load_b128 v[66:69] /*v[322:325]*/, v34 /*v290*/
	v_add_f64_e32 v[70:71] /*v[326:327]*/, 0, v[100:101]
	s_set_vgpr_msb 1                        ;  msbs: dst=0 src0=1 src1=0 src2=0
	ds_load_b128 v[98:101], v34 /*v290*/ offset:16
	s_set_vgpr_msb 0                        ;  msbs: dst=0 src0=0 src1=0 src2=0
	v_add_f64_e32 v[150:151], v[184:185], v[94:95]
	v_add_f64_e32 v[4:5], v[4:5], v[178:179]
	;; [unrolled: 1-line block ×5, first 2 shown]
	s_wait_dscnt 0x1
	s_set_vgpr_msb 0x44                     ;  msbs: dst=1 src0=0 src1=1 src2=0
	v_add_f64_e32 v[66:67] /*v[322:323]*/, 0, v[66:67] /*v[322:323]*/
	v_add_f64_e32 v[68:69] /*v[324:325]*/, 0, v[68:69] /*v[324:325]*/
	s_set_vgpr_msb 1                        ;  msbs: dst=0 src0=1 src1=0 src2=0
	v_add_f64_e32 v[152:153], v[70:71] /*v[326:327]*/, v[96:97]
	ds_load_b128 v[94:97], v34 /*v290*/ offset:32
	s_set_vgpr_msb 0                        ;  msbs: dst=0 src0=0 src1=0 src2=0
	v_add_f64_e32 v[146:147], v[150:151], v[90:91]
	v_add_f64_e32 v[4:5], v[4:5], v[174:175]
	;; [unrolled: 1-line block ×3, first 2 shown]
	s_wait_dscnt 0x1
	s_set_vgpr_msb 1                        ;  msbs: dst=0 src0=1 src1=0 src2=0
	v_add_f64_e32 v[98:99], v[66:67] /*v[322:323]*/, v[98:99]
	v_add_f64_e32 v[100:101], v[68:69] /*v[324:325]*/, v[100:101]
	s_set_vgpr_msb 0                        ;  msbs: dst=0 src0=0 src1=0 src2=0
	v_add_f64_e32 v[148:149], v[152:153], v[92:93]
	s_set_vgpr_msb 1                        ;  msbs: dst=0 src0=1 src1=0 src2=0
	ds_load_b128 v[90:93], v34 /*v290*/ offset:48
	s_set_vgpr_msb 0                        ;  msbs: dst=0 src0=0 src1=0 src2=0
	v_add_f64_e32 v[82:83], v[146:147], v[82:83]
	s_wait_dscnt 0x0
	s_barrier_signal -1
	s_barrier_wait -1
	v_add_f64_e32 v[150:151], v[98:99], v[94:95]
	v_add_f64_e32 v[152:153], v[100:101], v[96:97]
	;; [unrolled: 1-line block ×9, first 2 shown]
	s_set_vgpr_msb 1                        ;  msbs: dst=0 src0=1 src1=0 src2=0
	ds_store_b128 v41 /*v297*/, v[82:85]
	ds_store_b128 v41 /*v297*/, v[98:101] offset:256
	ds_store_b128 v41 /*v297*/, v[94:97] offset:512
	;; [unrolled: 1-line block ×3, first 2 shown]
	s_wait_dscnt 0x0
	s_barrier_signal -1
	s_barrier_wait -1
	s_and_saveexec_b32 s71, s79
	s_set_vgpr_msb 0                        ;  msbs: dst=0 src0=0 src1=0 src2=0
	s_cbranch_execz .LBB18_163
; %bb.162:                              ;   in Loop: Header=BB18_113 Depth=2
	s_set_vgpr_msb 1                        ;  msbs: dst=0 src0=1 src1=0 src2=0
	ds_load_b128 v[82:85], v35 /*v291*/
	ds_load_b128 v[90:93], v35 /*v291*/ offset:16
	s_wait_dscnt 0x0
	s_set_vgpr_msb 0                        ;  msbs: dst=0 src0=0 src1=0 src2=0
	v_add_f64_e32 v[4:5], v[90:91], v[82:83]
	v_add_f64_e32 v[94:95], v[92:93], v[84:85]
	s_set_vgpr_msb 1                        ;  msbs: dst=0 src0=1 src1=0 src2=0
	ds_load_b128 v[82:85], v35 /*v291*/ offset:32
	ds_load_b128 v[90:93], v35 /*v291*/ offset:48
	s_wait_dscnt 0x1
	s_set_vgpr_msb 0                        ;  msbs: dst=0 src0=0 src1=0 src2=0
	v_add_f64_e32 v[4:5], v[4:5], v[82:83]
	v_add_f64_e32 v[82:83], v[94:95], v[84:85]
	s_wait_dscnt 0x0
	s_delay_alu instid0(VALU_DEP_2) | instskip(NEXT) | instid1(VALU_DEP_2)
	v_add_f64_e32 v[4:5], v[4:5], v[90:91]
	v_add_f64_e32 v[94:95], v[82:83], v[92:93]
	s_set_vgpr_msb 1                        ;  msbs: dst=0 src0=1 src1=0 src2=0
	ds_load_b128 v[82:85], v35 /*v291*/ offset:64
	ds_load_b128 v[90:93], v35 /*v291*/ offset:80
	s_wait_dscnt 0x1
	s_set_vgpr_msb 0                        ;  msbs: dst=0 src0=0 src1=0 src2=0
	v_add_f64_e32 v[4:5], v[4:5], v[82:83]
	v_add_f64_e32 v[82:83], v[94:95], v[84:85]
	s_wait_dscnt 0x0
	s_delay_alu instid0(VALU_DEP_2) | instskip(NEXT) | instid1(VALU_DEP_2)
	v_add_f64_e32 v[4:5], v[4:5], v[90:91]
	v_add_f64_e32 v[94:95], v[82:83], v[92:93]
	s_set_vgpr_msb 1                        ;  msbs: dst=0 src0=1 src1=0 src2=0
	ds_load_b128 v[82:85], v35 /*v291*/ offset:96
	ds_load_b128 v[90:93], v35 /*v291*/ offset:112
	s_wait_dscnt 0x1
	s_set_vgpr_msb 0                        ;  msbs: dst=0 src0=0 src1=0 src2=0
	v_add_f64_e32 v[4:5], v[4:5], v[82:83]
	v_add_f64_e32 v[82:83], v[94:95], v[84:85]
	s_wait_dscnt 0x0
	s_delay_alu instid0(VALU_DEP_2) | instskip(NEXT) | instid1(VALU_DEP_2)
	v_add_f64_e32 v[4:5], v[4:5], v[90:91]
	v_add_f64_e32 v[94:95], v[82:83], v[92:93]
	s_set_vgpr_msb 1                        ;  msbs: dst=0 src0=1 src1=0 src2=0
	ds_load_b128 v[82:85], v35 /*v291*/ offset:128
	ds_load_b128 v[90:93], v35 /*v291*/ offset:144
	s_wait_dscnt 0x1
	s_set_vgpr_msb 0                        ;  msbs: dst=0 src0=0 src1=0 src2=0
	v_add_f64_e32 v[4:5], v[4:5], v[82:83]
	v_add_f64_e32 v[82:83], v[94:95], v[84:85]
	s_wait_dscnt 0x0
	s_delay_alu instid0(VALU_DEP_2) | instskip(NEXT) | instid1(VALU_DEP_2)
	v_add_f64_e32 v[4:5], v[4:5], v[90:91]
	v_add_f64_e32 v[94:95], v[82:83], v[92:93]
	s_set_vgpr_msb 1                        ;  msbs: dst=0 src0=1 src1=0 src2=0
	ds_load_b128 v[82:85], v35 /*v291*/ offset:160
	ds_load_b128 v[90:93], v35 /*v291*/ offset:176
	s_wait_dscnt 0x1
	s_set_vgpr_msb 0                        ;  msbs: dst=0 src0=0 src1=0 src2=0
	v_add_f64_e32 v[4:5], v[4:5], v[82:83]
	v_add_f64_e32 v[82:83], v[94:95], v[84:85]
	s_wait_dscnt 0x0
	s_delay_alu instid0(VALU_DEP_2) | instskip(NEXT) | instid1(VALU_DEP_2)
	v_add_f64_e32 v[4:5], v[4:5], v[90:91]
	v_add_f64_e32 v[94:95], v[82:83], v[92:93]
	s_set_vgpr_msb 1                        ;  msbs: dst=0 src0=1 src1=0 src2=0
	ds_load_b128 v[82:85], v35 /*v291*/ offset:192
	ds_load_b128 v[90:93], v35 /*v291*/ offset:208
	s_wait_dscnt 0x1
	s_set_vgpr_msb 0                        ;  msbs: dst=0 src0=0 src1=0 src2=0
	v_add_f64_e32 v[4:5], v[4:5], v[82:83]
	v_add_f64_e32 v[82:83], v[94:95], v[84:85]
	s_wait_dscnt 0x0
	s_delay_alu instid0(VALU_DEP_2) | instskip(NEXT) | instid1(VALU_DEP_2)
	v_add_f64_e32 v[4:5], v[4:5], v[90:91]
	v_add_f64_e32 v[94:95], v[82:83], v[92:93]
	s_set_vgpr_msb 1                        ;  msbs: dst=0 src0=1 src1=0 src2=0
	ds_load_b128 v[82:85], v35 /*v291*/ offset:224
	ds_load_b128 v[90:93], v36 /*v292*/
	s_wait_dscnt 0x1
	s_set_vgpr_msb 0                        ;  msbs: dst=0 src0=0 src1=0 src2=0
	v_add_f64_e32 v[4:5], v[4:5], v[82:83]
	v_add_f64_e32 v[84:85], v[94:95], v[84:85]
	s_wait_dscnt 0x0
	s_delay_alu instid0(VALU_DEP_2) | instskip(NEXT) | instid1(VALU_DEP_2)
	v_add_f64_e32 v[82:83], v[4:5], v[90:91]
	v_add_f64_e32 v[84:85], v[84:85], v[92:93]
	global_store_b128 v229, v[82:85], s[22:23] scale_offset
.LBB18_163:                             ;   in Loop: Header=BB18_113 Depth=2
	s_wait_xcnt 0x0
	s_or_b32 exec_lo, exec_lo, s71
	v_mul_f64_e32 v[4:5], v[16:17], v[28:29]
	v_mul_f64_e32 v[28:29], v[14:15], v[28:29]
	;; [unrolled: 1-line block ×4, first 2 shown]
	v_add_nc_u64_e32 v[236:237], s[68:69], v[236:237]
	v_add_nc_u64_e32 v[238:239], s[68:69], v[238:239]
	;; [unrolled: 1-line block ×10, first 2 shown]
	s_set_vgpr_msb 0x44                     ;  msbs: dst=1 src0=0 src1=1 src2=0
	v_add_nc_u64_e32 v[0:1] /*v[256:257]*/, s[68:69], v[0:1] /*v[256:257]*/
	v_add_nc_u64_e32 v[2:3] /*v[258:259]*/, s[68:69], v[2:3] /*v[258:259]*/
	v_add_nc_u64_e32 v[4:5] /*v[260:261]*/, s[68:69], v[4:5] /*v[260:261]*/
	v_add_nc_u64_e32 v[6:7] /*v[262:263]*/, s[68:69], v[6:7] /*v[262:263]*/
	v_add_nc_u64_e32 v[8:9] /*v[264:265]*/, s[68:69], v[8:9] /*v[264:265]*/
	v_add_nc_u64_e32 v[10:11] /*v[266:267]*/, s[68:69], v[10:11] /*v[266:267]*/
	v_add_nc_u64_e32 v[12:13] /*v[268:269]*/, s[68:69], v[12:13] /*v[268:269]*/
	v_add_nc_u64_e32 v[14:15] /*v[270:271]*/, s[68:69], v[14:15] /*v[270:271]*/
	v_add_nc_u64_e32 v[16:17] /*v[272:273]*/, s[68:69], v[16:17] /*v[272:273]*/
	v_add_nc_u64_e32 v[18:19] /*v[274:275]*/, s[68:69], v[18:19] /*v[274:275]*/
	s_add_co_i32 s71, s78, 1
	s_add_co_i32 s78, s78, 2
	;; [unrolled: 1-line block ×3, first 2 shown]
	s_cmp_ge_u32 s78, s48
	s_wait_storecnt 0x0
	s_barrier_signal -1
	s_barrier_wait -1
	s_set_vgpr_msb 0                        ;  msbs: dst=0 src0=0 src1=0 src2=0
	v_dual_fma_f64 v[4:5], v[14:15], v[26:27], -v[4:5] :: v_dual_add_nc_u32 v229, 64, v229
	v_fmac_f64_e32 v[28:29], v[16:17], v[26:27]
	v_mul_f64_e32 v[14:15], v[20:21], v[36:37]
	v_mul_f64_e32 v[16:17], v[18:19], v[36:37]
	v_fma_f64 v[10:11], v[10:11], v[38:39], -v[82:83]
	v_fmac_f64_e32 v[40:41], v[12:13], v[38:39]
	v_mul_f64_e32 v[12:13], v[22:23], v[32:33]
	v_add_f64_e32 v[4:5], v[6:7], v[4:5]
	v_add_f64_e32 v[6:7], v[8:9], v[28:29]
	v_mul_f64_e32 v[8:9], v[24:25], v[32:33]
	v_fma_f64 v[14:15], v[18:19], v[34:35], -v[14:15]
	v_fmac_f64_e32 v[16:17], v[20:21], v[34:35]
	v_mul_f64_e32 v[18:19], v[46:47], v[60:61]
	v_fmac_f64_e32 v[12:13], v[24:25], v[30:31]
	v_add_f64_e32 v[4:5], v[4:5], v[10:11]
	v_mul_f64_e32 v[10:11], v[48:49], v[60:61]
	v_add_f64_e32 v[6:7], v[6:7], v[40:41]
	v_fma_f64 v[8:9], v[22:23], v[30:31], -v[8:9]
	v_fmac_f64_e32 v[18:19], v[48:49], v[58:59]
	v_add_f64_e32 v[4:5], v[4:5], v[14:15]
	v_mul_f64_e32 v[14:15], v[44:45], v[76:77]
	v_add_f64_e32 v[6:7], v[6:7], v[16:17]
	v_mul_f64_e32 v[16:17], v[42:43], v[76:77]
	v_fma_f64 v[10:11], v[46:47], v[58:59], -v[10:11]
	v_add_f64_e32 v[4:5], v[4:5], v[8:9]
	v_mul_f64_e32 v[8:9], v[52:53], v[68:69]
	v_add_f64_e32 v[6:7], v[6:7], v[12:13]
	v_mul_f64_e32 v[12:13], v[50:51], v[68:69]
	v_fma_f64 v[14:15], v[42:43], v[74:75], -v[14:15]
	v_fmac_f64_e32 v[16:17], v[44:45], v[74:75]
	v_add_f64_e32 v[4:5], v[4:5], v[10:11]
	v_mul_f64_e32 v[10:11], v[56:57], v[64:65]
	v_add_f64_e32 v[6:7], v[6:7], v[18:19]
	v_mul_f64_e32 v[18:19], v[54:55], v[64:65]
	v_fma_f64 v[8:9], v[50:51], v[66:67], -v[8:9]
	v_fmac_f64_e32 v[12:13], v[52:53], v[66:67]
	;; [unrolled: 6-line block ×10, first 2 shown]
	v_add_f64_e32 v[4:5], v[4:5], v[10:11]
	v_fma_f64 v[8:9], v[142:143], v[158:159], -v[8:9]
	v_add_f64_e32 v[6:7], v[6:7], v[18:19]
	v_fmac_f64_e32 v[12:13], v[144:145], v[158:159]
	s_delay_alu instid0(VALU_DEP_4) | instskip(NEXT) | instid1(VALU_DEP_3)
	v_add_f64_e32 v[4:5], v[4:5], v[14:15]
	v_add_f64_e32 v[10:11], v[6:7], v[16:17]
	s_delay_alu instid0(VALU_DEP_2) | instskip(NEXT) | instid1(VALU_DEP_2)
	v_add_f64_e32 v[6:7], v[4:5], v[8:9]
	v_add_f64_e32 v[8:9], v[10:11], v[12:13]
	s_cbranch_scc1 .LBB18_165
; %bb.164:                              ;   in Loop: Header=BB18_113 Depth=2
	s_mov_b32 s78, s71
	s_delay_alu instid0(SALU_CYCLE_1)
	s_cmp_eq_u32 s51, s78
	s_cselect_b32 s79, s72, 0
	s_and_saveexec_b32 s80, s0
	s_cbranch_execnz .LBB18_109
	s_branch .LBB18_113
.LBB18_165:                             ;   in Loop: Header=BB18_4 Depth=1
	s_set_vgpr_msb 1                        ;  msbs: dst=0 src0=1 src1=0 src2=0
	ds_store_b128 v37 /*v293*/, v[6:9]
	s_wait_dscnt 0x0
	s_barrier_signal -1
	s_barrier_wait -1
	s_and_saveexec_b32 s70, s76
	s_set_vgpr_msb 0                        ;  msbs: dst=0 src0=0 src1=0 src2=0
	s_cbranch_execz .LBB18_2
; %bb.166:                              ;   in Loop: Header=BB18_4 Depth=1
	s_set_vgpr_msb 1                        ;  msbs: dst=0 src0=1 src1=0 src2=0
	ds_load_b128 v[4:7], v23 /*v279*/ offset:1072
	ds_load_b128 v[8:11], v23 /*v279*/
	s_wait_dscnt 0x0
	s_set_vgpr_msb 0                        ;  msbs: dst=0 src0=0 src1=0 src2=0
	v_add_f64_e32 v[12:13], v[4:5], v[8:9]
	v_add_f64_e32 v[14:15], v[6:7], v[10:11]
	s_set_vgpr_msb 1                        ;  msbs: dst=0 src0=1 src1=0 src2=0
	ds_load_b128 v[4:7], v23 /*v279*/ offset:2144
	ds_load_b128 v[8:11], v23 /*v279*/ offset:3216
	s_wait_dscnt 0x1
	s_set_vgpr_msb 0                        ;  msbs: dst=0 src0=0 src1=0 src2=0
	v_add_f64_e32 v[4:5], v[12:13], v[4:5]
	v_add_f64_e32 v[6:7], v[14:15], v[6:7]
	s_wait_dscnt 0x0
	s_delay_alu instid0(VALU_DEP_2) | instskip(NEXT) | instid1(VALU_DEP_2)
	v_add_f64_e32 v[4:5], v[4:5], v[8:9]
	v_add_f64_e32 v[6:7], v[6:7], v[10:11]
	v_lshl_add_u64 v[8:9], v[186:187], 4, s[22:23]
	global_store_b128 v[8:9], v[4:7], off
	s_branch .LBB18_2
.LBB18_167:                             ;   in Loop: Header=BB18_4 Depth=1
	s_set_vgpr_msb 1                        ;  msbs: dst=0 src0=1 src1=0 src2=0
	ds_load_b128 v[4:7], v40 /*v296*/
	s_mov_b32 s22, exec_lo
	s_wait_dscnt 0x0
	v_xor_b32_e32 v7, 0x80000000, v7
	ds_store_b64 v46 /*v302*/, v[4:5]
	s_or_saveexec_b32 s23, s23
	v_mov_b32_e32 v3, v46 /*v302*/
	s_xor_b32 exec_lo, exec_lo, s23
	s_set_vgpr_msb 0                        ;  msbs: dst=0 src0=0 src1=0 src2=0
	s_cbranch_execz .LBB18_35
.LBB18_168:                             ;   in Loop: Header=BB18_4 Depth=1
	v_mov_b64_e32 v[6:7], 0
	s_set_vgpr_msb 1                        ;  msbs: dst=0 src0=1 src1=0 src2=0
	v_mov_b32_e32 v3, v25 /*v281*/
	s_and_not1_b32 s22, s22, exec_lo
	s_and_b32 s70, s9, exec_lo
	s_delay_alu instid0(SALU_CYCLE_1)
	s_or_b32 s22, s22, s70
	s_or_b32 exec_lo, exec_lo, s23
	s_and_saveexec_b32 s23, s22
	s_set_vgpr_msb 0                        ;  msbs: dst=0 src0=0 src1=0 src2=0
	s_cbranch_execnz .LBB18_36
	s_branch .LBB18_37
.LBB18_169:                             ;   in Loop: Header=BB18_4 Depth=1
	s_set_vgpr_msb 1                        ;  msbs: dst=0 src0=1 src1=0 src2=0
	ds_load_b128 v[10:13], v40 /*v296*/
	s_mov_b32 s22, exec_lo
	s_wait_dscnt 0x0
	v_xor_b32_e32 v13, 0x80000000, v13
	ds_store_b64 v46 /*v302*/, v[10:11]
	s_or_saveexec_b32 s23, s23
	v_mov_b32_e32 v3, v46 /*v302*/
	s_xor_b32 exec_lo, exec_lo, s23
	s_set_vgpr_msb 0                        ;  msbs: dst=0 src0=0 src1=0 src2=0
	s_cbranch_execz .LBB18_73
.LBB18_170:                             ;   in Loop: Header=BB18_4 Depth=1
	v_mov_b64_e32 v[12:13], 0
	s_set_vgpr_msb 1                        ;  msbs: dst=0 src0=1 src1=0 src2=0
	v_mov_b32_e32 v3, v25 /*v281*/
	s_and_not1_b32 s22, s22, exec_lo
	s_and_b32 s70, s9, exec_lo
	s_delay_alu instid0(SALU_CYCLE_1)
	s_or_b32 s22, s22, s70
	s_or_b32 exec_lo, exec_lo, s23
	s_and_saveexec_b32 s23, s22
	s_set_vgpr_msb 0                        ;  msbs: dst=0 src0=0 src1=0 src2=0
	s_cbranch_execnz .LBB18_74
	s_branch .LBB18_75
.LBB18_171:                             ;   in Loop: Header=BB18_4 Depth=1
	global_load_b128 v[10:13], v[8:9], off
	s_wait_loadcnt 0x0
	s_set_vgpr_msb 1                        ;  msbs: dst=0 src0=1 src1=0 src2=0
	ds_store_2addr_b64 v24 /*v280*/, v[10:11], v[12:13] offset1:1
	s_wait_xcnt 0x0
	s_or_b32 exec_lo, exec_lo, s22
	s_and_saveexec_b32 s22, s3
	s_delay_alu instid0(SALU_CYCLE_1)
	s_xor_b32 s22, exec_lo, s22
	s_set_vgpr_msb 0                        ;  msbs: dst=0 src0=0 src1=0 src2=0
	s_cbranch_execz .LBB18_18
.LBB18_172:                             ;   in Loop: Header=BB18_4 Depth=1
	v_dual_mov_b32 v3, v2 :: v_dual_mov_b32 v4, v2
	v_mov_b32_e32 v5, v2
	s_set_vgpr_msb 1                        ;  msbs: dst=0 src0=1 src1=0 src2=0
	ds_store_b128 v43 /*v299*/, v[2:5]
	s_and_not1_saveexec_b32 s22, s22
	s_set_vgpr_msb 0                        ;  msbs: dst=0 src0=0 src1=0 src2=0
	s_cbranch_execz .LBB18_19
.LBB18_173:                             ;   in Loop: Header=BB18_4 Depth=1
	v_lshl_add_u64 v[4:5], s[46:47], 4, v[8:9]
	global_load_b128 v[10:13], v[4:5], off
	s_wait_loadcnt 0x0
	s_set_vgpr_msb 1                        ;  msbs: dst=0 src0=1 src1=0 src2=0
	ds_store_2addr_b64 v43 /*v299*/, v[10:11], v[12:13] offset1:1
	s_wait_xcnt 0x0
	s_or_b32 exec_lo, exec_lo, s22
	s_and_saveexec_b32 s22, s4
	s_delay_alu instid0(SALU_CYCLE_1)
	s_xor_b32 s22, exec_lo, s22
	s_set_vgpr_msb 0                        ;  msbs: dst=0 src0=0 src1=0 src2=0
	s_cbranch_execz .LBB18_20
.LBB18_174:                             ;   in Loop: Header=BB18_4 Depth=1
	v_dual_mov_b32 v3, v2 :: v_dual_mov_b32 v4, v2
	v_mov_b32_e32 v5, v2
	s_set_vgpr_msb 1                        ;  msbs: dst=0 src0=1 src1=0 src2=0
	ds_store_b128 v44 /*v300*/, v[2:5]
	s_and_not1_saveexec_b32 s22, s22
	s_set_vgpr_msb 0                        ;  msbs: dst=0 src0=0 src1=0 src2=0
	s_cbranch_execz .LBB18_21
.LBB18_175:                             ;   in Loop: Header=BB18_4 Depth=1
	v_lshl_add_u64 v[4:5], s[52:53], 4, v[8:9]
	global_load_b128 v[10:13], v[4:5], off
	s_wait_loadcnt 0x0
	s_set_vgpr_msb 1                        ;  msbs: dst=0 src0=1 src1=0 src2=0
	ds_store_2addr_b64 v44 /*v300*/, v[10:11], v[12:13] offset1:1
	s_wait_xcnt 0x0
	s_or_b32 exec_lo, exec_lo, s22
	s_and_saveexec_b32 s22, s5
	s_delay_alu instid0(SALU_CYCLE_1)
	s_xor_b32 s22, exec_lo, s22
	s_set_vgpr_msb 0                        ;  msbs: dst=0 src0=0 src1=0 src2=0
	s_cbranch_execz .LBB18_22
.LBB18_176:                             ;   in Loop: Header=BB18_4 Depth=1
	v_dual_mov_b32 v3, v2 :: v_dual_mov_b32 v4, v2
	v_mov_b32_e32 v5, v2
	s_set_vgpr_msb 1                        ;  msbs: dst=0 src0=1 src1=0 src2=0
	ds_store_b128 v45 /*v301*/, v[2:5]
	s_and_not1_saveexec_b32 s22, s22
	s_set_vgpr_msb 0                        ;  msbs: dst=0 src0=0 src1=0 src2=0
	s_cbranch_execnz .LBB18_23
	s_branch .LBB18_24
.LBB18_177:                             ;   in Loop: Header=BB18_4 Depth=1
	global_load_b128 v[16:19], v[14:15], off
	s_wait_loadcnt 0x0
	s_set_vgpr_msb 1                        ;  msbs: dst=0 src0=1 src1=0 src2=0
	ds_store_2addr_b64 v24 /*v280*/, v[16:17], v[18:19] offset1:1
	s_wait_xcnt 0x0
	s_or_b32 exec_lo, exec_lo, s22
	s_and_saveexec_b32 s22, s17
	s_delay_alu instid0(SALU_CYCLE_1)
	s_xor_b32 s22, exec_lo, s22
	s_set_vgpr_msb 0                        ;  msbs: dst=0 src0=0 src1=0 src2=0
	s_cbranch_execz .LBB18_56
.LBB18_178:                             ;   in Loop: Header=BB18_4 Depth=1
	v_dual_mov_b32 v3, v2 :: v_dual_mov_b32 v4, v2
	v_mov_b32_e32 v5, v2
	s_set_vgpr_msb 1                        ;  msbs: dst=0 src0=1 src1=0 src2=0
	ds_store_b128 v43 /*v299*/, v[2:5]
	s_and_not1_saveexec_b32 s22, s22
	s_set_vgpr_msb 0                        ;  msbs: dst=0 src0=0 src1=0 src2=0
	s_cbranch_execz .LBB18_57
.LBB18_179:                             ;   in Loop: Header=BB18_4 Depth=1
	v_lshl_add_u64 v[4:5], s[46:47], 4, v[14:15]
	global_load_b128 v[16:19], v[4:5], off
	s_wait_loadcnt 0x0
	s_set_vgpr_msb 1                        ;  msbs: dst=0 src0=1 src1=0 src2=0
	ds_store_2addr_b64 v43 /*v299*/, v[16:17], v[18:19] offset1:1
	s_wait_xcnt 0x0
	s_or_b32 exec_lo, exec_lo, s22
	s_and_saveexec_b32 s22, s18
	s_delay_alu instid0(SALU_CYCLE_1)
	s_xor_b32 s22, exec_lo, s22
	s_set_vgpr_msb 0                        ;  msbs: dst=0 src0=0 src1=0 src2=0
	s_cbranch_execz .LBB18_58
.LBB18_180:                             ;   in Loop: Header=BB18_4 Depth=1
	v_dual_mov_b32 v3, v2 :: v_dual_mov_b32 v4, v2
	v_mov_b32_e32 v5, v2
	s_set_vgpr_msb 1                        ;  msbs: dst=0 src0=1 src1=0 src2=0
	ds_store_b128 v44 /*v300*/, v[2:5]
	s_and_not1_saveexec_b32 s22, s22
	s_set_vgpr_msb 0                        ;  msbs: dst=0 src0=0 src1=0 src2=0
	s_cbranch_execz .LBB18_59
.LBB18_181:                             ;   in Loop: Header=BB18_4 Depth=1
	v_lshl_add_u64 v[4:5], s[52:53], 4, v[14:15]
	global_load_b128 v[16:19], v[4:5], off
	s_wait_loadcnt 0x0
	s_set_vgpr_msb 1                        ;  msbs: dst=0 src0=1 src1=0 src2=0
	ds_store_2addr_b64 v44 /*v300*/, v[16:17], v[18:19] offset1:1
	s_wait_xcnt 0x0
	s_or_b32 exec_lo, exec_lo, s22
	s_and_saveexec_b32 s22, s19
	s_delay_alu instid0(SALU_CYCLE_1)
	s_xor_b32 s22, exec_lo, s22
	s_set_vgpr_msb 0                        ;  msbs: dst=0 src0=0 src1=0 src2=0
	s_cbranch_execz .LBB18_60
.LBB18_182:                             ;   in Loop: Header=BB18_4 Depth=1
	v_dual_mov_b32 v3, v2 :: v_dual_mov_b32 v4, v2
	v_mov_b32_e32 v5, v2
	s_set_vgpr_msb 1                        ;  msbs: dst=0 src0=1 src1=0 src2=0
	ds_store_b128 v45 /*v301*/, v[2:5]
	s_and_not1_saveexec_b32 s22, s22
	s_set_vgpr_msb 0                        ;  msbs: dst=0 src0=0 src1=0 src2=0
	s_cbranch_execnz .LBB18_61
	s_branch .LBB18_62
.LBB18_183:                             ;   in Loop: Header=BB18_4 Depth=1
	global_load_b128 v[16:19], v[12:13], off
	s_wait_loadcnt 0x0
	s_set_vgpr_msb 1                        ;  msbs: dst=0 src0=1 src1=0 src2=0
	ds_store_2addr_b64 v24 /*v280*/, v[16:17], v[18:19] offset1:1
	s_wait_xcnt 0x0
	s_or_b32 exec_lo, exec_lo, s22
	s_and_saveexec_b32 s22, s17
	s_delay_alu instid0(SALU_CYCLE_1)
	s_xor_b32 s22, exec_lo, s22
	s_set_vgpr_msb 0                        ;  msbs: dst=0 src0=0 src1=0 src2=0
	s_cbranch_execz .LBB18_94
.LBB18_184:                             ;   in Loop: Header=BB18_4 Depth=1
	v_dual_mov_b32 v3, v2 :: v_dual_mov_b32 v4, v2
	v_mov_b32_e32 v5, v2
	s_set_vgpr_msb 1                        ;  msbs: dst=0 src0=1 src1=0 src2=0
	ds_store_b128 v43 /*v299*/, v[2:5]
	s_and_not1_saveexec_b32 s22, s22
	s_set_vgpr_msb 0                        ;  msbs: dst=0 src0=0 src1=0 src2=0
	s_cbranch_execz .LBB18_95
.LBB18_185:                             ;   in Loop: Header=BB18_4 Depth=1
	v_lshl_add_u64 v[4:5], s[46:47], 4, v[12:13]
	global_load_b128 v[16:19], v[4:5], off
	s_wait_loadcnt 0x0
	s_set_vgpr_msb 1                        ;  msbs: dst=0 src0=1 src1=0 src2=0
	ds_store_2addr_b64 v43 /*v299*/, v[16:17], v[18:19] offset1:1
	s_wait_xcnt 0x0
	s_or_b32 exec_lo, exec_lo, s22
	s_and_saveexec_b32 s22, s18
	s_delay_alu instid0(SALU_CYCLE_1)
	s_xor_b32 s22, exec_lo, s22
	s_set_vgpr_msb 0                        ;  msbs: dst=0 src0=0 src1=0 src2=0
	s_cbranch_execz .LBB18_96
.LBB18_186:                             ;   in Loop: Header=BB18_4 Depth=1
	v_dual_mov_b32 v3, v2 :: v_dual_mov_b32 v4, v2
	v_mov_b32_e32 v5, v2
	s_set_vgpr_msb 1                        ;  msbs: dst=0 src0=1 src1=0 src2=0
	ds_store_b128 v44 /*v300*/, v[2:5]
	s_and_not1_saveexec_b32 s22, s22
	s_set_vgpr_msb 0                        ;  msbs: dst=0 src0=0 src1=0 src2=0
	s_cbranch_execz .LBB18_97
.LBB18_187:                             ;   in Loop: Header=BB18_4 Depth=1
	v_lshl_add_u64 v[4:5], s[52:53], 4, v[12:13]
	global_load_b128 v[16:19], v[4:5], off
	s_wait_loadcnt 0x0
	s_set_vgpr_msb 1                        ;  msbs: dst=0 src0=1 src1=0 src2=0
	ds_store_2addr_b64 v44 /*v300*/, v[16:17], v[18:19] offset1:1
	s_wait_xcnt 0x0
	s_or_b32 exec_lo, exec_lo, s22
	s_and_saveexec_b32 s22, s19
	s_delay_alu instid0(SALU_CYCLE_1)
	s_xor_b32 s22, exec_lo, s22
	s_set_vgpr_msb 0                        ;  msbs: dst=0 src0=0 src1=0 src2=0
	s_cbranch_execz .LBB18_98
.LBB18_188:                             ;   in Loop: Header=BB18_4 Depth=1
	v_dual_mov_b32 v3, v2 :: v_dual_mov_b32 v4, v2
	v_mov_b32_e32 v5, v2
	s_set_vgpr_msb 1                        ;  msbs: dst=0 src0=1 src1=0 src2=0
	ds_store_b128 v45 /*v301*/, v[2:5]
	s_and_not1_saveexec_b32 s22, s22
	s_set_vgpr_msb 0                        ;  msbs: dst=0 src0=0 src1=0 src2=0
	s_cbranch_execnz .LBB18_99
	s_branch .LBB18_100
.LBB18_189:
	s_sendmsg sendmsg(MSG_DEALLOC_VGPRS)
	s_endpgm
	.section	.rodata,"a",@progbits
	.p2align	6, 0x0
	.amdhsa_kernel _ZL26rocblas_hemvn_kernel_upperILb1ELi64ELi4ELi33ELi32ELi16EiPK19rocblas_complex_numIdES3_PS1_EviT6_lT7_lT5_lS6_lS7_lS5_lT8_i
		.amdhsa_group_segment_fixed_size 19200
		.amdhsa_private_segment_fixed_size 0
		.amdhsa_kernarg_size 376
		.amdhsa_user_sgpr_count 2
		.amdhsa_user_sgpr_dispatch_ptr 0
		.amdhsa_user_sgpr_queue_ptr 0
		.amdhsa_user_sgpr_kernarg_segment_ptr 1
		.amdhsa_user_sgpr_dispatch_id 0
		.amdhsa_user_sgpr_kernarg_preload_length 0
		.amdhsa_user_sgpr_kernarg_preload_offset 0
		.amdhsa_user_sgpr_private_segment_size 0
		.amdhsa_wavefront_size32 1
		.amdhsa_uses_dynamic_stack 0
		.amdhsa_enable_private_segment 0
		.amdhsa_system_sgpr_workgroup_id_x 1
		.amdhsa_system_sgpr_workgroup_id_y 0
		.amdhsa_system_sgpr_workgroup_id_z 1
		.amdhsa_system_sgpr_workgroup_info 0
		.amdhsa_system_vgpr_workitem_id 1
		.amdhsa_next_free_vgpr 338
		.amdhsa_next_free_sgpr 88
		.amdhsa_named_barrier_count 0
		.amdhsa_reserve_vcc 1
		.amdhsa_float_round_mode_32 0
		.amdhsa_float_round_mode_16_64 0
		.amdhsa_float_denorm_mode_32 3
		.amdhsa_float_denorm_mode_16_64 3
		.amdhsa_fp16_overflow 0
		.amdhsa_memory_ordered 1
		.amdhsa_forward_progress 1
		.amdhsa_inst_pref_size 87
		.amdhsa_round_robin_scheduling 0
		.amdhsa_exception_fp_ieee_invalid_op 0
		.amdhsa_exception_fp_denorm_src 0
		.amdhsa_exception_fp_ieee_div_zero 0
		.amdhsa_exception_fp_ieee_overflow 0
		.amdhsa_exception_fp_ieee_underflow 0
		.amdhsa_exception_fp_ieee_inexact 0
		.amdhsa_exception_int_div_zero 0
	.end_amdhsa_kernel
	.section	.text._ZL26rocblas_hemvn_kernel_upperILb1ELi64ELi4ELi33ELi32ELi16EiPK19rocblas_complex_numIdES3_PS1_EviT6_lT7_lT5_lS6_lS7_lS5_lT8_i,"axG",@progbits,_ZL26rocblas_hemvn_kernel_upperILb1ELi64ELi4ELi33ELi32ELi16EiPK19rocblas_complex_numIdES3_PS1_EviT6_lT7_lT5_lS6_lS7_lS5_lT8_i,comdat
.Lfunc_end18:
	.size	_ZL26rocblas_hemvn_kernel_upperILb1ELi64ELi4ELi33ELi32ELi16EiPK19rocblas_complex_numIdES3_PS1_EviT6_lT7_lT5_lS6_lS7_lS5_lT8_i, .Lfunc_end18-_ZL26rocblas_hemvn_kernel_upperILb1ELi64ELi4ELi33ELi32ELi16EiPK19rocblas_complex_numIdES3_PS1_EviT6_lT7_lT5_lS6_lS7_lS5_lT8_i
                                        ; -- End function
	.set _ZL26rocblas_hemvn_kernel_upperILb1ELi64ELi4ELi33ELi32ELi16EiPK19rocblas_complex_numIdES3_PS1_EviT6_lT7_lT5_lS6_lS7_lS5_lT8_i.num_vgpr, 338
	.set _ZL26rocblas_hemvn_kernel_upperILb1ELi64ELi4ELi33ELi32ELi16EiPK19rocblas_complex_numIdES3_PS1_EviT6_lT7_lT5_lS6_lS7_lS5_lT8_i.num_agpr, 0
	.set _ZL26rocblas_hemvn_kernel_upperILb1ELi64ELi4ELi33ELi32ELi16EiPK19rocblas_complex_numIdES3_PS1_EviT6_lT7_lT5_lS6_lS7_lS5_lT8_i.numbered_sgpr, 88
	.set _ZL26rocblas_hemvn_kernel_upperILb1ELi64ELi4ELi33ELi32ELi16EiPK19rocblas_complex_numIdES3_PS1_EviT6_lT7_lT5_lS6_lS7_lS5_lT8_i.num_named_barrier, 0
	.set _ZL26rocblas_hemvn_kernel_upperILb1ELi64ELi4ELi33ELi32ELi16EiPK19rocblas_complex_numIdES3_PS1_EviT6_lT7_lT5_lS6_lS7_lS5_lT8_i.private_seg_size, 0
	.set _ZL26rocblas_hemvn_kernel_upperILb1ELi64ELi4ELi33ELi32ELi16EiPK19rocblas_complex_numIdES3_PS1_EviT6_lT7_lT5_lS6_lS7_lS5_lT8_i.uses_vcc, 1
	.set _ZL26rocblas_hemvn_kernel_upperILb1ELi64ELi4ELi33ELi32ELi16EiPK19rocblas_complex_numIdES3_PS1_EviT6_lT7_lT5_lS6_lS7_lS5_lT8_i.uses_flat_scratch, 0
	.set _ZL26rocblas_hemvn_kernel_upperILb1ELi64ELi4ELi33ELi32ELi16EiPK19rocblas_complex_numIdES3_PS1_EviT6_lT7_lT5_lS6_lS7_lS5_lT8_i.has_dyn_sized_stack, 0
	.set _ZL26rocblas_hemvn_kernel_upperILb1ELi64ELi4ELi33ELi32ELi16EiPK19rocblas_complex_numIdES3_PS1_EviT6_lT7_lT5_lS6_lS7_lS5_lT8_i.has_recursion, 0
	.set _ZL26rocblas_hemvn_kernel_upperILb1ELi64ELi4ELi33ELi32ELi16EiPK19rocblas_complex_numIdES3_PS1_EviT6_lT7_lT5_lS6_lS7_lS5_lT8_i.has_indirect_call, 0
	.section	.AMDGPU.csdata,"",@progbits
; Kernel info:
; codeLenInByte = 11032
; TotalNumSgprs: 90
; NumVgprs: 338
; ScratchSize: 0
; MemoryBound: 1
; FloatMode: 240
; IeeeMode: 1
; LDSByteSize: 19200 bytes/workgroup (compile time only)
; SGPRBlocks: 0
; VGPRBlocks: 21
; NumSGPRsForWavesPerEU: 90
; NumVGPRsForWavesPerEU: 338
; NamedBarCnt: 0
; Occupancy: 2
; WaveLimiterHint : 0
; COMPUTE_PGM_RSRC2:SCRATCH_EN: 0
; COMPUTE_PGM_RSRC2:USER_SGPR: 2
; COMPUTE_PGM_RSRC2:TRAP_HANDLER: 0
; COMPUTE_PGM_RSRC2:TGID_X_EN: 1
; COMPUTE_PGM_RSRC2:TGID_Y_EN: 0
; COMPUTE_PGM_RSRC2:TGID_Z_EN: 1
; COMPUTE_PGM_RSRC2:TIDIG_COMP_CNT: 1
	.section	.text._ZL36rocblas_hemvn_kernel_upper_block_sumILi64EiPK19rocblas_complex_numIdEPS1_S1_EviT1_lS5_lT2_lT0_lPT3_i,"axG",@progbits,_ZL36rocblas_hemvn_kernel_upper_block_sumILi64EiPK19rocblas_complex_numIdEPS1_S1_EviT1_lS5_lT2_lT0_lPT3_i,comdat
	.globl	_ZL36rocblas_hemvn_kernel_upper_block_sumILi64EiPK19rocblas_complex_numIdEPS1_S1_EviT1_lS5_lT2_lT0_lPT3_i ; -- Begin function _ZL36rocblas_hemvn_kernel_upper_block_sumILi64EiPK19rocblas_complex_numIdEPS1_S1_EviT1_lS5_lT2_lT0_lPT3_i
	.p2align	8
	.type	_ZL36rocblas_hemvn_kernel_upper_block_sumILi64EiPK19rocblas_complex_numIdEPS1_S1_EviT1_lS5_lT2_lT0_lPT3_i,@function
_ZL36rocblas_hemvn_kernel_upper_block_sumILi64EiPK19rocblas_complex_numIdEPS1_S1_EviT1_lS5_lT2_lT0_lPT3_i: ; @_ZL36rocblas_hemvn_kernel_upper_block_sumILi64EiPK19rocblas_complex_numIdEPS1_S1_EviT1_lS5_lT2_lT0_lPT3_i
; %bb.0:
	s_load_b32 s3, s[0:1], 0x50
	s_bfe_u32 s2, ttmp6, 0x40014
	s_lshr_b32 s4, ttmp7, 16
	s_add_co_i32 s2, s2, 1
	s_bfe_u32 s6, ttmp6, 0x40008
	s_mul_i32 s5, s4, s2
	s_getreg_b32 s2, hwreg(HW_REG_IB_STS2, 6, 4)
	s_add_co_i32 s6, s6, s5
	s_cmp_eq_u32 s2, 0
	s_mov_b32 s25, 0
	s_cselect_b32 s24, s4, s6
	s_wait_kmcnt 0x0
	s_cmp_ge_u32 s24, s3
	s_cbranch_scc1 .LBB19_26
; %bb.1:
	s_clause 0x1
	s_load_b128 s[16:19], s[0:1], 0x28
	s_load_b32 s21, s[0:1], 0x38
	s_bfe_u32 s4, ttmp6, 0x4000c
	s_load_b128 s[12:15], s[0:1], 0x40
	s_add_co_i32 s4, s4, 1
	s_and_b32 s5, ttmp6, 15
	s_mul_i32 s4, ttmp9, s4
	s_load_b32 s20, s[0:1], 0x0
	s_add_co_i32 s5, s5, s4
	s_wait_kmcnt 0x0
	s_lshl_b64 s[18:19], s[18:19], 4
	s_cmp_eq_u32 s2, 0
	s_cselect_b32 s31, ttmp9, s5
	s_load_b256 s[4:11], s[0:1], 0x8
	v_lshl_or_b32 v0, s31, 6, v0
	s_wait_xcnt 0x0
	s_add_nc_u64 s[0:1], s[0:1], 0x58
	s_delay_alu instid0(VALU_DEP_1)
	v_ashrrev_i32_e32 v1, 31, v0
	v_mul_lo_u32 v4, s21, v0
	s_ashr_i32 s21, s20, 31
	v_cmp_gt_i32_e64 s2, s20, v0
	s_cmp_gt_i32 s31, -1
	v_lshl_add_u64 v[2:3], v[0:1], 4, s[14:15]
	s_add_nc_u64 s[14:15], s[16:17], s[18:19]
	s_cselect_b32 s30, -1, 0
	s_add_co_i32 s31, s31, 1
	s_lshl_b64 s[26:27], s[20:21], 4
	v_add_nc_u64_e32 v[6:7], 8, v[2:3]
	v_ashrrev_i32_e32 v5, 31, v4
	s_branch .LBB19_4
.LBB19_2:                               ;   in Loop: Header=BB19_4 Depth=1
	s_wait_xcnt 0x0
	s_or_b32 exec_lo, exec_lo, s16
.LBB19_3:                               ;   in Loop: Header=BB19_4 Depth=1
	s_add_co_i32 s24, s24, 0x10000
	s_delay_alu instid0(SALU_CYCLE_1)
	s_cmp_lt_u32 s24, s3
	s_cbranch_scc0 .LBB19_26
.LBB19_4:                               ; =>This Loop Header: Depth=1
                                        ;     Child Loop BB19_17 Depth 2
	s_wait_kmcnt 0x0
	s_mul_u64 s[16:17], s[6:7], s[24:25]
	s_delay_alu instid0(SALU_CYCLE_1) | instskip(NEXT) | instid1(SALU_CYCLE_1)
	s_lshl_b64 s[16:17], s[16:17], 4
	s_add_nc_u64 s[16:17], s[4:5], s[16:17]
	s_load_b128 s[20:23], s[16:17], 0x0
	s_wait_xcnt 0x0
	s_mul_u64 s[16:17], s[10:11], s[24:25]
	s_delay_alu instid0(SALU_CYCLE_1) | instskip(NEXT) | instid1(SALU_CYCLE_1)
	s_lshl_b64 s[16:17], s[16:17], 4
	s_add_nc_u64 s[28:29], s[8:9], s[16:17]
	s_load_b128 s[16:19], s[28:29], 0x0
	s_wait_xcnt 0x0
	s_mov_b32 s29, -1
	s_wait_kmcnt 0x0
	v_cmp_neq_f64_e64 s33, s[20:21], 0
	v_cmp_neq_f64_e64 s34, s[22:23], 0
	s_or_b32 s28, s33, s34
	s_delay_alu instid0(SALU_CYCLE_1)
	s_and_b32 vcc_lo, exec_lo, s28
	s_cbranch_vccz .LBB19_6
; %bb.5:                                ;   in Loop: Header=BB19_4 Depth=1
	s_and_not1_b32 vcc_lo, exec_lo, s29
	s_cbranch_vccnz .LBB19_3
	s_branch .LBB19_7
.LBB19_6:                               ;   in Loop: Header=BB19_4 Depth=1
	v_cmp_neq_f64_e64 s29, s[16:17], 1.0
	v_cmp_neq_f64_e64 s33, s[18:19], 0
	s_or_b32 s29, s29, s33
	s_delay_alu instid0(SALU_CYCLE_1)
	s_and_not1_b32 vcc_lo, exec_lo, s29
	s_cbranch_vccnz .LBB19_3
.LBB19_7:                               ;   in Loop: Header=BB19_4 Depth=1
	s_xor_b32 s33, s28, -1
	s_mul_u64 s[28:29], s[12:13], s[24:25]
	s_and_not1_b32 vcc_lo, exec_lo, s33
	s_lshl_b64 s[28:29], s[28:29], 4
	s_delay_alu instid0(SALU_CYCLE_1)
	s_add_nc_u64 s[28:29], s[14:15], s[28:29]
	s_cbranch_vccnz .LBB19_12
; %bb.8:                                ;   in Loop: Header=BB19_4 Depth=1
	s_mov_b32 s34, 0
	s_mov_b32 s33, 0
                                        ; implicit-def: $vgpr2_vgpr3
	s_and_saveexec_b32 s35, s2
	s_cbranch_execz .LBB19_13
; %bb.9:                                ;   in Loop: Header=BB19_4 Depth=1
	v_cmp_neq_f64_e64 s33, s[16:17], 0
	v_cmp_neq_f64_e64 s36, s[18:19], 0
	v_mov_b64_e32 v[2:3], 0
	v_mov_b64_e32 v[0:1], 0
	s_or_b32 s33, s33, s36
	s_delay_alu instid0(SALU_CYCLE_1)
	s_and_not1_b32 vcc_lo, exec_lo, s33
	s_cbranch_vccnz .LBB19_11
; %bb.10:                               ;   in Loop: Header=BB19_4 Depth=1
	v_lshl_add_u64 v[0:1], v[4:5], 4, s[28:29]
	global_load_b128 v[8:11], v[0:1], off
	s_wait_loadcnt 0x0
	s_wait_xcnt 0x0
	v_mul_f64_e32 v[0:1], s[18:19], v[10:11]
	v_mul_f64_e32 v[2:3], s[16:17], v[10:11]
	s_delay_alu instid0(VALU_DEP_2) | instskip(NEXT) | instid1(VALU_DEP_2)
	v_fma_f64 v[0:1], s[16:17], v[8:9], -v[0:1]
	v_fmac_f64_e32 v[2:3], s[18:19], v[8:9]
.LBB19_11:                              ;   in Loop: Header=BB19_4 Depth=1
	s_mov_b32 s33, exec_lo
	s_or_b32 exec_lo, exec_lo, s35
	s_delay_alu instid0(SALU_CYCLE_1)
	s_and_b32 vcc_lo, exec_lo, s34
	s_cbranch_vccnz .LBB19_14
	s_branch .LBB19_24
.LBB19_12:                              ;   in Loop: Header=BB19_4 Depth=1
	s_mov_b32 s33, 0
                                        ; implicit-def: $vgpr2_vgpr3
	s_cbranch_execnz .LBB19_14
	s_branch .LBB19_24
.LBB19_13:                              ;   in Loop: Header=BB19_4 Depth=1
	s_or_b32 exec_lo, exec_lo, s35
	s_delay_alu instid0(SALU_CYCLE_1)
	s_and_b32 vcc_lo, exec_lo, s34
	s_cbranch_vccz .LBB19_24
.LBB19_14:                              ;   in Loop: Header=BB19_4 Depth=1
                                        ; implicit-def: $vgpr2_vgpr3
	s_and_saveexec_b32 s34, s2
	s_cbranch_execz .LBB19_23
; %bb.15:                               ;   in Loop: Header=BB19_4 Depth=1
	v_mov_b64_e32 v[0:1], 0
	v_mov_b64_e32 v[8:9], 0
	s_and_not1_b32 vcc_lo, exec_lo, s30
	s_cbranch_vccnz .LBB19_18
; %bb.16:                               ;   in Loop: Header=BB19_4 Depth=1
	s_load_b32 s36, s[0:1], 0x0
	s_mov_b32 s37, s25
	v_mov_b64_e32 v[0:1], 0
	v_mov_b64_e32 v[8:9], 0
	s_mov_b32 s35, s31
	s_wait_kmcnt 0x0
	s_mul_u64 s[36:37], s[26:27], s[36:37]
	s_delay_alu instid0(SALU_CYCLE_1) | instskip(NEXT) | instid1(VALU_DEP_1)
	v_mad_nc_u64_u32 v[2:3], s36, s24, v[6:7]
	v_mad_u32 v3, s37, s24, v3
.LBB19_17:                              ;   Parent Loop BB19_4 Depth=1
                                        ; =>  This Inner Loop Header: Depth=2
	global_load_b128 v[10:13], v[2:3], off offset:-8
	s_wait_xcnt 0x0
	v_add_nc_u64_e32 v[2:3], s[26:27], v[2:3]
	s_add_co_i32 s35, s35, -1
	s_delay_alu instid0(SALU_CYCLE_1)
	s_cmp_eq_u32 s35, 0
	s_wait_loadcnt 0x0
	v_add_f64_e32 v[8:9], v[8:9], v[10:11]
	v_add_f64_e32 v[0:1], v[0:1], v[12:13]
	s_cbranch_scc0 .LBB19_17
.LBB19_18:                              ;   in Loop: Header=BB19_4 Depth=1
	s_delay_alu instid0(VALU_DEP_1) | instskip(SKIP_3) | instid1(VALU_DEP_4)
	v_mul_f64_e32 v[10:11], s[22:23], v[0:1]
	v_mul_f64_e32 v[2:3], s[20:21], v[0:1]
	v_cmp_neq_f64_e64 s35, s[16:17], 0
	v_cmp_neq_f64_e64 s36, s[18:19], 0
	v_fma_f64 v[0:1], s[20:21], v[8:9], -v[10:11]
	s_delay_alu instid0(VALU_DEP_4) | instskip(SKIP_1) | instid1(SALU_CYCLE_1)
	v_fmac_f64_e32 v[2:3], s[22:23], v[8:9]
	s_or_b32 s20, s35, s36
	s_and_not1_b32 vcc_lo, exec_lo, s20
	s_mov_b32 s20, -1
	s_cbranch_vccz .LBB19_20
; %bb.19:                               ;   in Loop: Header=BB19_4 Depth=1
	s_mov_b32 s20, 0
.LBB19_20:                              ;   in Loop: Header=BB19_4 Depth=1
	s_delay_alu instid0(SALU_CYCLE_1)
	s_and_not1_b32 vcc_lo, exec_lo, s20
	s_cbranch_vccnz .LBB19_22
; %bb.21:                               ;   in Loop: Header=BB19_4 Depth=1
	v_lshl_add_u64 v[8:9], v[4:5], 4, s[28:29]
	global_load_b128 v[8:11], v[8:9], off
	s_wait_loadcnt 0x0
	v_mul_f64_e32 v[12:13], s[18:19], v[10:11]
	v_mul_f64_e32 v[10:11], s[16:17], v[10:11]
	s_delay_alu instid0(VALU_DEP_2) | instskip(NEXT) | instid1(VALU_DEP_2)
	v_fma_f64 v[12:13], s[16:17], v[8:9], -v[12:13]
	v_fmac_f64_e32 v[10:11], s[18:19], v[8:9]
	s_delay_alu instid0(VALU_DEP_2) | instskip(NEXT) | instid1(VALU_DEP_2)
	v_add_f64_e32 v[0:1], v[0:1], v[12:13]
	v_add_f64_e32 v[2:3], v[2:3], v[10:11]
.LBB19_22:                              ;   in Loop: Header=BB19_4 Depth=1
	s_or_b32 s33, s33, exec_lo
.LBB19_23:                              ;   in Loop: Header=BB19_4 Depth=1
	s_wait_xcnt 0x0
	s_or_b32 exec_lo, exec_lo, s34
.LBB19_24:                              ;   in Loop: Header=BB19_4 Depth=1
	s_and_saveexec_b32 s16, s33
	s_cbranch_execz .LBB19_2
; %bb.25:                               ;   in Loop: Header=BB19_4 Depth=1
	v_lshl_add_u64 v[8:9], v[4:5], 4, s[28:29]
	global_store_b128 v[8:9], v[0:3], off
	s_branch .LBB19_2
.LBB19_26:
	s_endpgm
	.section	.rodata,"a",@progbits
	.p2align	6, 0x0
	.amdhsa_kernel _ZL36rocblas_hemvn_kernel_upper_block_sumILi64EiPK19rocblas_complex_numIdEPS1_S1_EviT1_lS5_lT2_lT0_lPT3_i
		.amdhsa_group_segment_fixed_size 0
		.amdhsa_private_segment_fixed_size 0
		.amdhsa_kernarg_size 344
		.amdhsa_user_sgpr_count 2
		.amdhsa_user_sgpr_dispatch_ptr 0
		.amdhsa_user_sgpr_queue_ptr 0
		.amdhsa_user_sgpr_kernarg_segment_ptr 1
		.amdhsa_user_sgpr_dispatch_id 0
		.amdhsa_user_sgpr_kernarg_preload_length 0
		.amdhsa_user_sgpr_kernarg_preload_offset 0
		.amdhsa_user_sgpr_private_segment_size 0
		.amdhsa_wavefront_size32 1
		.amdhsa_uses_dynamic_stack 0
		.amdhsa_enable_private_segment 0
		.amdhsa_system_sgpr_workgroup_id_x 1
		.amdhsa_system_sgpr_workgroup_id_y 0
		.amdhsa_system_sgpr_workgroup_id_z 1
		.amdhsa_system_sgpr_workgroup_info 0
		.amdhsa_system_vgpr_workitem_id 0
		.amdhsa_next_free_vgpr 14
		.amdhsa_next_free_sgpr 38
		.amdhsa_named_barrier_count 0
		.amdhsa_reserve_vcc 1
		.amdhsa_float_round_mode_32 0
		.amdhsa_float_round_mode_16_64 0
		.amdhsa_float_denorm_mode_32 3
		.amdhsa_float_denorm_mode_16_64 3
		.amdhsa_fp16_overflow 0
		.amdhsa_memory_ordered 1
		.amdhsa_forward_progress 1
		.amdhsa_inst_pref_size 8
		.amdhsa_round_robin_scheduling 0
		.amdhsa_exception_fp_ieee_invalid_op 0
		.amdhsa_exception_fp_denorm_src 0
		.amdhsa_exception_fp_ieee_div_zero 0
		.amdhsa_exception_fp_ieee_overflow 0
		.amdhsa_exception_fp_ieee_underflow 0
		.amdhsa_exception_fp_ieee_inexact 0
		.amdhsa_exception_int_div_zero 0
	.end_amdhsa_kernel
	.section	.text._ZL36rocblas_hemvn_kernel_upper_block_sumILi64EiPK19rocblas_complex_numIdEPS1_S1_EviT1_lS5_lT2_lT0_lPT3_i,"axG",@progbits,_ZL36rocblas_hemvn_kernel_upper_block_sumILi64EiPK19rocblas_complex_numIdEPS1_S1_EviT1_lS5_lT2_lT0_lPT3_i,comdat
.Lfunc_end19:
	.size	_ZL36rocblas_hemvn_kernel_upper_block_sumILi64EiPK19rocblas_complex_numIdEPS1_S1_EviT1_lS5_lT2_lT0_lPT3_i, .Lfunc_end19-_ZL36rocblas_hemvn_kernel_upper_block_sumILi64EiPK19rocblas_complex_numIdEPS1_S1_EviT1_lS5_lT2_lT0_lPT3_i
                                        ; -- End function
	.set _ZL36rocblas_hemvn_kernel_upper_block_sumILi64EiPK19rocblas_complex_numIdEPS1_S1_EviT1_lS5_lT2_lT0_lPT3_i.num_vgpr, 14
	.set _ZL36rocblas_hemvn_kernel_upper_block_sumILi64EiPK19rocblas_complex_numIdEPS1_S1_EviT1_lS5_lT2_lT0_lPT3_i.num_agpr, 0
	.set _ZL36rocblas_hemvn_kernel_upper_block_sumILi64EiPK19rocblas_complex_numIdEPS1_S1_EviT1_lS5_lT2_lT0_lPT3_i.numbered_sgpr, 38
	.set _ZL36rocblas_hemvn_kernel_upper_block_sumILi64EiPK19rocblas_complex_numIdEPS1_S1_EviT1_lS5_lT2_lT0_lPT3_i.num_named_barrier, 0
	.set _ZL36rocblas_hemvn_kernel_upper_block_sumILi64EiPK19rocblas_complex_numIdEPS1_S1_EviT1_lS5_lT2_lT0_lPT3_i.private_seg_size, 0
	.set _ZL36rocblas_hemvn_kernel_upper_block_sumILi64EiPK19rocblas_complex_numIdEPS1_S1_EviT1_lS5_lT2_lT0_lPT3_i.uses_vcc, 1
	.set _ZL36rocblas_hemvn_kernel_upper_block_sumILi64EiPK19rocblas_complex_numIdEPS1_S1_EviT1_lS5_lT2_lT0_lPT3_i.uses_flat_scratch, 0
	.set _ZL36rocblas_hemvn_kernel_upper_block_sumILi64EiPK19rocblas_complex_numIdEPS1_S1_EviT1_lS5_lT2_lT0_lPT3_i.has_dyn_sized_stack, 0
	.set _ZL36rocblas_hemvn_kernel_upper_block_sumILi64EiPK19rocblas_complex_numIdEPS1_S1_EviT1_lS5_lT2_lT0_lPT3_i.has_recursion, 0
	.set _ZL36rocblas_hemvn_kernel_upper_block_sumILi64EiPK19rocblas_complex_numIdEPS1_S1_EviT1_lS5_lT2_lT0_lPT3_i.has_indirect_call, 0
	.section	.AMDGPU.csdata,"",@progbits
; Kernel info:
; codeLenInByte = 908
; TotalNumSgprs: 40
; NumVgprs: 14
; ScratchSize: 0
; MemoryBound: 0
; FloatMode: 240
; IeeeMode: 1
; LDSByteSize: 0 bytes/workgroup (compile time only)
; SGPRBlocks: 0
; VGPRBlocks: 0
; NumSGPRsForWavesPerEU: 40
; NumVGPRsForWavesPerEU: 14
; NamedBarCnt: 0
; Occupancy: 16
; WaveLimiterHint : 0
; COMPUTE_PGM_RSRC2:SCRATCH_EN: 0
; COMPUTE_PGM_RSRC2:USER_SGPR: 2
; COMPUTE_PGM_RSRC2:TRAP_HANDLER: 0
; COMPUTE_PGM_RSRC2:TGID_X_EN: 1
; COMPUTE_PGM_RSRC2:TGID_Y_EN: 0
; COMPUTE_PGM_RSRC2:TGID_Z_EN: 1
; COMPUTE_PGM_RSRC2:TIDIG_COMP_CNT: 0
	.section	.text._ZL26rocblas_hemvn_kernel_upperILb1ELi64ELi4ELi33ELi32ELi16El19rocblas_complex_numIdEPKS1_PS1_EviT6_lT7_lT5_lS6_lS7_lS5_lT8_i,"axG",@progbits,_ZL26rocblas_hemvn_kernel_upperILb1ELi64ELi4ELi33ELi32ELi16El19rocblas_complex_numIdEPKS1_PS1_EviT6_lT7_lT5_lS6_lS7_lS5_lT8_i,comdat
	.globl	_ZL26rocblas_hemvn_kernel_upperILb1ELi64ELi4ELi33ELi32ELi16El19rocblas_complex_numIdEPKS1_PS1_EviT6_lT7_lT5_lS6_lS7_lS5_lT8_i ; -- Begin function _ZL26rocblas_hemvn_kernel_upperILb1ELi64ELi4ELi33ELi32ELi16El19rocblas_complex_numIdEPKS1_PS1_EviT6_lT7_lT5_lS6_lS7_lS5_lT8_i
	.p2align	8
	.type	_ZL26rocblas_hemvn_kernel_upperILb1ELi64ELi4ELi33ELi32ELi16El19rocblas_complex_numIdEPKS1_PS1_EviT6_lT7_lT5_lS6_lS7_lS5_lT8_i,@function
_ZL26rocblas_hemvn_kernel_upperILb1ELi64ELi4ELi33ELi32ELi16El19rocblas_complex_numIdEPKS1_PS1_EviT6_lT7_lT5_lS6_lS7_lS5_lT8_i: ; @_ZL26rocblas_hemvn_kernel_upperILb1ELi64ELi4ELi33ELi32ELi16El19rocblas_complex_numIdEPKS1_PS1_EviT6_lT7_lT5_lS6_lS7_lS5_lT8_i
; %bb.0:
	s_clause 0x1
	s_load_b64 s[2:3], s[0:1], 0x94
	s_load_b32 s33, s[0:1], 0x80
	s_bfe_u32 s4, ttmp6, 0x40014
	s_lshr_b32 s5, ttmp7, 16
	s_add_co_i32 s4, s4, 1
	s_bfe_u32 s6, ttmp6, 0x40008
	s_mul_i32 s4, s5, s4
	s_getreg_b32 s14, hwreg(HW_REG_IB_STS2, 6, 4)
	s_add_co_i32 s6, s6, s4
	s_mov_b32 s23, 0
	s_wait_kmcnt 0x0
	s_lshr_b32 s4, s2, 16
	s_and_b32 s2, s2, 0xffff
	s_and_b32 s3, s3, 0xffff
	s_mul_i32 s2, s4, s2
	s_cmp_eq_u32 s14, 0
	s_mul_i32 s2, s2, s3
	s_cselect_b32 s22, s5, s6
	s_cmp_lg_u32 s2, 0x100
	s_cselect_b32 s2, -1, 0
	s_cmp_ge_u32 s22, s33
	s_cselect_b32 s3, -1, 0
	s_delay_alu instid0(SALU_CYCLE_1) | instskip(NEXT) | instid1(SALU_CYCLE_1)
	s_or_b32 s2, s2, s3
	s_and_b32 vcc_lo, exec_lo, s2
	s_cbranch_vccnz .LBB20_187
; %bb.1:
	s_clause 0x1
	s_load_b128 s[8:11], s[0:1], 0x8
	s_load_b32 s2, s[0:1], 0x0
	s_bfe_u32 s15, ttmp6, 0x4000c
	s_load_b512 s[36:51], s[0:1], 0x20
	s_add_co_i32 s15, s15, 1
	v_bfe_u32 v1, v0, 10, 10
	s_add_nc_u64 s[16:17], s[0:1], 0x88
	s_and_b32 s3, ttmp6, 15
	s_clause 0x1
	s_load_b64 s[12:13], s[0:1], 0x78
	s_load_b128 s[4:7], s[0:1], 0x60
	s_wait_xcnt 0x0
	s_mul_i32 s1, ttmp9, s15
	s_set_vgpr_msb 64                       ;  msbs: dst=1 src0=0 src1=0 src2=0
	v_and_b32_e32 v6 /*v262*/, 0x3ff, v0
	s_add_co_i32 s1, s3, s1
	s_set_vgpr_msb 0                        ;  msbs: dst=0 src0=0 src1=0 src2=0
	v_dual_mov_b32 v2, 0 :: v_dual_bitop2_b32 v4, 31, v0 bitop3:0x40
	v_lshlrev_b32_e32 v6, 6, v1
	s_set_vgpr_msb 4                        ;  msbs: dst=0 src0=0 src1=1 src2=0
	v_lshlrev_b32_e32 v186, 4, v6 /*v262*/
	s_load_b32 s24, s[16:17], 0x0
	s_mov_b32 s25, s23
	v_mov_b32_e32 v7, v2
	v_add_nc_u32_e32 v3, v6, v6 /*v262*/
	s_wait_kmcnt 0x0
	v_cmp_neq_f64_e64 s8, s[8:9], 0
	s_ashr_i32 s3, s2, 31
	s_cmp_eq_u32 s14, 0
	v_cmp_neq_f64_e64 s9, s[10:11], 0
	s_cselect_b32 s26, ttmp9, s1
	s_set_vgpr_msb 0                        ;  msbs: dst=0 src0=0 src1=0 src2=0
	v_add_nc_u64_e32 v[8:9], 0x200, v[6:7]
	s_lshl_b32 s60, s26, 6
	v_add_nc_u64_e32 v[10:11], 0x530, v[6:7]
	s_set_vgpr_msb 4                        ;  msbs: dst=0 src0=0 src1=1 src2=0
	v_dual_mov_b32 v5, v2 :: v_dual_add_nc_u32 v188, s60, v6 /*v262*/
	s_set_vgpr_msb 0                        ;  msbs: dst=0 src0=0 src1=0 src2=0
	v_lshrrev_b32_e32 v44, 5, v3
	v_add_nc_u64_e32 v[12:13], 0x220, v[6:7]
	s_lshr_b32 s1, s3, 26
	v_ashrrev_i32_e32 v189, 31, v188
	v_mul_u64_e32 v[8:9], s[40:41], v[8:9]
	v_mad_nc_u64_u32 v[16:17], s40, v44, v[4:5]
	v_mul_u64_e32 v[10:11], s[40:41], v[10:11]
	s_add_co_i32 s1, s2, s1
	v_mul_u64_e32 v[20:21], s[48:49], v[188:189]
	s_and_not1_b32 s1, s1, 63
	s_add_co_i32 s10, s24, -1
	v_cmp_neq_f64_e64 s54, s[4:5], 1.0
	v_cmp_neq_f64_e64 s58, s[6:7], 0
	s_lshl_b64 s[4:5], s[46:47], 4
	s_lshl_b64 s[6:7], s[38:39], 4
	s_sub_co_i32 s64, s2, s1
	v_mad_u32 v17, s41, v44, v17
	v_mul_u64_e32 v[12:13], s[40:41], v[12:13]
	s_add_nc_u64 s[4:5], s[44:45], s[4:5]
	v_add_nc_u64_e32 v[18:19], 0x210, v[6:7]
	v_add_nc_u64_e32 v[28:29], 0x300, v[6:7]
	;; [unrolled: 1-line block ×6, first 2 shown]
	s_or_b32 s55, s8, s9
	s_cmp_eq_u32 s26, s10
	v_lshlrev_b64_e32 v[16:17], 4, v[16:17]
	s_cselect_b32 s28, s64, 0
	s_add_nc_u64 s[6:7], s[36:37], s[6:7]
	s_cmp_lg_u32 s28, 0
	v_add_nc_u64_e32 v[14:15], 0x520, v[6:7]
	s_cselect_b32 s65, -1, 0
	s_cmp_eq_u32 s28, 0
	v_add_nc_u64_e32 v[22:23], 0x510, v[6:7]
	s_cselect_b32 s1, -1, 0
	s_ashr_i32 s61, s60, 31
	v_add_nc_u64_e32 v[26:27], 0x500, v[6:7]
	s_lshl_b64 s[8:9], s[60:61], 4
	v_add_nc_u64_e32 v[30:31], 0x430, v[6:7]
	v_lshl_add_u64 v[190:191], v[20:21], 4, s[4:5]
	v_add_nc_u64_e32 v[20:21], 0x230, v[6:7]
	s_add_nc_u64 s[6:7], s[6:7], s[8:9]
	v_add_nc_u64_e32 v[34:35], 0x420, v[6:7]
	v_add_nc_u64_e32 v[38:39], 0x410, v[6:7]
	;; [unrolled: 1-line block ×3, first 2 shown]
	v_mul_u64_e32 v[18:19], s[40:41], v[18:19]
	v_mul_u64_e32 v[28:29], s[40:41], v[28:29]
	;; [unrolled: 1-line block ×7, first 2 shown]
	s_ashr_i32 s27, s26, 31
	v_mul_u64_e32 v[14:15], s[40:41], v[14:15]
	s_mul_u64 s[4:5], s[2:3], s[26:27]
	v_mul_u64_e32 v[22:23], s[40:41], v[22:23]
	v_mul_u64_e32 v[26:27], s[40:41], v[26:27]
	;; [unrolled: 1-line block ×5, first 2 shown]
	s_mul_u64 s[30:31], s[24:25], s[2:3]
	s_lshl_b64 s[2:3], s[4:5], 4
	s_mul_u64 s[4:5], s[40:41], s[60:61]
	v_sub_nc_u64_e32 v[194:195], v[8:9], v[16:17]
	v_lshl_add_u64 v[192:193], s[4:5], 4, v[24:25]
	v_dual_add_nc_u32 v24, 8, v44 :: v_dual_lshlrev_b32 v25, 2, v44
	v_sub_nc_u64_e32 v[196:197], v[10:11], v[16:17]
	v_dual_add_nc_u32 v9, 16, v44 :: v_dual_add_nc_u32 v10, 24, v44
	s_sub_co_i32 s20, s28, 32
	s_delay_alu instid0(VALU_DEP_3) | instskip(SKIP_1) | instid1(VALU_DEP_3)
	v_or_b32_e32 v8, 3, v25
	v_sub_nc_u64_e32 v[198:199], v[12:13], v[16:17]
	v_cmp_le_i32_e64 s8, s28, v9
	v_or_b32_e32 v12, 1, v25
	v_cmp_le_i32_e64 s9, s28, v10
	v_cmp_le_u32_e64 s6, v8, v4
	v_cmp_eq_u32_e64 s7, v8, v4
	v_or_b32_e32 v8, 32, v4
	v_cmp_le_i32_e64 s16, s20, v9
	v_lshrrev_b32_e32 v9, 4, v3
	v_cmp_le_i32_e64 s17, s20, v10
	v_and_b32_e32 v10, 48, v0
	v_dual_lshlrev_b32 v7, 4, v4 :: v_dual_bitop2_b32 v45, 2, v25 bitop3:0x54
	v_cmp_gt_u32_e64 s15, 32, v3
	s_set_vgpr_msb 64                       ;  msbs: dst=1 src0=0 src1=0 src2=0
	v_add_nc_u32_e32 v8 /*v264*/, 0x4300, v6
	s_set_vgpr_msb 0                        ;  msbs: dst=0 src0=0 src1=0 src2=0
	v_dual_lshlrev_b32 v6, 6, v9 :: v_dual_bitop2_b32 v0, 15, v0 bitop3:0x40
	v_cmp_gt_u32_e64 s18, 64, v3
	v_lshlrev_b32_e32 v3, 4, v10
	v_or_b32_e32 v10, 0xf0, v186
	v_cmp_gt_i32_e64 s10, s28, v8
	v_lshl_or_b32 v8, v4, 9, v7
	s_set_vgpr_msb 64                       ;  msbs: dst=1 src0=0 src1=0 src2=0
	v_mad_u32_u24 v9 /*v265*/, 0x430, v0, v6
	v_mad_u32_u24 v10 /*v266*/, 0x430, v0, v3
	;; [unrolled: 1-line block ×3, first 2 shown]
	s_set_vgpr_msb 0                        ;  msbs: dst=0 src0=0 src1=0 src2=0
	v_dual_mov_b32 v187, v2 :: v_dual_lshlrev_b32 v0, 6, v44
	v_mul_u32_u24_e32 v3, 33, v4
	s_set_vgpr_msb 4                        ;  msbs: dst=0 src0=0 src1=1 src2=0
	v_cmp_gt_i32_e32 vcc_lo, s28, v6 /*v262*/
	s_set_vgpr_msb 0                        ;  msbs: dst=0 src0=0 src1=0 src2=0
	v_sub_nc_u64_e32 v[202:203], v[18:19], v[16:17]
	v_sub_nc_u64_e32 v[206:207], v[20:21], v[16:17]
	v_sub_nc_u64_e32 v[210:211], v[28:29], v[16:17]
	v_sub_nc_u64_e32 v[214:215], v[32:33], v[16:17]
	v_sub_nc_u64_e32 v[218:219], v[36:37], v[16:17]
	v_sub_nc_u64_e32 v[222:223], v[40:41], v[16:17]
	v_sub_nc_u64_e32 v[224:225], v[42:43], v[16:17]
	s_set_vgpr_msb 64                       ;  msbs: dst=1 src0=0 src1=0 src2=0
	v_dual_add_nc_u32 v15 /*v271*/, v8, v0 :: v_dual_lshlrev_b32 v17 /*v273*/, 4, v3
	v_add_nc_u32_e32 v16 /*v272*/, 0x4700, v0
	s_set_vgpr_msb 0                        ;  msbs: dst=0 src0=0 src1=0 src2=0
	v_dual_lshlrev_b32 v0, 4, v44 :: v_dual_bitop2_b32 v194, 8, v194 bitop3:0x54
	s_set_vgpr_msb 64                       ;  msbs: dst=1 src0=0 src1=0 src2=0
	v_mad_u32_u24 v7 /*v263*/, 0x210, v44, v7
	s_set_vgpr_msb 0                        ;  msbs: dst=0 src0=0 src1=0 src2=0
	v_mul_u32_u24_e32 v11, 0x840, v44
	v_cmp_eq_u32_e64 s19, v12, v4
	v_mul_u32_u24_e32 v12, 0x210, v12
	v_mul_i32_i24_e32 v3, 0xffffffd0, v9
	s_set_vgpr_msb 0x41                     ;  msbs: dst=1 src0=1 src1=0 src2=0
	v_dual_lshlrev_b32 v19 /*v275*/, 2, v1 :: v_dual_add_nc_u32 v23 /*v279*/, v17 /*v273*/, v0
	s_or_b32 s56, s1, vcc_lo
	s_add_co_i32 s25, s26, 1
	v_cmp_eq_u32_e64 s0, 0, v1
	s_xor_b32 s66, s56, -1
	s_ashr_i32 s29, s28, 31
	s_set_vgpr_msb 0                        ;  msbs: dst=0 src0=0 src1=0 src2=0
	v_sub_nc_u64_e32 v[200:201], v[14:15], v[16:17]
	v_sub_nc_u64_e32 v[204:205], v[22:23], v[16:17]
	;; [unrolled: 1-line block ×6, first 2 shown]
	s_lshl_b64 s[36:37], s[40:41], 7
	s_lshl_b64 s[38:39], s[40:41], 8
	;; [unrolled: 1-line block ×3, first 2 shown]
	s_set_vgpr_msb 64                       ;  msbs: dst=1 src0=0 src1=0 src2=0
	v_mad_u32_u24 v20 /*v276*/, 0x10c0, v1, v186
	v_mad_u32_u24 v21 /*v277*/, 0x430, v1, v186
	v_add_nc_u32_e32 v24 /*v280*/, 0x4700, v0
	s_set_vgpr_msb 0                        ;  msbs: dst=0 src0=0 src1=0 src2=0
	v_sub_nc_u64_e32 v[0:1], 0, v[4:5]
	s_cmp_lt_u32 s25, s24
	s_add_nc_u64 s[34:35], s[12:13], s[2:3]
	v_cmp_gt_i32_e64 s1, s28, v4
	v_cmp_le_i32_e64 s2, s28, v44
	v_cmp_le_i32_e64 s3, s28, v24
	v_cmp_le_u32_e64 s4, v45, v4
	v_cmp_eq_u32_e64 s5, v45, v4
	v_cmp_le_u32_e64 s11, v25, v4
	v_cmp_eq_u32_e64 s12, v25, v4
	v_cmp_le_i32_e64 s13, s20, v24
	v_cmp_ge_u32_e64 s14, v25, v4
	s_set_vgpr_msb 64                       ;  msbs: dst=1 src0=0 src1=0 src2=0
	v_dual_add_nc_u32 v12 /*v268*/, v7, v11 :: v_dual_add_nc_u32 v13 /*v269*/, v7, v12
	v_mad_u32_u24 v14 /*v270*/, 0x210, v4, v7
	v_cmp_le_i32_e64 s20, s20, v44
	v_cmp_eq_u32_e64 s21, 1, v44
	v_mul_i32_i24_e32 v18 /*v274*/, 0xffffffd0, v44
	v_cndmask_b32_e64 v22 /*v278*/, 0, 1, s55
	s_set_vgpr_msb 0                        ;  msbs: dst=0 src0=0 src1=0 src2=0
	v_dual_lshlrev_b32 v226, 4, v4 :: v_dual_bitop2_b32 v202, 8, v202 bitop3:0x54
	v_or_b32_e32 v206, 8, v206
	v_or_b32_e32 v210, 8, v210
	;; [unrolled: 1-line block ×6, first 2 shown]
	s_set_vgpr_msb 0x41                     ;  msbs: dst=1 src0=1 src1=0 src2=0
	v_add_nc_u32_e32 v25 /*v281*/, v9 /*v265*/, v3
	v_add_nc_u32_e32 v26 /*v282*/, 0x4700, v186
	s_set_vgpr_msb 0x44                     ;  msbs: dst=1 src0=0 src1=1 src2=0
	v_add_nc_u32_e32 v27 /*v283*/, 0x1080, v7 /*v263*/
	v_add_nc_u32_e32 v28 /*v284*/, 0x2100, v7 /*v263*/
	;; [unrolled: 1-line block ×3, first 2 shown]
	v_dual_add_nc_u32 v30 /*v286*/, 16, v15 /*v271*/ :: v_dual_add_nc_u32 v31 /*v287*/, 32, v15 /*v271*/
	v_add_nc_u32_e32 v32 /*v288*/, 48, v15 /*v271*/
	s_set_vgpr_msb 64                       ;  msbs: dst=1 src0=0 src1=0 src2=0
	v_add_nc_u32_e32 v33 /*v289*/, 0x4300, v186
	s_set_vgpr_msb 0x44                     ;  msbs: dst=1 src0=0 src1=1 src2=0
	v_dual_add_nc_u32 v37 /*v293*/, 16, v19 /*v275*/ :: v_dual_bitop2_b32 v34 /*v290*/, 1, v19 /*v275*/ bitop3:0x54
	v_dual_add_nc_u32 v38 /*v294*/, 17, v19 /*v275*/ :: v_dual_bitop2_b32 v35 /*v291*/, 2, v19 /*v275*/ bitop3:0x54
	;; [unrolled: 1-line block ×3, first 2 shown]
	v_dual_add_nc_u32 v40 /*v296*/, 19, v19 /*v275*/ :: v_dual_add_nc_u32 v41 /*v297*/, 32, v19 /*v275*/
	v_dual_add_nc_u32 v42 /*v298*/, 33, v19 /*v275*/ :: v_dual_add_nc_u32 v43 /*v299*/, 34, v19 /*v275*/
	;; [unrolled: 1-line block ×4, first 2 shown]
	v_add_nc_u32_e32 v48 /*v304*/, 51, v19 /*v275*/
	s_mul_u64 s[52:53], s[48:49], s[60:61]
	s_cselect_b32 s25, -1, 0
	s_or_b32 s59, s55, s54
	s_mul_u64 s[44:45], s[40:41], 0x180
	s_sub_nc_u64 s[52:53], 0, s[52:53]
	s_add_co_i32 s27, s24, -2
	s_and_b32 s67, s0, s56
	s_mov_b64 s[54:55], 0xfffffffffffffe00
	s_mov_b64 s[56:57], 0xfffffffffffffdf0
	s_or_b32 s68, s59, s58
	s_sub_nc_u64 s[58:59], 0, s[28:29]
	s_add_co_i32 s69, s60, 64
	s_lshl_b64 s[40:41], s[40:41], 10
	s_set_vgpr_msb 0                        ;  msbs: dst=0 src0=0 src1=0 src2=0
	s_branch .LBB20_4
.LBB20_2:                               ;   in Loop: Header=BB20_4 Depth=1
	s_wait_xcnt 0x0
	s_or_b32 exec_lo, exec_lo, s62
.LBB20_3:                               ;   in Loop: Header=BB20_4 Depth=1
	s_add_co_i32 s22, s22, 0x10000
	s_delay_alu instid0(SALU_CYCLE_1)
	s_cmp_lt_u32 s22, s33
	s_cbranch_scc0 .LBB20_187
.LBB20_4:                               ; =>This Loop Header: Depth=1
                                        ;     Child Loop BB20_111 Depth 2
	s_and_not1_b32 vcc_lo, exec_lo, s68
	s_cbranch_vccnz .LBB20_3
; %bb.5:                                ;   in Loop: Header=BB20_4 Depth=1
	s_set_vgpr_msb 4                        ;  msbs: dst=0 src0=0 src1=1 src2=0
	v_cmp_ne_u32_e32 vcc_lo, 1, v22 /*v278*/
	s_set_vgpr_msb 0                        ;  msbs: dst=0 src0=0 src1=0 src2=0
	s_cbranch_vccnz .LBB20_3
; %bb.6:                                ;   in Loop: Header=BB20_4 Depth=1
	s_mul_u64 s[60:61], s[50:51], s[22:23]
	s_delay_alu instid0(SALU_CYCLE_1)
	v_lshl_add_u64 v[42:43], s[60:61], 4, v[190:191]
	s_and_saveexec_b32 s60, s0
	s_cbranch_execz .LBB20_11
; %bb.7:                                ;   in Loop: Header=BB20_4 Depth=1
	s_and_saveexec_b32 s61, s66
	s_delay_alu instid0(SALU_CYCLE_1)
	s_xor_b32 s61, exec_lo, s61
; %bb.8:                                ;   in Loop: Header=BB20_4 Depth=1
	v_dual_mov_b32 v3, v2 :: v_dual_mov_b32 v4, v2
	v_mov_b32_e32 v5, v2
	s_set_vgpr_msb 1                        ;  msbs: dst=0 src0=1 src1=0 src2=0
	ds_store_b128 v26 /*v282*/, v[2:5]
; %bb.9:                                ;   in Loop: Header=BB20_4 Depth=1
	s_and_not1_saveexec_b32 s61, s61
	s_set_vgpr_msb 0                        ;  msbs: dst=0 src0=0 src1=0 src2=0
	s_cbranch_execz .LBB20_11
; %bb.10:                               ;   in Loop: Header=BB20_4 Depth=1
	global_load_b128 v[4:7], v[42:43], off
	s_wait_loadcnt 0x0
	s_set_vgpr_msb 1                        ;  msbs: dst=0 src0=1 src1=0 src2=0
	ds_store_2addr_b64 v26 /*v282*/, v[4:5], v[6:7] offset1:1
.LBB20_11:                              ;   in Loop: Header=BB20_4 Depth=1
	s_wait_xcnt 0x0
	s_or_b32 exec_lo, exec_lo, s60
	s_mul_u64 s[60:61], s[42:43], s[22:23]
	s_and_b32 vcc_lo, exec_lo, s65
	s_set_vgpr_msb 0                        ;  msbs: dst=0 src0=0 src1=0 src2=0
	v_lshl_add_u64 v[6:7], s[60:61], 4, v[192:193]
	s_mov_b32 s60, -1
                                        ; implicit-def: $vgpr10_vgpr11
	s_cbranch_vccz .LBB20_23
; %bb.12:                               ;   in Loop: Header=BB20_4 Depth=1
	s_and_saveexec_b32 s60, s2
	s_delay_alu instid0(SALU_CYCLE_1)
	s_xor_b32 s60, exec_lo, s60
; %bb.13:                               ;   in Loop: Header=BB20_4 Depth=1
	v_dual_mov_b32 v3, v2 :: v_dual_mov_b32 v4, v2
	v_mov_b32_e32 v5, v2
	s_set_vgpr_msb 1                        ;  msbs: dst=0 src0=1 src1=0 src2=0
	ds_store_b128 v7 /*v263*/, v[2:5]
; %bb.14:                               ;   in Loop: Header=BB20_4 Depth=1
	s_or_saveexec_b32 s60, s60
	s_set_vgpr_msb 0                        ;  msbs: dst=0 src0=0 src1=0 src2=0
	v_lshl_add_u64 v[4:5], v[0:1], 4, v[6:7]
	s_delay_alu instid0(VALU_DEP_1) | instskip(NEXT) | instid1(VALU_DEP_1)
	v_lshl_add_u64 v[4:5], s[28:29], 4, v[4:5]
	v_add_nc_u64_e32 v[4:5], -16, v[4:5]
	s_delay_alu instid0(VALU_DEP_1)
	v_dual_cndmask_b32 v9, v5, v7, s1 :: v_dual_cndmask_b32 v8, v4, v6, s1
	s_xor_b32 exec_lo, exec_lo, s60
	s_cbranch_execnz .LBB20_169
; %bb.15:                               ;   in Loop: Header=BB20_4 Depth=1
	s_or_b32 exec_lo, exec_lo, s60
	s_and_saveexec_b32 s60, s3
	s_delay_alu instid0(SALU_CYCLE_1)
	s_xor_b32 s60, exec_lo, s60
	s_cbranch_execnz .LBB20_170
.LBB20_16:                              ;   in Loop: Header=BB20_4 Depth=1
	s_and_not1_saveexec_b32 s60, s60
	s_cbranch_execnz .LBB20_171
.LBB20_17:                              ;   in Loop: Header=BB20_4 Depth=1
	s_or_b32 exec_lo, exec_lo, s60
	s_and_saveexec_b32 s60, s8
	s_delay_alu instid0(SALU_CYCLE_1)
	s_xor_b32 s60, exec_lo, s60
	s_cbranch_execnz .LBB20_172
.LBB20_18:                              ;   in Loop: Header=BB20_4 Depth=1
	s_and_not1_saveexec_b32 s60, s60
	s_cbranch_execnz .LBB20_173
.LBB20_19:                              ;   in Loop: Header=BB20_4 Depth=1
	s_or_b32 exec_lo, exec_lo, s60
	s_and_saveexec_b32 s60, s9
	s_delay_alu instid0(SALU_CYCLE_1)
	s_xor_b32 s60, exec_lo, s60
	s_cbranch_execnz .LBB20_174
.LBB20_20:                              ;   in Loop: Header=BB20_4 Depth=1
	s_and_not1_saveexec_b32 s60, s60
	s_cbranch_execz .LBB20_22
.LBB20_21:                              ;   in Loop: Header=BB20_4 Depth=1
	v_add_nc_u64_e32 v[4:5], s[44:45], v[8:9]
	global_load_b128 v[10:13], v[4:5], off
	s_wait_loadcnt 0x0
	s_set_vgpr_msb 1                        ;  msbs: dst=0 src0=1 src1=0 src2=0
	ds_store_2addr_b64 v29 /*v285*/, v[10:11], v[12:13] offset1:1
.LBB20_22:                              ;   in Loop: Header=BB20_4 Depth=1
	s_wait_xcnt 0x0
	s_or_b32 exec_lo, exec_lo, s60
	s_set_vgpr_msb 0                        ;  msbs: dst=0 src0=0 src1=0 src2=0
	v_mov_b32_e32 v227, v2
	s_mov_b32 s60, 0
	s_delay_alu instid0(VALU_DEP_1) | instskip(NEXT) | instid1(VALU_DEP_1)
	v_add_nc_u64_e32 v[4:5], v[8:9], v[226:227]
	v_lshl_add_u64 v[4:5], s[58:59], 4, v[4:5]
	s_delay_alu instid0(VALU_DEP_1) | instskip(NEXT) | instid1(VALU_DEP_1)
	v_add_nc_u64_e32 v[4:5], 16, v[4:5]
	v_dual_cndmask_b32 v11, v5, v7, s1 :: v_dual_cndmask_b32 v10, v4, v6, s1
.LBB20_23:                              ;   in Loop: Header=BB20_4 Depth=1
	s_and_b32 vcc_lo, exec_lo, s60
	s_cbranch_vccz .LBB20_25
; %bb.24:                               ;   in Loop: Header=BB20_4 Depth=1
	v_add_nc_u64_e32 v[4:5], s[36:37], v[6:7]
	s_delay_alu instid0(VALU_DEP_1) | instskip(NEXT) | instid1(VALU_DEP_1)
	v_add_nc_u64_e32 v[8:9], s[36:37], v[4:5]
	v_add_nc_u64_e32 v[10:11], s[36:37], v[8:9]
	s_clause 0x3
	global_load_b128 v[12:15], v[6:7], off
	global_load_b128 v[16:19], v[4:5], off
	;; [unrolled: 1-line block ×4, first 2 shown]
	s_wait_xcnt 0x0
	v_mov_b64_e32 v[10:11], v[6:7]
	s_wait_loadcnt 0x3
	s_set_vgpr_msb 1                        ;  msbs: dst=0 src0=1 src1=0 src2=0
	ds_store_2addr_b64 v7 /*v263*/, v[12:13], v[14:15] offset1:1
	s_wait_loadcnt 0x2
	ds_store_2addr_b64 v27 /*v283*/, v[16:17], v[18:19] offset1:1
	s_wait_loadcnt 0x1
	;; [unrolled: 2-line block ×3, first 2 shown]
	ds_store_2addr_b64 v29 /*v285*/, v[24:25], v[26:27] offset1:1
.LBB20_25:                              ;   in Loop: Header=BB20_4 Depth=1
	s_mov_b32 s60, 0
	s_wait_dscnt 0x0
	s_barrier_signal -1
	s_barrier_wait -1
	s_and_saveexec_b32 s61, s11
	s_delay_alu instid0(SALU_CYCLE_1)
	s_xor_b32 s61, exec_lo, s61
; %bb.26:                               ;   in Loop: Header=BB20_4 Depth=1
	s_and_b32 s60, s12, exec_lo
; %bb.27:                               ;   in Loop: Header=BB20_4 Depth=1
	s_or_saveexec_b32 s61, s61
	s_set_vgpr_msb 1                        ;  msbs: dst=0 src0=1 src1=0 src2=0
	v_mov_b64_e32 v[6:7], 0
	v_mov_b32_e32 v3, v14 /*v270*/
	s_xor_b32 exec_lo, exec_lo, s61
	s_set_vgpr_msb 0                        ;  msbs: dst=0 src0=0 src1=0 src2=0
	s_cbranch_execz .LBB20_29
; %bb.28:                               ;   in Loop: Header=BB20_4 Depth=1
	s_set_vgpr_msb 1                        ;  msbs: dst=0 src0=1 src1=0 src2=0
	ds_load_b128 v[4:7], v12 /*v268*/
	v_mov_b32_e32 v3, v15 /*v271*/
	s_or_b32 s60, s60, exec_lo
	s_wait_dscnt 0x0
	v_xor_b32_e32 v7, 0x80000000, v7
	ds_store_b64 v15 /*v271*/, v[4:5]
.LBB20_29:                              ;   in Loop: Header=BB20_4 Depth=1
	s_or_b32 exec_lo, exec_lo, s61
	s_and_saveexec_b32 s61, s60
; %bb.30:                               ;   in Loop: Header=BB20_4 Depth=1
	s_set_vgpr_msb 0                        ;  msbs: dst=0 src0=0 src1=0 src2=0
	ds_store_b64 v3, v[6:7] offset:8
; %bb.31:                               ;   in Loop: Header=BB20_4 Depth=1
	s_or_b32 exec_lo, exec_lo, s61
	s_mov_b32 s60, 0
                                        ; implicit-def: $vgpr6_vgpr7
	s_and_saveexec_b32 s61, s14
	s_delay_alu instid0(SALU_CYCLE_1)
	s_xor_b32 s61, exec_lo, s61
	s_cbranch_execnz .LBB20_165
; %bb.32:                               ;   in Loop: Header=BB20_4 Depth=1
	s_or_saveexec_b32 s61, s61
	s_set_vgpr_msb 1                        ;  msbs: dst=0 src0=1 src1=0 src2=0
	v_mov_b32_e32 v3, v30 /*v286*/
	s_xor_b32 exec_lo, exec_lo, s61
	s_set_vgpr_msb 0                        ;  msbs: dst=0 src0=0 src1=0 src2=0
	s_cbranch_execnz .LBB20_166
.LBB20_33:                              ;   in Loop: Header=BB20_4 Depth=1
	s_or_b32 exec_lo, exec_lo, s61
	s_and_saveexec_b32 s61, s60
.LBB20_34:                              ;   in Loop: Header=BB20_4 Depth=1
	ds_store_b64 v3, v[6:7] offset:8
.LBB20_35:                              ;   in Loop: Header=BB20_4 Depth=1
	s_or_b32 exec_lo, exec_lo, s61
	s_mov_b32 s60, 0
	s_and_saveexec_b32 s61, s4
	s_delay_alu instid0(SALU_CYCLE_1)
	s_xor_b32 s61, exec_lo, s61
; %bb.36:                               ;   in Loop: Header=BB20_4 Depth=1
	s_and_b32 s60, s5, exec_lo
; %bb.37:                               ;   in Loop: Header=BB20_4 Depth=1
	s_or_saveexec_b32 s61, s61
	v_mov_b64_e32 v[6:7], 0
	s_set_vgpr_msb 1                        ;  msbs: dst=0 src0=1 src1=0 src2=0
	v_mov_b32_e32 v3, v14 /*v270*/
	s_xor_b32 exec_lo, exec_lo, s61
	s_set_vgpr_msb 0                        ;  msbs: dst=0 src0=0 src1=0 src2=0
	s_cbranch_execz .LBB20_39
; %bb.38:                               ;   in Loop: Header=BB20_4 Depth=1
	s_set_vgpr_msb 1                        ;  msbs: dst=0 src0=1 src1=0 src2=0
	ds_load_b128 v[4:7], v13 /*v269*/ offset:528
	v_mov_b32_e32 v3, v31 /*v287*/
	s_or_b32 s60, s60, exec_lo
	s_wait_dscnt 0x0
	v_xor_b32_e32 v7, 0x80000000, v7
	ds_store_b64 v31 /*v287*/, v[4:5]
.LBB20_39:                              ;   in Loop: Header=BB20_4 Depth=1
	s_or_b32 exec_lo, exec_lo, s61
	s_and_saveexec_b32 s61, s60
; %bb.40:                               ;   in Loop: Header=BB20_4 Depth=1
	s_set_vgpr_msb 0                        ;  msbs: dst=0 src0=0 src1=0 src2=0
	ds_store_b64 v3, v[6:7] offset:8
; %bb.41:                               ;   in Loop: Header=BB20_4 Depth=1
	s_or_b32 exec_lo, exec_lo, s61
	s_mov_b32 s60, 0
	s_and_saveexec_b32 s61, s6
	s_delay_alu instid0(SALU_CYCLE_1)
	s_xor_b32 s61, exec_lo, s61
; %bb.42:                               ;   in Loop: Header=BB20_4 Depth=1
	s_and_b32 s60, s7, exec_lo
; %bb.43:                               ;   in Loop: Header=BB20_4 Depth=1
	s_or_saveexec_b32 s61, s61
	v_mov_b64_e32 v[6:7], 0
	s_set_vgpr_msb 1                        ;  msbs: dst=0 src0=1 src1=0 src2=0
	v_mov_b32_e32 v3, v14 /*v270*/
	s_xor_b32 exec_lo, exec_lo, s61
	s_set_vgpr_msb 0                        ;  msbs: dst=0 src0=0 src1=0 src2=0
	s_cbranch_execz .LBB20_45
; %bb.44:                               ;   in Loop: Header=BB20_4 Depth=1
	s_set_vgpr_msb 1                        ;  msbs: dst=0 src0=1 src1=0 src2=0
	ds_load_b128 v[4:7], v13 /*v269*/ offset:1056
	v_mov_b32_e32 v3, v32 /*v288*/
	s_or_b32 s60, s60, exec_lo
	s_wait_dscnt 0x0
	v_xor_b32_e32 v7, 0x80000000, v7
	ds_store_b64 v32 /*v288*/, v[4:5]
.LBB20_45:                              ;   in Loop: Header=BB20_4 Depth=1
	s_or_b32 exec_lo, exec_lo, s61
	s_and_saveexec_b32 s61, s60
; %bb.46:                               ;   in Loop: Header=BB20_4 Depth=1
	s_set_vgpr_msb 0                        ;  msbs: dst=0 src0=0 src1=0 src2=0
	ds_store_b64 v3, v[6:7] offset:8
; %bb.47:                               ;   in Loop: Header=BB20_4 Depth=1
	s_or_b32 exec_lo, exec_lo, s61
	s_wait_dscnt 0x0
	s_barrier_signal -1
	s_barrier_wait -1
	s_set_vgpr_msb 1                        ;  msbs: dst=0 src0=1 src1=0 src2=0
	ds_load_b128 v[4:7], v12 /*v268*/
	ds_load_b128 v[12:15], v16 /*v272*/
	ds_load_b128 v[16:19], v16 /*v272*/ offset:16
	ds_load_b128 v[20:23], v13 /*v269*/
	s_wait_dscnt 0x2
	s_set_vgpr_msb 0                        ;  msbs: dst=0 src0=0 src1=0 src2=0
	v_mul_f64_e32 v[8:9], v[14:15], v[6:7]
	v_mul_f64_e32 v[30:31], v[12:13], v[6:7]
	s_wait_dscnt 0x0
	v_mul_f64_e32 v[32:33], v[18:19], v[22:23]
	v_mul_f64_e32 v[34:35], v[16:17], v[22:23]
	s_delay_alu instid0(VALU_DEP_4) | instskip(NEXT) | instid1(VALU_DEP_4)
	v_fma_f64 v[8:9], v[12:13], v[4:5], -v[8:9]
	v_fmac_f64_e32 v[30:31], v[14:15], v[4:5]
	s_set_vgpr_msb 1                        ;  msbs: dst=0 src0=1 src1=0 src2=0
	ds_load_b128 v[4:7], v13 /*v269*/ offset:528
	ds_load_b128 v[12:15], v16 /*v272*/ offset:32
	ds_load_b128 v[22:25], v16 /*v272*/ offset:48
	ds_load_b128 v[26:29], v13 /*v269*/ offset:1056
	s_set_vgpr_msb 0                        ;  msbs: dst=0 src0=0 src1=0 src2=0
	v_fma_f64 v[16:17], v[16:17], v[20:21], -v[32:33]
	v_fmac_f64_e32 v[34:35], v[18:19], v[20:21]
	s_wait_dscnt 0x0
	s_barrier_signal -1
	s_barrier_wait -1
	v_mul_f64_e32 v[36:37], v[14:15], v[6:7]
	v_mul_f64_e32 v[6:7], v[12:13], v[6:7]
	;; [unrolled: 1-line block ×4, first 2 shown]
	v_add_f64_e32 v[8:9], 0, v[8:9]
	v_add_f64_e32 v[18:19], 0, v[30:31]
	v_fma_f64 v[12:13], v[12:13], v[4:5], -v[36:37]
	v_fmac_f64_e32 v[6:7], v[14:15], v[4:5]
	v_fma_f64 v[14:15], v[22:23], v[26:27], -v[20:21]
	v_fmac_f64_e32 v[28:29], v[24:25], v[26:27]
	v_add_f64_e32 v[4:5], v[8:9], v[16:17]
	v_add_f64_e32 v[8:9], v[18:19], v[34:35]
	s_delay_alu instid0(VALU_DEP_2) | instskip(NEXT) | instid1(VALU_DEP_2)
	v_add_f64_e32 v[4:5], v[4:5], v[12:13]
	v_add_f64_e32 v[6:7], v[8:9], v[6:7]
	v_mov_b64_e32 v[8:9], 0
	s_delay_alu instid0(VALU_DEP_3) | instskip(NEXT) | instid1(VALU_DEP_3)
	v_add_f64_e32 v[12:13], v[4:5], v[14:15]
	v_add_f64_e32 v[14:15], v[6:7], v[28:29]
	v_mov_b64_e32 v[6:7], 0
	s_set_vgpr_msb 1                        ;  msbs: dst=0 src0=1 src1=0 src2=0
	ds_store_b128 v23 /*v279*/, v[12:15]
	s_wait_dscnt 0x0
	s_barrier_signal -1
	s_barrier_wait -1
	s_and_saveexec_b32 s60, s15
	s_set_vgpr_msb 0                        ;  msbs: dst=0 src0=0 src1=0 src2=0
	s_cbranch_execz .LBB20_49
; %bb.48:                               ;   in Loop: Header=BB20_4 Depth=1
	s_set_vgpr_msb 1                        ;  msbs: dst=0 src0=1 src1=0 src2=0
	ds_load_b128 v[4:7], v17 /*v273*/
	ds_load_b128 v[12:15], v17 /*v273*/ offset:16
	s_wait_dscnt 0x0
	s_set_vgpr_msb 0                        ;  msbs: dst=0 src0=0 src1=0 src2=0
	v_add_f64_e32 v[8:9], v[12:13], v[4:5]
	v_add_f64_e32 v[16:17], v[14:15], v[6:7]
	s_set_vgpr_msb 1                        ;  msbs: dst=0 src0=1 src1=0 src2=0
	ds_load_b128 v[4:7], v17 /*v273*/ offset:32
	ds_load_b128 v[12:15], v17 /*v273*/ offset:48
	s_wait_dscnt 0x1
	s_set_vgpr_msb 0                        ;  msbs: dst=0 src0=0 src1=0 src2=0
	v_add_f64_e32 v[4:5], v[8:9], v[4:5]
	v_add_f64_e32 v[6:7], v[16:17], v[6:7]
	s_wait_dscnt 0x0
	s_delay_alu instid0(VALU_DEP_2) | instskip(NEXT) | instid1(VALU_DEP_2)
	v_add_f64_e32 v[8:9], v[4:5], v[12:13]
	v_add_f64_e32 v[16:17], v[6:7], v[14:15]
	s_set_vgpr_msb 1                        ;  msbs: dst=0 src0=1 src1=0 src2=0
	ds_load_b128 v[4:7], v17 /*v273*/ offset:64
	ds_load_b128 v[12:15], v17 /*v273*/ offset:80
	s_wait_dscnt 0x1
	s_set_vgpr_msb 0                        ;  msbs: dst=0 src0=0 src1=0 src2=0
	v_add_f64_e32 v[4:5], v[8:9], v[4:5]
	v_add_f64_e32 v[6:7], v[16:17], v[6:7]
	s_wait_dscnt 0x0
	s_delay_alu instid0(VALU_DEP_2) | instskip(NEXT) | instid1(VALU_DEP_2)
	;; [unrolled: 11-line block ×3, first 2 shown]
	v_add_f64_e32 v[6:7], v[4:5], v[12:13]
	v_add_f64_e32 v[8:9], v[8:9], v[14:15]
.LBB20_49:                              ;   in Loop: Header=BB20_4 Depth=1
	s_or_b32 exec_lo, exec_lo, s60
	v_lshl_add_u64 v[12:13], s[46:47], 4, v[10:11]
	s_and_b32 vcc_lo, exec_lo, s65
	s_mov_b32 s60, -1
	s_barrier_signal -1
	s_delay_alu instid0(VALU_DEP_1)
	v_add_nc_u64_e32 v[10:11], 0x200, v[12:13]
	s_barrier_wait -1
                                        ; implicit-def: $vgpr14_vgpr15
	s_cbranch_vccz .LBB20_61
; %bb.50:                               ;   in Loop: Header=BB20_4 Depth=1
	s_and_saveexec_b32 s60, s20
	s_delay_alu instid0(SALU_CYCLE_1)
	s_xor_b32 s60, exec_lo, s60
; %bb.51:                               ;   in Loop: Header=BB20_4 Depth=1
	v_dual_mov_b32 v3, v2 :: v_dual_mov_b32 v4, v2
	v_mov_b32_e32 v5, v2
	s_set_vgpr_msb 1                        ;  msbs: dst=0 src0=1 src1=0 src2=0
	ds_store_b128 v7 /*v263*/, v[2:5]
; %bb.52:                               ;   in Loop: Header=BB20_4 Depth=1
	s_or_saveexec_b32 s60, s60
	s_set_vgpr_msb 0                        ;  msbs: dst=0 src0=0 src1=0 src2=0
	v_lshl_add_u64 v[4:5], v[0:1], 4, v[12:13]
	s_delay_alu instid0(VALU_DEP_1) | instskip(NEXT) | instid1(VALU_DEP_1)
	v_lshl_add_u64 v[4:5], s[28:29], 4, v[4:5]
	v_add_nc_u64_e32 v[4:5], -16, v[4:5]
	s_delay_alu instid0(VALU_DEP_1)
	v_dual_cndmask_b32 v15, v5, v11, s10 :: v_dual_cndmask_b32 v14, v4, v10, s10
	s_xor_b32 exec_lo, exec_lo, s60
	s_cbranch_execnz .LBB20_175
; %bb.53:                               ;   in Loop: Header=BB20_4 Depth=1
	s_or_b32 exec_lo, exec_lo, s60
	s_and_saveexec_b32 s60, s13
	s_delay_alu instid0(SALU_CYCLE_1)
	s_xor_b32 s60, exec_lo, s60
	s_cbranch_execnz .LBB20_176
.LBB20_54:                              ;   in Loop: Header=BB20_4 Depth=1
	s_and_not1_saveexec_b32 s60, s60
	s_cbranch_execnz .LBB20_177
.LBB20_55:                              ;   in Loop: Header=BB20_4 Depth=1
	s_or_b32 exec_lo, exec_lo, s60
	s_and_saveexec_b32 s60, s16
	s_delay_alu instid0(SALU_CYCLE_1)
	s_xor_b32 s60, exec_lo, s60
	s_cbranch_execnz .LBB20_178
.LBB20_56:                              ;   in Loop: Header=BB20_4 Depth=1
	s_and_not1_saveexec_b32 s60, s60
	s_cbranch_execnz .LBB20_179
.LBB20_57:                              ;   in Loop: Header=BB20_4 Depth=1
	s_or_b32 exec_lo, exec_lo, s60
	s_and_saveexec_b32 s60, s17
	s_delay_alu instid0(SALU_CYCLE_1)
	s_xor_b32 s60, exec_lo, s60
	s_cbranch_execnz .LBB20_180
.LBB20_58:                              ;   in Loop: Header=BB20_4 Depth=1
	s_and_not1_saveexec_b32 s60, s60
	s_cbranch_execz .LBB20_60
.LBB20_59:                              ;   in Loop: Header=BB20_4 Depth=1
	v_add_nc_u64_e32 v[4:5], s[44:45], v[14:15]
	global_load_b128 v[16:19], v[4:5], off
	s_wait_loadcnt 0x0
	s_set_vgpr_msb 1                        ;  msbs: dst=0 src0=1 src1=0 src2=0
	ds_store_2addr_b64 v29 /*v285*/, v[16:17], v[18:19] offset1:1
.LBB20_60:                              ;   in Loop: Header=BB20_4 Depth=1
	s_wait_xcnt 0x0
	s_or_b32 exec_lo, exec_lo, s60
	s_set_vgpr_msb 0                        ;  msbs: dst=0 src0=0 src1=0 src2=0
	v_mov_b32_e32 v227, v2
	s_mov_b32 s60, 0
	s_delay_alu instid0(VALU_DEP_1) | instskip(NEXT) | instid1(VALU_DEP_1)
	v_add_nc_u64_e32 v[4:5], v[14:15], v[226:227]
	v_lshl_add_u64 v[4:5], s[58:59], 4, v[4:5]
	s_delay_alu instid0(VALU_DEP_1) | instskip(NEXT) | instid1(VALU_DEP_1)
	v_add_nc_u64_e32 v[4:5], 0x210, v[4:5]
	v_dual_cndmask_b32 v15, v5, v11, s10 :: v_dual_cndmask_b32 v14, v4, v10, s10
.LBB20_61:                              ;   in Loop: Header=BB20_4 Depth=1
	s_and_b32 vcc_lo, exec_lo, s60
	s_cbranch_vccz .LBB20_63
; %bb.62:                               ;   in Loop: Header=BB20_4 Depth=1
	v_add_nc_u64_e32 v[4:5], s[36:37], v[12:13]
	s_delay_alu instid0(VALU_DEP_1) | instskip(NEXT) | instid1(VALU_DEP_1)
	v_add_nc_u64_e32 v[12:13], s[36:37], v[4:5]
	v_add_nc_u64_e32 v[14:15], s[36:37], v[12:13]
	s_clause 0x3
	global_load_b128 v[16:19], v[10:11], off
	global_load_b128 v[20:23], v[4:5], off offset:512
	global_load_b128 v[24:27], v[12:13], off offset:512
	;; [unrolled: 1-line block ×3, first 2 shown]
	s_wait_xcnt 0x0
	v_mov_b64_e32 v[14:15], v[10:11]
	s_wait_loadcnt 0x3
	s_set_vgpr_msb 1                        ;  msbs: dst=0 src0=1 src1=0 src2=0
	ds_store_2addr_b64 v7 /*v263*/, v[16:17], v[18:19] offset1:1
	s_wait_loadcnt 0x2
	ds_store_2addr_b64 v27 /*v283*/, v[20:21], v[22:23] offset1:1
	s_wait_loadcnt 0x1
	ds_store_2addr_b64 v28 /*v284*/, v[24:25], v[26:27] offset1:1
	s_wait_loadcnt 0x0
	ds_store_2addr_b64 v29 /*v285*/, v[28:29], v[30:31] offset1:1
.LBB20_63:                              ;   in Loop: Header=BB20_4 Depth=1
	s_mov_b32 s60, 0
	s_wait_dscnt 0x0
	s_barrier_signal -1
	s_barrier_wait -1
	s_and_saveexec_b32 s61, s11
	s_delay_alu instid0(SALU_CYCLE_1)
	s_xor_b32 s61, exec_lo, s61
; %bb.64:                               ;   in Loop: Header=BB20_4 Depth=1
	s_and_b32 s60, s12, exec_lo
; %bb.65:                               ;   in Loop: Header=BB20_4 Depth=1
	s_or_saveexec_b32 s61, s61
	s_set_vgpr_msb 1                        ;  msbs: dst=0 src0=1 src1=0 src2=0
	v_mov_b64_e32 v[12:13], 0
	v_mov_b32_e32 v3, v14 /*v270*/
	s_xor_b32 exec_lo, exec_lo, s61
	s_set_vgpr_msb 0                        ;  msbs: dst=0 src0=0 src1=0 src2=0
	s_cbranch_execz .LBB20_67
; %bb.66:                               ;   in Loop: Header=BB20_4 Depth=1
	s_set_vgpr_msb 1                        ;  msbs: dst=0 src0=1 src1=0 src2=0
	ds_load_b128 v[10:13], v12 /*v268*/
	v_mov_b32_e32 v3, v15 /*v271*/
	s_or_b32 s60, s60, exec_lo
	s_wait_dscnt 0x0
	v_xor_b32_e32 v13, 0x80000000, v13
	ds_store_b64 v15 /*v271*/, v[10:11]
.LBB20_67:                              ;   in Loop: Header=BB20_4 Depth=1
	s_or_b32 exec_lo, exec_lo, s61
	s_and_saveexec_b32 s61, s60
; %bb.68:                               ;   in Loop: Header=BB20_4 Depth=1
	s_set_vgpr_msb 0                        ;  msbs: dst=0 src0=0 src1=0 src2=0
	ds_store_b64 v3, v[12:13] offset:8
; %bb.69:                               ;   in Loop: Header=BB20_4 Depth=1
	s_or_b32 exec_lo, exec_lo, s61
	s_mov_b32 s60, 0
                                        ; implicit-def: $vgpr12_vgpr13
	s_and_saveexec_b32 s61, s14
	s_delay_alu instid0(SALU_CYCLE_1)
	s_xor_b32 s61, exec_lo, s61
	s_cbranch_execnz .LBB20_167
; %bb.70:                               ;   in Loop: Header=BB20_4 Depth=1
	s_or_saveexec_b32 s61, s61
	s_set_vgpr_msb 1                        ;  msbs: dst=0 src0=1 src1=0 src2=0
	v_mov_b32_e32 v3, v30 /*v286*/
	s_xor_b32 exec_lo, exec_lo, s61
	s_set_vgpr_msb 0                        ;  msbs: dst=0 src0=0 src1=0 src2=0
	s_cbranch_execnz .LBB20_168
.LBB20_71:                              ;   in Loop: Header=BB20_4 Depth=1
	s_or_b32 exec_lo, exec_lo, s61
	s_and_saveexec_b32 s61, s60
.LBB20_72:                              ;   in Loop: Header=BB20_4 Depth=1
	ds_store_b64 v3, v[12:13] offset:8
.LBB20_73:                              ;   in Loop: Header=BB20_4 Depth=1
	s_or_b32 exec_lo, exec_lo, s61
	s_mov_b32 s60, 0
	s_and_saveexec_b32 s61, s4
	s_delay_alu instid0(SALU_CYCLE_1)
	s_xor_b32 s61, exec_lo, s61
; %bb.74:                               ;   in Loop: Header=BB20_4 Depth=1
	s_and_b32 s60, s5, exec_lo
; %bb.75:                               ;   in Loop: Header=BB20_4 Depth=1
	s_or_saveexec_b32 s61, s61
	v_mov_b64_e32 v[12:13], 0
	s_set_vgpr_msb 1                        ;  msbs: dst=0 src0=1 src1=0 src2=0
	v_mov_b32_e32 v3, v14 /*v270*/
	s_xor_b32 exec_lo, exec_lo, s61
	s_set_vgpr_msb 0                        ;  msbs: dst=0 src0=0 src1=0 src2=0
	s_cbranch_execz .LBB20_77
; %bb.76:                               ;   in Loop: Header=BB20_4 Depth=1
	s_set_vgpr_msb 1                        ;  msbs: dst=0 src0=1 src1=0 src2=0
	ds_load_b128 v[10:13], v13 /*v269*/ offset:528
	v_mov_b32_e32 v3, v31 /*v287*/
	s_or_b32 s60, s60, exec_lo
	s_wait_dscnt 0x0
	v_xor_b32_e32 v13, 0x80000000, v13
	ds_store_b64 v31 /*v287*/, v[10:11]
.LBB20_77:                              ;   in Loop: Header=BB20_4 Depth=1
	s_or_b32 exec_lo, exec_lo, s61
	s_and_saveexec_b32 s61, s60
; %bb.78:                               ;   in Loop: Header=BB20_4 Depth=1
	s_set_vgpr_msb 0                        ;  msbs: dst=0 src0=0 src1=0 src2=0
	ds_store_b64 v3, v[12:13] offset:8
; %bb.79:                               ;   in Loop: Header=BB20_4 Depth=1
	s_or_b32 exec_lo, exec_lo, s61
	s_mov_b32 s60, 0
	s_and_saveexec_b32 s61, s6
	s_delay_alu instid0(SALU_CYCLE_1)
	s_xor_b32 s61, exec_lo, s61
; %bb.80:                               ;   in Loop: Header=BB20_4 Depth=1
	s_and_b32 s60, s7, exec_lo
; %bb.81:                               ;   in Loop: Header=BB20_4 Depth=1
	s_or_saveexec_b32 s61, s61
	v_mov_b64_e32 v[12:13], 0
	s_set_vgpr_msb 1                        ;  msbs: dst=0 src0=1 src1=0 src2=0
	v_mov_b32_e32 v3, v14 /*v270*/
	s_xor_b32 exec_lo, exec_lo, s61
	s_set_vgpr_msb 0                        ;  msbs: dst=0 src0=0 src1=0 src2=0
	s_cbranch_execz .LBB20_83
; %bb.82:                               ;   in Loop: Header=BB20_4 Depth=1
	s_set_vgpr_msb 1                        ;  msbs: dst=0 src0=1 src1=0 src2=0
	ds_load_b128 v[10:13], v13 /*v269*/ offset:1056
	v_mov_b32_e32 v3, v32 /*v288*/
	s_or_b32 s60, s60, exec_lo
	s_wait_dscnt 0x0
	v_xor_b32_e32 v13, 0x80000000, v13
	ds_store_b64 v32 /*v288*/, v[10:11]
.LBB20_83:                              ;   in Loop: Header=BB20_4 Depth=1
	s_or_b32 exec_lo, exec_lo, s61
	s_and_saveexec_b32 s61, s60
; %bb.84:                               ;   in Loop: Header=BB20_4 Depth=1
	s_set_vgpr_msb 0                        ;  msbs: dst=0 src0=0 src1=0 src2=0
	ds_store_b64 v3, v[12:13] offset:8
; %bb.85:                               ;   in Loop: Header=BB20_4 Depth=1
	s_or_b32 exec_lo, exec_lo, s61
	s_wait_dscnt 0x0
	s_barrier_signal -1
	s_barrier_wait -1
	s_set_vgpr_msb 1                        ;  msbs: dst=0 src0=1 src1=0 src2=0
	ds_load_b128 v[10:13], v12 /*v268*/
	ds_load_b128 v[16:19], v16 /*v272*/ offset:512
	ds_load_b128 v[20:23], v16 /*v272*/ offset:528
	ds_load_b128 v[24:27], v13 /*v269*/
	s_wait_dscnt 0x2
	s_set_vgpr_msb 0                        ;  msbs: dst=0 src0=0 src1=0 src2=0
	v_mul_f64_e32 v[4:5], v[18:19], v[12:13]
	v_mul_f64_e32 v[34:35], v[16:17], v[12:13]
	s_wait_dscnt 0x0
	v_mul_f64_e32 v[36:37], v[22:23], v[26:27]
	v_mul_f64_e32 v[38:39], v[20:21], v[26:27]
	s_delay_alu instid0(VALU_DEP_4) | instskip(NEXT) | instid1(VALU_DEP_4)
	v_fma_f64 v[4:5], v[16:17], v[10:11], -v[4:5]
	v_fmac_f64_e32 v[34:35], v[18:19], v[10:11]
	s_set_vgpr_msb 1                        ;  msbs: dst=0 src0=1 src1=0 src2=0
	ds_load_b128 v[10:13], v13 /*v269*/ offset:528
	ds_load_b128 v[16:19], v16 /*v272*/ offset:544
	;; [unrolled: 1-line block ×4, first 2 shown]
	s_set_vgpr_msb 0                        ;  msbs: dst=0 src0=0 src1=0 src2=0
	v_fma_f64 v[20:21], v[20:21], v[24:25], -v[36:37]
	v_fmac_f64_e32 v[38:39], v[22:23], v[24:25]
	s_wait_dscnt 0x0
	s_barrier_signal -1
	s_barrier_wait -1
	v_mul_f64_e32 v[40:41], v[18:19], v[12:13]
	v_mul_f64_e32 v[12:13], v[16:17], v[12:13]
	;; [unrolled: 1-line block ×4, first 2 shown]
	v_add_f64_e32 v[4:5], 0, v[4:5]
	v_add_f64_e32 v[22:23], 0, v[34:35]
	v_fma_f64 v[16:17], v[16:17], v[10:11], -v[40:41]
	v_fmac_f64_e32 v[12:13], v[18:19], v[10:11]
	v_fma_f64 v[18:19], v[26:27], v[30:31], -v[24:25]
	v_fmac_f64_e32 v[32:33], v[28:29], v[30:31]
	v_add_f64_e32 v[4:5], v[4:5], v[20:21]
	v_add_f64_e32 v[10:11], v[22:23], v[38:39]
	s_delay_alu instid0(VALU_DEP_2) | instskip(NEXT) | instid1(VALU_DEP_2)
	v_add_f64_e32 v[4:5], v[4:5], v[16:17]
	v_add_f64_e32 v[12:13], v[10:11], v[12:13]
	s_delay_alu instid0(VALU_DEP_2) | instskip(NEXT) | instid1(VALU_DEP_2)
	v_add_f64_e32 v[10:11], v[4:5], v[18:19]
	v_add_f64_e32 v[12:13], v[12:13], v[32:33]
	s_set_vgpr_msb 1                        ;  msbs: dst=0 src0=1 src1=0 src2=0
	ds_store_b128 v23 /*v279*/, v[10:13]
	s_wait_dscnt 0x0
	s_barrier_signal -1
	s_barrier_wait -1
	s_and_saveexec_b32 s60, s21
	s_set_vgpr_msb 0                        ;  msbs: dst=0 src0=0 src1=0 src2=0
	s_cbranch_execz .LBB20_87
; %bb.86:                               ;   in Loop: Header=BB20_4 Depth=1
	s_set_vgpr_msb 1                        ;  msbs: dst=0 src0=1 src1=0 src2=0
	ds_load_b128 v[4:7], v17 /*v273*/
	ds_load_b128 v[8:11], v17 /*v273*/ offset:16
	s_wait_dscnt 0x0
	s_set_vgpr_msb 0                        ;  msbs: dst=0 src0=0 src1=0 src2=0
	v_add_f64_e32 v[12:13], v[8:9], v[4:5]
	v_add_f64_e32 v[16:17], v[10:11], v[6:7]
	s_set_vgpr_msb 1                        ;  msbs: dst=0 src0=1 src1=0 src2=0
	ds_load_b128 v[4:7], v17 /*v273*/ offset:32
	ds_load_b128 v[8:11], v17 /*v273*/ offset:48
	s_wait_dscnt 0x1
	s_set_vgpr_msb 0                        ;  msbs: dst=0 src0=0 src1=0 src2=0
	v_add_f64_e32 v[4:5], v[12:13], v[4:5]
	v_add_f64_e32 v[6:7], v[16:17], v[6:7]
	s_wait_dscnt 0x0
	s_delay_alu instid0(VALU_DEP_2) | instskip(NEXT) | instid1(VALU_DEP_2)
	v_add_f64_e32 v[12:13], v[4:5], v[8:9]
	v_add_f64_e32 v[16:17], v[6:7], v[10:11]
	s_set_vgpr_msb 1                        ;  msbs: dst=0 src0=1 src1=0 src2=0
	ds_load_b128 v[4:7], v17 /*v273*/ offset:64
	ds_load_b128 v[8:11], v17 /*v273*/ offset:80
	s_wait_dscnt 0x1
	s_set_vgpr_msb 0                        ;  msbs: dst=0 src0=0 src1=0 src2=0
	v_add_f64_e32 v[4:5], v[12:13], v[4:5]
	v_add_f64_e32 v[6:7], v[16:17], v[6:7]
	s_wait_dscnt 0x0
	s_delay_alu instid0(VALU_DEP_2) | instskip(NEXT) | instid1(VALU_DEP_2)
	;; [unrolled: 11-line block ×3, first 2 shown]
	v_add_f64_e32 v[6:7], v[4:5], v[8:9]
	v_add_f64_e32 v[8:9], v[12:13], v[10:11]
.LBB20_87:                              ;   in Loop: Header=BB20_4 Depth=1
	s_or_b32 exec_lo, exec_lo, s60
	v_add_nc_u64_e32 v[10:11], s[54:55], v[14:15]
	s_and_b32 vcc_lo, exec_lo, s65
	s_mov_b32 s60, -1
	s_barrier_signal -1
	s_barrier_wait -1
                                        ; implicit-def: $vgpr4_vgpr5
	s_cbranch_vccz .LBB20_99
; %bb.88:                               ;   in Loop: Header=BB20_4 Depth=1
	s_and_saveexec_b32 s60, s20
	s_delay_alu instid0(SALU_CYCLE_1)
	s_xor_b32 s60, exec_lo, s60
; %bb.89:                               ;   in Loop: Header=BB20_4 Depth=1
	v_dual_mov_b32 v3, v2 :: v_dual_mov_b32 v4, v2
	v_mov_b32_e32 v5, v2
	s_set_vgpr_msb 1                        ;  msbs: dst=0 src0=1 src1=0 src2=0
	ds_store_b128 v7 /*v263*/, v[2:5]
; %bb.90:                               ;   in Loop: Header=BB20_4 Depth=1
	s_or_saveexec_b32 s60, s60
	s_set_vgpr_msb 0                        ;  msbs: dst=0 src0=0 src1=0 src2=0
	v_lshl_add_u64 v[4:5], v[0:1], 4, v[14:15]
	s_delay_alu instid0(VALU_DEP_1) | instskip(NEXT) | instid1(VALU_DEP_1)
	v_lshl_add_u64 v[4:5], s[28:29], 4, v[4:5]
	v_add_nc_u64_e32 v[4:5], s[56:57], v[4:5]
	s_delay_alu instid0(VALU_DEP_1)
	v_dual_cndmask_b32 v13, v5, v11, s1 :: v_dual_cndmask_b32 v12, v4, v10, s1
	s_xor_b32 exec_lo, exec_lo, s60
	s_cbranch_execnz .LBB20_181
; %bb.91:                               ;   in Loop: Header=BB20_4 Depth=1
	s_or_b32 exec_lo, exec_lo, s60
	s_and_saveexec_b32 s60, s13
	s_delay_alu instid0(SALU_CYCLE_1)
	s_xor_b32 s60, exec_lo, s60
	s_cbranch_execnz .LBB20_182
.LBB20_92:                              ;   in Loop: Header=BB20_4 Depth=1
	s_and_not1_saveexec_b32 s60, s60
	s_cbranch_execnz .LBB20_183
.LBB20_93:                              ;   in Loop: Header=BB20_4 Depth=1
	s_or_b32 exec_lo, exec_lo, s60
	s_and_saveexec_b32 s60, s16
	s_delay_alu instid0(SALU_CYCLE_1)
	s_xor_b32 s60, exec_lo, s60
	s_cbranch_execnz .LBB20_184
.LBB20_94:                              ;   in Loop: Header=BB20_4 Depth=1
	s_and_not1_saveexec_b32 s60, s60
	s_cbranch_execnz .LBB20_185
.LBB20_95:                              ;   in Loop: Header=BB20_4 Depth=1
	s_or_b32 exec_lo, exec_lo, s60
	s_and_saveexec_b32 s60, s17
	s_delay_alu instid0(SALU_CYCLE_1)
	s_xor_b32 s60, exec_lo, s60
	s_cbranch_execnz .LBB20_186
.LBB20_96:                              ;   in Loop: Header=BB20_4 Depth=1
	s_and_not1_saveexec_b32 s60, s60
	s_cbranch_execz .LBB20_98
.LBB20_97:                              ;   in Loop: Header=BB20_4 Depth=1
	v_add_nc_u64_e32 v[4:5], s[44:45], v[12:13]
	global_load_b128 v[16:19], v[4:5], off
	s_wait_loadcnt 0x0
	s_set_vgpr_msb 1                        ;  msbs: dst=0 src0=1 src1=0 src2=0
	ds_store_2addr_b64 v29 /*v285*/, v[16:17], v[18:19] offset1:1
.LBB20_98:                              ;   in Loop: Header=BB20_4 Depth=1
	s_wait_xcnt 0x0
	s_or_b32 exec_lo, exec_lo, s60
	s_set_vgpr_msb 0                        ;  msbs: dst=0 src0=0 src1=0 src2=0
	v_mov_b32_e32 v227, v2
	s_mov_b32 s60, 0
	s_delay_alu instid0(VALU_DEP_1) | instskip(NEXT) | instid1(VALU_DEP_1)
	v_add_nc_u64_e32 v[4:5], v[12:13], v[226:227]
	v_lshl_add_u64 v[4:5], s[58:59], 4, v[4:5]
	s_delay_alu instid0(VALU_DEP_1) | instskip(NEXT) | instid1(VALU_DEP_1)
	v_add_nc_u64_e32 v[4:5], 16, v[4:5]
	v_dual_cndmask_b32 v5, v5, v11, s1 :: v_dual_cndmask_b32 v4, v4, v10, s1
.LBB20_99:                              ;   in Loop: Header=BB20_4 Depth=1
	s_and_b32 vcc_lo, exec_lo, s60
	s_cbranch_vccz .LBB20_101
; %bb.100:                              ;   in Loop: Header=BB20_4 Depth=1
	v_add_nc_u64_e32 v[4:5], s[36:37], v[14:15]
	s_delay_alu instid0(VALU_DEP_1) | instskip(NEXT) | instid1(VALU_DEP_1)
	v_add_nc_u64_e32 v[20:21], s[36:37], v[4:5]
	v_add_nc_u64_e32 v[24:25], s[36:37], v[20:21]
	s_clause 0x3
	global_load_b128 v[12:15], v[10:11], off
	global_load_b128 v[16:19], v[4:5], off offset:-512
	global_load_b128 v[20:23], v[20:21], off offset:-512
	;; [unrolled: 1-line block ×3, first 2 shown]
	s_wait_xcnt 0x2
	v_mov_b64_e32 v[4:5], v[10:11]
	s_wait_loadcnt 0x3
	s_set_vgpr_msb 1                        ;  msbs: dst=0 src0=1 src1=0 src2=0
	ds_store_2addr_b64 v7 /*v263*/, v[12:13], v[14:15] offset1:1
	s_wait_loadcnt 0x2
	ds_store_2addr_b64 v27 /*v283*/, v[16:17], v[18:19] offset1:1
	s_wait_loadcnt 0x1
	;; [unrolled: 2-line block ×3, first 2 shown]
	ds_store_2addr_b64 v29 /*v285*/, v[24:25], v[26:27] offset1:1
.LBB20_101:                             ;   in Loop: Header=BB20_4 Depth=1
	s_set_vgpr_msb 5                        ;  msbs: dst=0 src0=1 src1=1 src2=0
	v_dual_add_nc_u32 v3, v15 /*v271*/, v18 /*v274*/ :: v_dual_add_nc_u32 v14, v16 /*v272*/, v18 /*v274*/
	s_wait_dscnt 0x0
	s_barrier_signal -1
	s_barrier_wait -1
	s_set_vgpr_msb 0                        ;  msbs: dst=0 src0=0 src1=0 src2=0
	ds_load_b128 v[10:13], v3
	ds_load_b128 v[14:17], v14
	s_wait_xcnt 0x1
	s_set_vgpr_msb 1                        ;  msbs: dst=0 src0=1 src1=0 src2=0
	ds_load_b128 v[18:21], v24 /*v280*/ offset:128
	s_wait_xcnt 0x0
	ds_load_b128 v[22:25], v23 /*v279*/ offset:128
	ds_load_b128 v[26:29], v23 /*v279*/ offset:256
	;; [unrolled: 1-line block ×3, first 2 shown]
	s_wait_dscnt 0x2
	s_set_vgpr_msb 0                        ;  msbs: dst=0 src0=0 src1=0 src2=0
	v_mul_f64_e32 v[36:37], v[24:25], v[20:21]
	v_mul_f64_e32 v[34:35], v[12:13], v[16:17]
	;; [unrolled: 1-line block ×4, first 2 shown]
	s_delay_alu instid0(VALU_DEP_4) | instskip(NEXT) | instid1(VALU_DEP_4)
	v_fmac_f64_e32 v[36:37], v[22:23], v[18:19]
	v_fmac_f64_e32 v[34:35], v[10:11], v[14:15]
	s_delay_alu instid0(VALU_DEP_4)
	v_fma_f64 v[38:39], v[10:11], v[16:17], -v[12:13]
	s_set_vgpr_msb 1                        ;  msbs: dst=0 src0=1 src1=0 src2=0
	ds_load_b128 v[10:13], v24 /*v280*/ offset:256
	ds_load_b128 v[14:17], v24 /*v280*/ offset:384
	s_set_vgpr_msb 0                        ;  msbs: dst=0 src0=0 src1=0 src2=0
	v_fma_f64 v[18:19], v[22:23], v[20:21], -v[24:25]
	s_wait_dscnt 0x1
	v_mul_f64_e32 v[40:41], v[28:29], v[12:13]
	v_mul_f64_e32 v[28:29], v[28:29], v[10:11]
	s_wait_dscnt 0x0
	v_mul_f64_e32 v[24:25], v[32:33], v[16:17]
	v_mul_f64_e32 v[32:33], v[32:33], v[14:15]
	v_add_f64_e32 v[20:21], 0, v[34:35]
	v_add_f64_e32 v[22:23], 0, v[38:39]
	v_fmac_f64_e32 v[40:41], v[26:27], v[10:11]
	v_fma_f64 v[10:11], v[26:27], v[12:13], -v[28:29]
	v_fmac_f64_e32 v[24:25], v[30:31], v[14:15]
	v_fma_f64 v[14:15], v[30:31], v[16:17], -v[32:33]
	v_add_f64_e32 v[12:13], v[20:21], v[36:37]
	v_add_f64_e32 v[18:19], v[22:23], v[18:19]
	s_delay_alu instid0(VALU_DEP_2) | instskip(NEXT) | instid1(VALU_DEP_2)
	v_add_f64_e32 v[12:13], v[12:13], v[40:41]
	v_add_f64_e32 v[10:11], v[18:19], v[10:11]
	s_delay_alu instid0(VALU_DEP_2) | instskip(NEXT) | instid1(VALU_DEP_2)
	v_add_f64_e32 v[44:45], v[12:13], v[24:25]
	v_add_f64_e32 v[46:47], v[10:11], v[14:15]
	s_set_vgpr_msb 1                        ;  msbs: dst=0 src0=1 src1=0 src2=0
	ds_load_b128 v[34:37], v16 /*v272*/ offset:512
	ds_load_b128 v[26:29], v16 /*v272*/ offset:528
	ds_load_b128 v[14:17], v16 /*v272*/ offset:544
	ds_load_b128 v[10:13], v16 /*v272*/ offset:560
	ds_load_b128 v[38:41], v12 /*v268*/
	ds_load_b128 v[30:33], v13 /*v269*/
	ds_load_b128 v[22:25], v13 /*v269*/ offset:528
	ds_load_b128 v[18:21], v13 /*v269*/ offset:1056
	s_wait_dscnt 0x0
	s_barrier_signal -1
	s_barrier_wait -1
	ds_store_b128 v23 /*v279*/, v[44:47]
	s_wait_dscnt 0x0
	s_barrier_signal -1
	s_barrier_wait -1
	s_and_saveexec_b32 s60, s21
	s_set_vgpr_msb 0                        ;  msbs: dst=0 src0=0 src1=0 src2=0
	s_cbranch_execz .LBB20_103
; %bb.102:                              ;   in Loop: Header=BB20_4 Depth=1
	s_set_vgpr_msb 1                        ;  msbs: dst=0 src0=1 src1=0 src2=0
	ds_load_b128 v[44:47], v17 /*v273*/
	ds_load_b128 v[48:51], v17 /*v273*/ offset:16
	s_wait_dscnt 0x1
	s_set_vgpr_msb 0                        ;  msbs: dst=0 src0=0 src1=0 src2=0
	v_add_f64_e32 v[6:7], v[6:7], v[44:45]
	v_add_f64_e32 v[8:9], v[8:9], v[46:47]
	s_wait_dscnt 0x0
	s_delay_alu instid0(VALU_DEP_2) | instskip(NEXT) | instid1(VALU_DEP_2)
	v_add_f64_e32 v[48:49], v[6:7], v[48:49]
	v_add_f64_e32 v[50:51], v[8:9], v[50:51]
	s_set_vgpr_msb 1                        ;  msbs: dst=0 src0=1 src1=0 src2=0
	ds_load_b128 v[6:9], v17 /*v273*/ offset:32
	ds_load_b128 v[44:47], v17 /*v273*/ offset:48
	s_wait_dscnt 0x1
	s_set_vgpr_msb 0                        ;  msbs: dst=0 src0=0 src1=0 src2=0
	v_add_f64_e32 v[6:7], v[48:49], v[6:7]
	v_add_f64_e32 v[8:9], v[50:51], v[8:9]
	s_wait_dscnt 0x0
	s_delay_alu instid0(VALU_DEP_2) | instskip(NEXT) | instid1(VALU_DEP_2)
	v_add_f64_e32 v[48:49], v[6:7], v[44:45]
	v_add_f64_e32 v[50:51], v[8:9], v[46:47]
	s_set_vgpr_msb 1                        ;  msbs: dst=0 src0=1 src1=0 src2=0
	ds_load_b128 v[6:9], v17 /*v273*/ offset:64
	;; [unrolled: 11-line block ×3, first 2 shown]
	ds_load_b128 v[44:47], v17 /*v273*/ offset:112
	s_wait_dscnt 0x1
	s_set_vgpr_msb 0                        ;  msbs: dst=0 src0=0 src1=0 src2=0
	v_add_f64_e32 v[6:7], v[48:49], v[6:7]
	v_add_f64_e32 v[8:9], v[50:51], v[8:9]
	s_wait_dscnt 0x0
	s_delay_alu instid0(VALU_DEP_2) | instskip(NEXT) | instid1(VALU_DEP_2)
	v_add_f64_e32 v[6:7], v[6:7], v[44:45]
	v_add_f64_e32 v[8:9], v[8:9], v[46:47]
.LBB20_103:                             ;   in Loop: Header=BB20_4 Depth=1
	s_or_b32 exec_lo, exec_lo, s60
	v_mul_f64_e32 v[44:45], v[36:37], v[40:41]
	v_mul_f64_e32 v[40:41], v[34:35], v[40:41]
	;; [unrolled: 1-line block ×4, first 2 shown]
	s_barrier_signal -1
	s_barrier_wait -1
	s_delay_alu instid0(VALU_DEP_4) | instskip(NEXT) | instid1(VALU_DEP_4)
	v_fma_f64 v[34:35], v[34:35], v[38:39], -v[44:45]
	v_fmac_f64_e32 v[40:41], v[36:37], v[38:39]
	v_mul_f64_e32 v[36:37], v[16:17], v[24:25]
	v_mul_f64_e32 v[24:25], v[14:15], v[24:25]
	v_fma_f64 v[26:27], v[26:27], v[30:31], -v[46:47]
	v_fmac_f64_e32 v[32:33], v[28:29], v[30:31]
	v_add_f64_e32 v[28:29], 0, v[34:35]
	v_add_f64_e32 v[30:31], 0, v[40:41]
	v_mul_f64_e32 v[34:35], v[12:13], v[20:21]
	v_mul_f64_e32 v[20:21], v[10:11], v[20:21]
	v_fma_f64 v[14:15], v[14:15], v[22:23], -v[36:37]
	v_fmac_f64_e32 v[24:25], v[16:17], v[22:23]
	v_add_f64_e32 v[16:17], v[28:29], v[26:27]
	v_add_f64_e32 v[22:23], v[30:31], v[32:33]
	v_fma_f64 v[10:11], v[10:11], v[18:19], -v[34:35]
	v_fmac_f64_e32 v[20:21], v[12:13], v[18:19]
	s_delay_alu instid0(VALU_DEP_4) | instskip(NEXT) | instid1(VALU_DEP_4)
	v_add_f64_e32 v[12:13], v[16:17], v[14:15]
	v_add_f64_e32 v[14:15], v[22:23], v[24:25]
	s_delay_alu instid0(VALU_DEP_2) | instskip(NEXT) | instid1(VALU_DEP_2)
	v_add_f64_e32 v[10:11], v[12:13], v[10:11]
	v_add_f64_e32 v[12:13], v[14:15], v[20:21]
	s_set_vgpr_msb 1                        ;  msbs: dst=0 src0=1 src1=0 src2=0
	ds_store_b128 v23 /*v279*/, v[10:13]
	s_wait_dscnt 0x0
	s_barrier_signal -1
	s_barrier_wait -1
	s_and_saveexec_b32 s60, s15
	s_set_vgpr_msb 0                        ;  msbs: dst=0 src0=0 src1=0 src2=0
	s_cbranch_execz .LBB20_105
; %bb.104:                              ;   in Loop: Header=BB20_4 Depth=1
	s_set_vgpr_msb 1                        ;  msbs: dst=0 src0=1 src1=0 src2=0
	ds_load_b128 v[10:13], v17 /*v273*/
	ds_load_b128 v[14:17], v17 /*v273*/ offset:16
	s_wait_dscnt 0x1
	s_set_vgpr_msb 0                        ;  msbs: dst=0 src0=0 src1=0 src2=0
	v_add_f64_e32 v[6:7], v[6:7], v[10:11]
	v_add_f64_e32 v[8:9], v[8:9], v[12:13]
	s_wait_dscnt 0x0
	s_delay_alu instid0(VALU_DEP_2) | instskip(NEXT) | instid1(VALU_DEP_2)
	v_add_f64_e32 v[14:15], v[6:7], v[14:15]
	v_add_f64_e32 v[16:17], v[8:9], v[16:17]
	s_set_vgpr_msb 1                        ;  msbs: dst=0 src0=1 src1=0 src2=0
	ds_load_b128 v[6:9], v17 /*v273*/ offset:32
	ds_load_b128 v[10:13], v17 /*v273*/ offset:48
	s_wait_dscnt 0x1
	s_set_vgpr_msb 0                        ;  msbs: dst=0 src0=0 src1=0 src2=0
	v_add_f64_e32 v[6:7], v[14:15], v[6:7]
	v_add_f64_e32 v[8:9], v[16:17], v[8:9]
	s_wait_dscnt 0x0
	s_delay_alu instid0(VALU_DEP_2) | instskip(NEXT) | instid1(VALU_DEP_2)
	v_add_f64_e32 v[14:15], v[6:7], v[10:11]
	v_add_f64_e32 v[16:17], v[8:9], v[12:13]
	s_set_vgpr_msb 1                        ;  msbs: dst=0 src0=1 src1=0 src2=0
	ds_load_b128 v[6:9], v17 /*v273*/ offset:64
	;; [unrolled: 11-line block ×3, first 2 shown]
	ds_load_b128 v[10:13], v17 /*v273*/ offset:112
	s_wait_dscnt 0x1
	s_set_vgpr_msb 0                        ;  msbs: dst=0 src0=0 src1=0 src2=0
	v_add_f64_e32 v[6:7], v[14:15], v[6:7]
	v_add_f64_e32 v[8:9], v[16:17], v[8:9]
	s_wait_dscnt 0x0
	s_delay_alu instid0(VALU_DEP_2) | instskip(NEXT) | instid1(VALU_DEP_2)
	v_add_f64_e32 v[6:7], v[6:7], v[10:11]
	v_add_f64_e32 v[8:9], v[8:9], v[12:13]
.LBB20_105:                             ;   in Loop: Header=BB20_4 Depth=1
	s_or_b32 exec_lo, exec_lo, s60
	s_mul_u64 s[60:61], s[30:31], s[22:23]
	s_and_not1_b32 vcc_lo, exec_lo, s25
	s_lshl_b64 s[60:61], s[60:61], 4
	s_delay_alu instid0(SALU_CYCLE_1)
	s_add_nc_u64 s[60:61], s[34:35], s[60:61]
	s_barrier_signal -1
	s_barrier_wait -1
	s_cbranch_vccnz .LBB20_163
; %bb.106:                              ;   in Loop: Header=BB20_4 Depth=1
	v_add_nc_u64_e32 v[228:229], v[4:5], v[194:195]
	v_add_nc_u64_e32 v[230:231], v[4:5], v[196:197]
	;; [unrolled: 1-line block ×14, first 2 shown]
	s_set_vgpr_msb 64                       ;  msbs: dst=1 src0=0 src1=0 src2=0
	v_add_nc_u64_e32 v[0:1] /*v[256:257]*/, v[4:5], v[222:223]
	v_add_nc_u64_e32 v[2:3] /*v[258:259]*/, v[4:5], v[224:225]
	v_lshl_add_u64 v[4:5] /*v[260:261]*/, s[52:53], 4, v[42:43]
	s_mov_b32 s62, s69
	s_mov_b32 s70, s26
	s_delay_alu instid0(SALU_CYCLE_1)
	s_cmp_eq_u32 s27, s70
	s_cselect_b32 s71, s64, 0
	s_and_saveexec_b32 s72, s0
	s_set_vgpr_msb 0                        ;  msbs: dst=0 src0=0 src1=0 src2=0
	s_cbranch_execz .LBB20_111
.LBB20_107:                             ;   in Loop: Header=BB20_4 Depth=1
	s_set_vgpr_msb 4                        ;  msbs: dst=0 src0=0 src1=1 src2=0
	v_cmp_le_i32_e32 vcc_lo, s71, v6 /*v262*/
	s_cmp_lg_u32 s71, 0
	s_cselect_b32 s63, -1, 0
	s_delay_alu instid0(SALU_CYCLE_1) | instskip(NEXT) | instid1(SALU_CYCLE_1)
	s_and_b32 s63, s63, vcc_lo
	s_and_saveexec_b32 s73, s63
	s_delay_alu instid0(SALU_CYCLE_1)
	s_xor_b32 s63, exec_lo, s73
; %bb.108:                              ;   in Loop: Header=BB20_4 Depth=1
	v_dual_mov_b32 v3, v2 :: v_dual_mov_b32 v4, v2
	v_mov_b32_e32 v5, v2
	s_set_vgpr_msb 1                        ;  msbs: dst=0 src0=1 src1=0 src2=0
	ds_store_b128 v33 /*v289*/, v[2:5]
; %bb.109:                              ;   in Loop: Header=BB20_4 Depth=1
	s_and_not1_saveexec_b32 s63, s63
	s_set_vgpr_msb 0                        ;  msbs: dst=0 src0=0 src1=0 src2=0
	s_cbranch_execz .LBB20_111
; %bb.110:                              ;   in Loop: Header=BB20_4 Depth=1
	s_ashr_i32 s63, s62, 31
	s_delay_alu instid0(SALU_CYCLE_1)
	s_mul_u64 s[74:75], s[48:49], s[62:63]
	s_set_vgpr_msb 16                       ;  msbs: dst=0 src0=0 src1=0 src2=1
	v_lshl_add_u64 v[4:5], s[74:75], 4, v[4:5] /*v[260:261]*/
	global_load_b128 v[10:13], v[4:5], off
	s_wait_loadcnt 0x0
	s_set_vgpr_msb 1                        ;  msbs: dst=0 src0=1 src1=0 src2=0
	ds_store_2addr_b64 v33 /*v289*/, v[10:11], v[12:13] offset1:1
.LBB20_111:                             ;   Parent Loop BB20_4 Depth=1
                                        ; =>  This Inner Loop Header: Depth=2
	s_wait_xcnt 0x0
	s_or_b32 exec_lo, exec_lo, s72
	s_cmp_eq_u32 s71, 0
	s_set_vgpr_msb 0                        ;  msbs: dst=0 src0=0 src1=0 src2=0
	v_add_nc_u64_e32 v[4:5], v[228:229], v[186:187]
	s_cselect_b32 s63, -1, 0
	s_cmp_lg_u32 s71, 0
	s_wait_dscnt 0x0
	s_cselect_b32 s72, -1, 0
	s_barrier_signal -1
	s_and_b32 vcc_lo, exec_lo, s72
	s_barrier_wait -1
	s_cbranch_vccz .LBB20_119
; %bb.112:                              ;   in Loop: Header=BB20_111 Depth=2
	v_mov_b64_e32 v[10:11], 0
	v_mov_b64_e32 v[14:15], 0
	;; [unrolled: 1-line block ×3, first 2 shown]
	s_mov_b32 s73, exec_lo
	s_set_vgpr_msb 4                        ;  msbs: dst=0 src0=0 src1=1 src2=0
	v_cmpx_gt_i32_e64 s71, v19 /*v275*/
	s_set_vgpr_msb 0                        ;  msbs: dst=0 src0=0 src1=0 src2=0
	s_cbranch_execz .LBB20_114
; %bb.113:                              ;   in Loop: Header=BB20_111 Depth=2
	global_load_b128 v[14:17], v[4:5], off offset:-8
.LBB20_114:                             ;   in Loop: Header=BB20_111 Depth=2
	s_wait_xcnt 0x0
	s_or_b32 exec_lo, exec_lo, s73
	v_mov_b64_e32 v[12:13], 0
	s_mov_b32 s73, exec_lo
	s_set_vgpr_msb 4                        ;  msbs: dst=0 src0=0 src1=1 src2=0
	v_cmpx_gt_i32_e64 s71, v34 /*v290*/
	s_set_vgpr_msb 0                        ;  msbs: dst=0 src0=0 src1=0 src2=0
	s_cbranch_execz .LBB20_116
; %bb.115:                              ;   in Loop: Header=BB20_111 Depth=2
	v_add_nc_u64_e32 v[10:11], v[236:237], v[186:187]
	global_load_b128 v[10:13], v[10:11], off offset:-8
.LBB20_116:                             ;   in Loop: Header=BB20_111 Depth=2
	s_wait_xcnt 0x0
	s_or_b32 exec_lo, exec_lo, s73
	v_mov_b64_e32 v[18:19], 0
	v_mov_b64_e32 v[20:21], 0
	s_mov_b32 s73, exec_lo
	s_set_vgpr_msb 4                        ;  msbs: dst=0 src0=0 src1=1 src2=0
	v_cmpx_gt_i32_e64 s71, v35 /*v291*/
	s_set_vgpr_msb 0                        ;  msbs: dst=0 src0=0 src1=0 src2=0
	s_cbranch_execz .LBB20_118
; %bb.117:                              ;   in Loop: Header=BB20_111 Depth=2
	v_add_nc_u64_e32 v[18:19], v[232:233], v[186:187]
	global_load_b128 v[18:21], v[18:19], off
.LBB20_118:                             ;   in Loop: Header=BB20_111 Depth=2
	s_wait_xcnt 0x0
	s_or_b32 exec_lo, exec_lo, s73
	s_set_vgpr_msb 4                        ;  msbs: dst=0 src0=0 src1=1 src2=0
	v_cmp_gt_i32_e64 s73, s71, v36 /*v292*/
	s_set_vgpr_msb 0                        ;  msbs: dst=0 src0=0 src1=0 src2=0
	s_branch .LBB20_121
.LBB20_119:                             ;   in Loop: Header=BB20_111 Depth=2
	s_mov_b32 s73, 0
                                        ; implicit-def: $vgpr20_vgpr21
                                        ; implicit-def: $vgpr12_vgpr13
                                        ; implicit-def: $vgpr16_vgpr17
	s_cbranch_execz .LBB20_121
; %bb.120:                              ;   in Loop: Header=BB20_111 Depth=2
	s_wait_loadcnt 0x0
	v_add_nc_u64_e32 v[10:11], v[236:237], v[186:187]
	v_add_nc_u64_e32 v[18:19], v[232:233], v[186:187]
	s_or_b32 s73, s73, exec_lo
	global_load_b128 v[14:17], v[4:5], off offset:-8
	global_load_b128 v[10:13], v[10:11], off offset:-8
	global_load_b128 v[18:21], v[18:19], off
.LBB20_121:                             ;   in Loop: Header=BB20_111 Depth=2
	v_mov_b64_e32 v[22:23], 0
	v_mov_b64_e32 v[24:25], 0
	s_wait_xcnt 0x0
	s_and_saveexec_b32 s74, s73
	s_cbranch_execz .LBB20_123
; %bb.122:                              ;   in Loop: Header=BB20_111 Depth=2
	v_add_nc_u64_e32 v[4:5], v[240:241], v[186:187]
	global_load_b128 v[22:25], v[4:5], off offset:-8
.LBB20_123:                             ;   in Loop: Header=BB20_111 Depth=2
	s_wait_xcnt 0x0
	s_or_b32 exec_lo, exec_lo, s74
	s_set_vgpr_msb 1                        ;  msbs: dst=0 src0=1 src1=0 src2=0
	ds_load_b128 v[30:33], v26 /*v282*/
	ds_load_b128 v[26:29], v8 /*v264*/
	v_cndmask_b32_e64 v3, 0, 1, s72
	s_and_not1_b32 vcc_lo, exec_lo, s72
	s_wait_loadcnt_dscnt 0x1
	s_set_vgpr_msb 0                        ;  msbs: dst=0 src0=0 src1=0 src2=0
	v_mul_f64_e32 v[42:43], v[16:17], v[32:33]
	v_mul_f64_e32 v[4:5], v[16:17], v[30:31]
	;; [unrolled: 1-line block ×8, first 2 shown]
	v_fmac_f64_e32 v[42:43], v[14:15], v[30:31]
	v_fma_f64 v[44:45], v[14:15], v[32:33], -v[4:5]
	v_fmac_f64_e32 v[46:47], v[10:11], v[30:31]
	v_fma_f64 v[48:49], v[10:11], v[32:33], -v[34:35]
	;; [unrolled: 2-line block ×4, first 2 shown]
	s_set_vgpr_msb 1                        ;  msbs: dst=0 src0=1 src1=0 src2=0
	ds_load_b128 v[38:41], v8 /*v264*/ offset:16
	ds_load_b128 v[34:37], v8 /*v264*/ offset:32
	;; [unrolled: 1-line block ×3, first 2 shown]
	s_set_vgpr_msb 0                        ;  msbs: dst=0 src0=0 src1=0 src2=0
	v_add_nc_u64_e32 v[4:5], v[244:245], v[186:187]
	s_set_vgpr_msb 1                        ;  msbs: dst=0 src0=1 src1=0 src2=0
	ds_store_b128 v20 /*v276*/, v[42:45]
	ds_store_b128 v20 /*v276*/, v[46:49] offset:1072
	ds_store_b128 v20 /*v276*/, v[50:53] offset:2144
	;; [unrolled: 1-line block ×3, first 2 shown]
	s_wait_dscnt 0x0
	s_barrier_signal -1
	s_barrier_wait -1
	ds_load_b128 v[98:101], v9 /*v265*/
	ds_load_b128 v[94:97], v9 /*v265*/ offset:16
	ds_load_b128 v[90:93], v9 /*v265*/ offset:32
	;; [unrolled: 1-line block ×3, first 2 shown]
	s_wait_dscnt 0x0
	s_barrier_signal -1
	s_barrier_wait -1
	s_set_vgpr_msb 0                        ;  msbs: dst=0 src0=0 src1=0 src2=0
	s_cbranch_vccnz .LBB20_131
; %bb.124:                              ;   in Loop: Header=BB20_111 Depth=2
	v_mov_b64_e32 v[42:43], 0
	v_mov_b64_e32 v[46:47], 0
	;; [unrolled: 1-line block ×3, first 2 shown]
	s_mov_b32 s72, exec_lo
	s_set_vgpr_msb 4                        ;  msbs: dst=0 src0=0 src1=1 src2=0
	v_cmpx_gt_i32_e64 s71, v37 /*v293*/
	s_set_vgpr_msb 0                        ;  msbs: dst=0 src0=0 src1=0 src2=0
	s_cbranch_execz .LBB20_126
; %bb.125:                              ;   in Loop: Header=BB20_111 Depth=2
	global_load_b128 v[46:49], v[4:5], off offset:-8
.LBB20_126:                             ;   in Loop: Header=BB20_111 Depth=2
	s_wait_xcnt 0x0
	s_or_b32 exec_lo, exec_lo, s72
	v_mov_b64_e32 v[44:45], 0
	s_mov_b32 s72, exec_lo
	s_set_vgpr_msb 4                        ;  msbs: dst=0 src0=0 src1=1 src2=0
	v_cmpx_gt_i32_e64 s71, v38 /*v294*/
	s_set_vgpr_msb 0                        ;  msbs: dst=0 src0=0 src1=0 src2=0
	s_cbranch_execz .LBB20_128
; %bb.127:                              ;   in Loop: Header=BB20_111 Depth=2
	v_add_nc_u64_e32 v[42:43], v[248:249], v[186:187]
	global_load_b128 v[42:45], v[42:43], off offset:-8
.LBB20_128:                             ;   in Loop: Header=BB20_111 Depth=2
	s_wait_xcnt 0x0
	s_or_b32 exec_lo, exec_lo, s72
	v_mov_b64_e32 v[50:51], 0
	v_mov_b64_e32 v[52:53], 0
	s_mov_b32 s72, exec_lo
	s_set_vgpr_msb 4                        ;  msbs: dst=0 src0=0 src1=1 src2=0
	v_cmpx_gt_i32_e64 s71, v39 /*v295*/
	s_set_vgpr_msb 0                        ;  msbs: dst=0 src0=0 src1=0 src2=0
	s_cbranch_execz .LBB20_130
; %bb.129:                              ;   in Loop: Header=BB20_111 Depth=2
	v_add_nc_u64_e32 v[50:51], v[252:253], v[186:187]
	global_load_b128 v[50:53], v[50:51], off offset:-8
.LBB20_130:                             ;   in Loop: Header=BB20_111 Depth=2
	s_wait_xcnt 0x0
	s_or_b32 exec_lo, exec_lo, s72
	s_set_vgpr_msb 4                        ;  msbs: dst=0 src0=0 src1=1 src2=0
	v_cmp_gt_i32_e64 s72, s71, v40 /*v296*/
	s_set_vgpr_msb 0                        ;  msbs: dst=0 src0=0 src1=0 src2=0
	s_branch .LBB20_133
.LBB20_131:                             ;   in Loop: Header=BB20_111 Depth=2
	s_mov_b32 s72, 0
                                        ; implicit-def: $vgpr52_vgpr53
                                        ; implicit-def: $vgpr44_vgpr45
                                        ; implicit-def: $vgpr48_vgpr49
	s_cbranch_execz .LBB20_133
; %bb.132:                              ;   in Loop: Header=BB20_111 Depth=2
	s_wait_loadcnt 0x0
	v_add_nc_u64_e32 v[42:43], v[248:249], v[186:187]
	v_add_nc_u64_e32 v[50:51], v[252:253], v[186:187]
	s_or_b32 s72, s72, exec_lo
	global_load_b128 v[46:49], v[4:5], off offset:-8
	global_load_b128 v[42:45], v[42:43], off offset:-8
	global_load_b128 v[50:53], v[50:51], off offset:-8
.LBB20_133:                             ;   in Loop: Header=BB20_111 Depth=2
	v_mov_b64_e32 v[54:55], 0
	v_mov_b64_e32 v[56:57], 0
	s_wait_xcnt 0x0
	s_and_saveexec_b32 s73, s72
	s_cbranch_execz .LBB20_135
; %bb.134:                              ;   in Loop: Header=BB20_111 Depth=2
	s_set_vgpr_msb 1                        ;  msbs: dst=0 src0=1 src1=0 src2=0
	v_add_nc_u64_e32 v[4:5], v[0:1] /*v[256:257]*/, v[186:187]
	s_set_vgpr_msb 0                        ;  msbs: dst=0 src0=0 src1=0 src2=0
	global_load_b128 v[54:57], v[4:5], off offset:-8
.LBB20_135:                             ;   in Loop: Header=BB20_111 Depth=2
	s_wait_xcnt 0x0
	s_or_b32 exec_lo, exec_lo, s73
	s_set_vgpr_msb 1                        ;  msbs: dst=0 src0=1 src1=0 src2=0
	ds_load_b128 v[62:65], v26 /*v282*/
	ds_load_b128 v[58:61], v8 /*v264*/ offset:256
	v_cmp_ne_u32_e32 vcc_lo, 1, v3
	s_and_b32 vcc_lo, exec_lo, vcc_lo
	s_wait_loadcnt_dscnt 0x1
	s_set_vgpr_msb 0                        ;  msbs: dst=0 src0=0 src1=0 src2=0
	v_mul_f64_e32 v[70:71], v[48:49], v[64:65]
	v_mul_f64_e32 v[4:5], v[48:49], v[62:63]
	;; [unrolled: 1-line block ×8, first 2 shown]
	v_fmac_f64_e32 v[70:71], v[46:47], v[62:63]
	v_fma_f64 v[72:73], v[46:47], v[64:65], -v[4:5]
	v_fmac_f64_e32 v[78:79], v[42:43], v[62:63]
	v_fma_f64 v[80:81], v[42:43], v[64:65], -v[66:67]
	;; [unrolled: 2-line block ×4, first 2 shown]
	s_set_vgpr_msb 1                        ;  msbs: dst=0 src0=1 src1=0 src2=0
	ds_load_b128 v[74:77], v8 /*v264*/ offset:272
	ds_load_b128 v[66:69], v8 /*v264*/ offset:288
	;; [unrolled: 1-line block ×3, first 2 shown]
	v_add_nc_u64_e32 v[4:5], v[2:3] /*v[258:259]*/, v[186:187]
	ds_store_b128 v20 /*v276*/, v[70:73]
	ds_store_b128 v20 /*v276*/, v[78:81] offset:1072
	ds_store_b128 v20 /*v276*/, v[82:85] offset:2144
	;; [unrolled: 1-line block ×3, first 2 shown]
	s_wait_dscnt 0x0
	s_barrier_signal -1
	s_barrier_wait -1
	ds_load_b128 v[150:153], v9 /*v265*/
	ds_load_b128 v[146:149], v9 /*v265*/ offset:16
	ds_load_b128 v[138:141], v9 /*v265*/ offset:32
	ds_load_b128 v[134:137], v9 /*v265*/ offset:48
	s_wait_dscnt 0x0
	s_barrier_signal -1
	s_barrier_wait -1
	s_set_vgpr_msb 0                        ;  msbs: dst=0 src0=0 src1=0 src2=0
	s_cbranch_vccnz .LBB20_143
; %bb.136:                              ;   in Loop: Header=BB20_111 Depth=2
	v_mov_b64_e32 v[70:71], 0
	v_mov_b64_e32 v[78:79], 0
	;; [unrolled: 1-line block ×3, first 2 shown]
	s_mov_b32 s72, exec_lo
	s_set_vgpr_msb 4                        ;  msbs: dst=0 src0=0 src1=1 src2=0
	v_cmpx_gt_i32_e64 s71, v41 /*v297*/
	s_set_vgpr_msb 0                        ;  msbs: dst=0 src0=0 src1=0 src2=0
	s_cbranch_execz .LBB20_138
; %bb.137:                              ;   in Loop: Header=BB20_111 Depth=2
	global_load_b128 v[78:81], v[4:5], off offset:-8
.LBB20_138:                             ;   in Loop: Header=BB20_111 Depth=2
	s_wait_xcnt 0x0
	s_or_b32 exec_lo, exec_lo, s72
	v_mov_b64_e32 v[72:73], 0
	s_mov_b32 s72, exec_lo
	s_set_vgpr_msb 4                        ;  msbs: dst=0 src0=0 src1=1 src2=0
	v_cmpx_gt_i32_e64 s71, v42 /*v298*/
	s_set_vgpr_msb 0                        ;  msbs: dst=0 src0=0 src1=0 src2=0
	s_cbranch_execz .LBB20_140
; %bb.139:                              ;   in Loop: Header=BB20_111 Depth=2
	v_add_nc_u64_e32 v[70:71], v[254:255], v[186:187]
	global_load_b128 v[70:73], v[70:71], off
.LBB20_140:                             ;   in Loop: Header=BB20_111 Depth=2
	s_wait_xcnt 0x0
	s_or_b32 exec_lo, exec_lo, s72
	v_mov_b64_e32 v[82:83], 0
	v_mov_b64_e32 v[84:85], 0
	s_mov_b32 s72, exec_lo
	s_set_vgpr_msb 4                        ;  msbs: dst=0 src0=0 src1=1 src2=0
	v_cmpx_gt_i32_e64 s71, v43 /*v299*/
	s_set_vgpr_msb 0                        ;  msbs: dst=0 src0=0 src1=0 src2=0
	s_cbranch_execz .LBB20_142
; %bb.141:                              ;   in Loop: Header=BB20_111 Depth=2
	v_add_nc_u64_e32 v[82:83], v[250:251], v[186:187]
	global_load_b128 v[82:85], v[82:83], off
.LBB20_142:                             ;   in Loop: Header=BB20_111 Depth=2
	s_wait_xcnt 0x0
	s_or_b32 exec_lo, exec_lo, s72
	s_set_vgpr_msb 4                        ;  msbs: dst=0 src0=0 src1=1 src2=0
	v_cmp_gt_i32_e64 s72, s71, v44 /*v300*/
	s_set_vgpr_msb 0                        ;  msbs: dst=0 src0=0 src1=0 src2=0
	s_branch .LBB20_145
.LBB20_143:                             ;   in Loop: Header=BB20_111 Depth=2
	s_mov_b32 s72, 0
                                        ; implicit-def: $vgpr84_vgpr85
                                        ; implicit-def: $vgpr72_vgpr73
                                        ; implicit-def: $vgpr80_vgpr81
	s_cbranch_execz .LBB20_145
; %bb.144:                              ;   in Loop: Header=BB20_111 Depth=2
	s_wait_loadcnt 0x0
	v_add_nc_u64_e32 v[70:71], v[254:255], v[186:187]
	v_add_nc_u64_e32 v[82:83], v[250:251], v[186:187]
	s_or_b32 s72, s72, exec_lo
	global_load_b128 v[78:81], v[4:5], off offset:-8
	global_load_b128 v[70:73], v[70:71], off
	global_load_b128 v[82:85], v[82:83], off
.LBB20_145:                             ;   in Loop: Header=BB20_111 Depth=2
	v_mov_b64_e32 v[102:103], 0
	v_mov_b64_e32 v[104:105], 0
	s_wait_xcnt 0x0
	s_and_saveexec_b32 s73, s72
	s_cbranch_execz .LBB20_147
; %bb.146:                              ;   in Loop: Header=BB20_111 Depth=2
	v_add_nc_u64_e32 v[4:5], v[246:247], v[186:187]
	global_load_b128 v[102:105], v[4:5], off
.LBB20_147:                             ;   in Loop: Header=BB20_111 Depth=2
	s_wait_xcnt 0x0
	s_or_b32 exec_lo, exec_lo, s73
	s_set_vgpr_msb 1                        ;  msbs: dst=0 src0=1 src1=0 src2=0
	ds_load_b128 v[106:109], v26 /*v282*/
	v_cmp_ne_u32_e32 vcc_lo, 1, v3
	s_and_b32 vcc_lo, exec_lo, vcc_lo
	s_wait_loadcnt_dscnt 0x0
	s_set_vgpr_msb 0                        ;  msbs: dst=0 src0=0 src1=0 src2=0
	v_mul_f64_e32 v[118:119], v[80:81], v[108:109]
	v_mul_f64_e32 v[4:5], v[80:81], v[106:107]
	;; [unrolled: 1-line block ×8, first 2 shown]
	v_fmac_f64_e32 v[118:119], v[78:79], v[106:107]
	v_fma_f64 v[120:121], v[78:79], v[108:109], -v[4:5]
	v_fmac_f64_e32 v[126:127], v[70:71], v[106:107]
	v_fma_f64 v[128:129], v[70:71], v[108:109], -v[110:111]
	;; [unrolled: 2-line block ×4, first 2 shown]
	s_set_vgpr_msb 1                        ;  msbs: dst=0 src0=1 src1=0 src2=0
	ds_load_b128 v[122:125], v8 /*v264*/ offset:512
	ds_load_b128 v[114:117], v8 /*v264*/ offset:528
	;; [unrolled: 1-line block ×4, first 2 shown]
	s_set_vgpr_msb 0                        ;  msbs: dst=0 src0=0 src1=0 src2=0
	v_add_nc_u64_e32 v[4:5], v[242:243], v[186:187]
	s_set_vgpr_msb 1                        ;  msbs: dst=0 src0=1 src1=0 src2=0
	ds_store_b128 v20 /*v276*/, v[118:121]
	ds_store_b128 v20 /*v276*/, v[126:129] offset:1072
	ds_store_b128 v20 /*v276*/, v[130:133] offset:2144
	;; [unrolled: 1-line block ×3, first 2 shown]
	s_wait_dscnt 0x0
	s_barrier_signal -1
	s_barrier_wait -1
	ds_load_b128 v[182:185], v9 /*v265*/
	ds_load_b128 v[178:181], v9 /*v265*/ offset:16
	ds_load_b128 v[174:177], v9 /*v265*/ offset:32
	;; [unrolled: 1-line block ×3, first 2 shown]
	s_wait_dscnt 0x0
	s_barrier_signal -1
	s_barrier_wait -1
	s_set_vgpr_msb 0                        ;  msbs: dst=0 src0=0 src1=0 src2=0
	s_cbranch_vccnz .LBB20_155
; %bb.148:                              ;   in Loop: Header=BB20_111 Depth=2
	v_mov_b64_e32 v[118:119], 0
	v_mov_b64_e32 v[126:127], 0
	;; [unrolled: 1-line block ×3, first 2 shown]
	s_mov_b32 s72, exec_lo
	s_set_vgpr_msb 4                        ;  msbs: dst=0 src0=0 src1=1 src2=0
	v_cmpx_gt_i32_e64 s71, v45 /*v301*/
	s_set_vgpr_msb 0                        ;  msbs: dst=0 src0=0 src1=0 src2=0
	s_cbranch_execz .LBB20_150
; %bb.149:                              ;   in Loop: Header=BB20_111 Depth=2
	global_load_b128 v[126:129], v[4:5], off
.LBB20_150:                             ;   in Loop: Header=BB20_111 Depth=2
	s_wait_xcnt 0x0
	s_or_b32 exec_lo, exec_lo, s72
	v_mov_b64_e32 v[120:121], 0
	s_mov_b32 s72, exec_lo
	s_set_vgpr_msb 4                        ;  msbs: dst=0 src0=0 src1=1 src2=0
	v_cmpx_gt_i32_e64 s71, v46 /*v302*/
	s_set_vgpr_msb 0                        ;  msbs: dst=0 src0=0 src1=0 src2=0
	s_cbranch_execz .LBB20_152
; %bb.151:                              ;   in Loop: Header=BB20_111 Depth=2
	v_add_nc_u64_e32 v[118:119], v[238:239], v[186:187]
	global_load_b128 v[118:121], v[118:119], off
.LBB20_152:                             ;   in Loop: Header=BB20_111 Depth=2
	s_wait_xcnt 0x0
	s_or_b32 exec_lo, exec_lo, s72
	v_mov_b64_e32 v[130:131], 0
	v_mov_b64_e32 v[132:133], 0
	s_mov_b32 s72, exec_lo
	s_set_vgpr_msb 4                        ;  msbs: dst=0 src0=0 src1=1 src2=0
	v_cmpx_gt_i32_e64 s71, v47 /*v303*/
	s_set_vgpr_msb 0                        ;  msbs: dst=0 src0=0 src1=0 src2=0
	s_cbranch_execz .LBB20_154
; %bb.153:                              ;   in Loop: Header=BB20_111 Depth=2
	v_add_nc_u64_e32 v[130:131], v[234:235], v[186:187]
	global_load_b128 v[130:133], v[130:131], off
.LBB20_154:                             ;   in Loop: Header=BB20_111 Depth=2
	s_wait_xcnt 0x0
	s_or_b32 exec_lo, exec_lo, s72
	s_set_vgpr_msb 4                        ;  msbs: dst=0 src0=0 src1=1 src2=0
	v_cmp_gt_i32_e64 s72, s71, v48 /*v304*/
	s_set_vgpr_msb 0                        ;  msbs: dst=0 src0=0 src1=0 src2=0
	s_branch .LBB20_157
.LBB20_155:                             ;   in Loop: Header=BB20_111 Depth=2
	s_mov_b32 s72, 0
                                        ; implicit-def: $vgpr132_vgpr133
                                        ; implicit-def: $vgpr120_vgpr121
                                        ; implicit-def: $vgpr128_vgpr129
	s_cbranch_execz .LBB20_157
; %bb.156:                              ;   in Loop: Header=BB20_111 Depth=2
	s_wait_loadcnt 0x0
	v_add_nc_u64_e32 v[118:119], v[238:239], v[186:187]
	v_add_nc_u64_e32 v[130:131], v[234:235], v[186:187]
	s_or_b32 s72, s72, exec_lo
	global_load_b128 v[126:129], v[4:5], off
	global_load_b128 v[118:121], v[118:119], off
	;; [unrolled: 1-line block ×3, first 2 shown]
.LBB20_157:                             ;   in Loop: Header=BB20_111 Depth=2
	v_mov_b64_e32 v[142:143], 0
	v_mov_b64_e32 v[144:145], 0
	s_wait_xcnt 0x0
	s_and_saveexec_b32 s73, s72
	s_cbranch_execz .LBB20_159
; %bb.158:                              ;   in Loop: Header=BB20_111 Depth=2
	v_add_nc_u64_e32 v[4:5], v[230:231], v[186:187]
	global_load_b128 v[142:145], v[4:5], off
.LBB20_159:                             ;   in Loop: Header=BB20_111 Depth=2
	s_wait_xcnt 0x0
	s_or_b32 exec_lo, exec_lo, s73
	s_set_vgpr_msb 1                        ;  msbs: dst=0 src0=1 src1=0 src2=0
	ds_load_b128 v[158:161], v26 /*v282*/
	ds_load_b128 v[154:157], v8 /*v264*/ offset:768
	v_add_f64_e32 v[150:151], 0, v[150:151]
	v_add_f64_e32 v[152:153], 0, v[152:153]
	s_set_vgpr_msb 4                        ;  msbs: dst=0 src0=0 src1=1 src2=0
	v_cmp_gt_i32_e32 vcc_lo, s71, v6 /*v262*/
	s_or_b32 s63, s63, vcc_lo
	s_delay_alu instid0(SALU_CYCLE_1)
	s_and_b32 s71, s18, s63
	s_wait_loadcnt_dscnt 0x1
	s_set_vgpr_msb 64                       ;  msbs: dst=1 src0=0 src1=0 src2=0
	v_mul_f64_e32 v[50:51] /*v[306:307]*/, v[128:129], v[160:161]
	s_set_vgpr_msb 0                        ;  msbs: dst=0 src0=0 src1=0 src2=0
	v_mul_f64_e32 v[4:5], v[128:129], v[158:159]
	s_set_vgpr_msb 64                       ;  msbs: dst=1 src0=0 src1=0 src2=0
	v_mul_f64_e32 v[54:55] /*v[310:311]*/, v[120:121], v[160:161]
	s_set_vgpr_msb 0                        ;  msbs: dst=0 src0=0 src1=0 src2=0
	v_mul_f64_e32 v[162:163], v[120:121], v[158:159]
	;; [unrolled: 4-line block ×4, first 2 shown]
	v_add_f64_e32 v[146:147], v[150:151], v[146:147]
	v_add_f64_e32 v[148:149], v[152:153], v[148:149]
	s_set_vgpr_msb 64                       ;  msbs: dst=1 src0=0 src1=0 src2=0
	v_fmac_f64_e32 v[50:51] /*v[306:307]*/, v[126:127], v[158:159]
	v_fma_f64 v[52:53] /*v[308:309]*/, v[126:127], v[160:161], -v[4:5]
	v_fmac_f64_e32 v[54:55] /*v[310:311]*/, v[118:119], v[158:159]
	v_fma_f64 v[56:57] /*v[312:313]*/, v[118:119], v[160:161], -v[162:163]
	;; [unrolled: 2-line block ×4, first 2 shown]
	s_set_vgpr_msb 1                        ;  msbs: dst=0 src0=1 src1=0 src2=0
	ds_load_b128 v[166:169], v8 /*v264*/ offset:784
	ds_load_b128 v[162:165], v8 /*v264*/ offset:800
	;; [unrolled: 1-line block ×3, first 2 shown]
	v_add_f64_e32 v[4:5], 0, v[182:183]
	v_add_f64_e32 v[182:183], 0, v[184:185]
	;; [unrolled: 1-line block ×3, first 2 shown]
	s_set_vgpr_msb 5                        ;  msbs: dst=0 src0=1 src1=1 src2=0
	ds_store_b128 v20 /*v276*/, v[50:53] /*v[306:309]*/
	ds_store_b128 v20 /*v276*/, v[54:57] /*v[310:313]*/ offset:1072
	ds_store_b128 v20 /*v276*/, v[58:61] /*v[314:317]*/ offset:2144
	;; [unrolled: 1-line block ×3, first 2 shown]
	s_wait_dscnt 0x0
	s_barrier_signal -1
	s_barrier_wait -1
	s_set_vgpr_msb 0x41                     ;  msbs: dst=1 src0=1 src1=0 src2=0
	ds_load_b128 v[50:53] /*v[306:309]*/, v9 /*v265*/
	v_add_f64_e32 v[54:55] /*v[310:311]*/, 0, v[100:101]
	s_set_vgpr_msb 1                        ;  msbs: dst=0 src0=1 src1=0 src2=0
	ds_load_b128 v[98:101], v9 /*v265*/ offset:16
	s_set_vgpr_msb 0                        ;  msbs: dst=0 src0=0 src1=0 src2=0
	v_add_f64_e32 v[150:151], v[184:185], v[94:95]
	v_add_f64_e32 v[4:5], v[4:5], v[178:179]
	;; [unrolled: 1-line block ×5, first 2 shown]
	s_wait_dscnt 0x1
	s_set_vgpr_msb 0x44                     ;  msbs: dst=1 src0=0 src1=1 src2=0
	v_add_f64_e32 v[50:51] /*v[306:307]*/, 0, v[50:51] /*v[306:307]*/
	v_add_f64_e32 v[52:53] /*v[308:309]*/, 0, v[52:53] /*v[308:309]*/
	s_set_vgpr_msb 1                        ;  msbs: dst=0 src0=1 src1=0 src2=0
	v_add_f64_e32 v[152:153], v[54:55] /*v[310:311]*/, v[96:97]
	ds_load_b128 v[94:97], v9 /*v265*/ offset:32
	s_set_vgpr_msb 0                        ;  msbs: dst=0 src0=0 src1=0 src2=0
	v_add_f64_e32 v[146:147], v[150:151], v[90:91]
	v_add_f64_e32 v[4:5], v[4:5], v[174:175]
	;; [unrolled: 1-line block ×3, first 2 shown]
	s_wait_dscnt 0x1
	s_set_vgpr_msb 1                        ;  msbs: dst=0 src0=1 src1=0 src2=0
	v_add_f64_e32 v[98:99], v[50:51] /*v[306:307]*/, v[98:99]
	v_add_f64_e32 v[100:101], v[52:53] /*v[308:309]*/, v[100:101]
	s_set_vgpr_msb 0                        ;  msbs: dst=0 src0=0 src1=0 src2=0
	v_add_f64_e32 v[148:149], v[152:153], v[92:93]
	s_set_vgpr_msb 1                        ;  msbs: dst=0 src0=1 src1=0 src2=0
	ds_load_b128 v[90:93], v9 /*v265*/ offset:48
	s_set_vgpr_msb 0                        ;  msbs: dst=0 src0=0 src1=0 src2=0
	v_add_f64_e32 v[86:87], v[146:147], v[86:87]
	s_wait_dscnt 0x0
	s_barrier_signal -1
	s_barrier_wait -1
	v_add_f64_e32 v[150:151], v[98:99], v[94:95]
	v_add_f64_e32 v[152:153], v[100:101], v[96:97]
	;; [unrolled: 1-line block ×9, first 2 shown]
	s_set_vgpr_msb 1                        ;  msbs: dst=0 src0=1 src1=0 src2=0
	ds_store_b128 v25 /*v281*/, v[86:89]
	ds_store_b128 v25 /*v281*/, v[98:101] offset:256
	ds_store_b128 v25 /*v281*/, v[94:97] offset:512
	;; [unrolled: 1-line block ×3, first 2 shown]
	s_wait_dscnt 0x0
	s_barrier_signal -1
	s_barrier_wait -1
	s_and_saveexec_b32 s63, s71
	s_set_vgpr_msb 0                        ;  msbs: dst=0 src0=0 src1=0 src2=0
	s_cbranch_execz .LBB20_161
; %bb.160:                              ;   in Loop: Header=BB20_111 Depth=2
	s_set_vgpr_msb 1                        ;  msbs: dst=0 src0=1 src1=0 src2=0
	ds_load_b128 v[86:89], v10 /*v266*/
	ds_load_b128 v[90:93], v10 /*v266*/ offset:16
	s_set_vgpr_msb 4                        ;  msbs: dst=0 src0=0 src1=1 src2=0
	v_add_nc_u32_e32 v3, s62, v6 /*v262*/
	s_wait_dscnt 0x0
	s_set_vgpr_msb 0                        ;  msbs: dst=0 src0=0 src1=0 src2=0
	v_add_f64_e32 v[4:5], v[90:91], v[86:87]
	v_add_f64_e32 v[94:95], v[92:93], v[88:89]
	s_set_vgpr_msb 1                        ;  msbs: dst=0 src0=1 src1=0 src2=0
	ds_load_b128 v[86:89], v10 /*v266*/ offset:32
	ds_load_b128 v[90:93], v10 /*v266*/ offset:48
	s_wait_dscnt 0x1
	s_set_vgpr_msb 0                        ;  msbs: dst=0 src0=0 src1=0 src2=0
	v_add_f64_e32 v[4:5], v[4:5], v[86:87]
	v_add_f64_e32 v[86:87], v[94:95], v[88:89]
	s_wait_dscnt 0x0
	s_delay_alu instid0(VALU_DEP_2) | instskip(NEXT) | instid1(VALU_DEP_2)
	v_add_f64_e32 v[4:5], v[4:5], v[90:91]
	v_add_f64_e32 v[94:95], v[86:87], v[92:93]
	s_set_vgpr_msb 1                        ;  msbs: dst=0 src0=1 src1=0 src2=0
	ds_load_b128 v[86:89], v10 /*v266*/ offset:64
	ds_load_b128 v[90:93], v10 /*v266*/ offset:80
	s_wait_dscnt 0x1
	s_set_vgpr_msb 0                        ;  msbs: dst=0 src0=0 src1=0 src2=0
	v_add_f64_e32 v[4:5], v[4:5], v[86:87]
	v_add_f64_e32 v[86:87], v[94:95], v[88:89]
	s_wait_dscnt 0x0
	s_delay_alu instid0(VALU_DEP_2) | instskip(NEXT) | instid1(VALU_DEP_2)
	;; [unrolled: 11-line block ×6, first 2 shown]
	v_add_f64_e32 v[4:5], v[4:5], v[90:91]
	v_add_f64_e32 v[94:95], v[86:87], v[92:93]
	s_set_vgpr_msb 1                        ;  msbs: dst=0 src0=1 src1=0 src2=0
	ds_load_b128 v[86:89], v10 /*v266*/ offset:224
	ds_load_b128 v[90:93], v11 /*v267*/
	s_wait_dscnt 0x1
	s_set_vgpr_msb 0                        ;  msbs: dst=0 src0=0 src1=0 src2=0
	v_add_f64_e32 v[4:5], v[4:5], v[86:87]
	v_add_f64_e32 v[88:89], v[94:95], v[88:89]
	s_wait_dscnt 0x0
	s_delay_alu instid0(VALU_DEP_2) | instskip(NEXT) | instid1(VALU_DEP_2)
	v_add_f64_e32 v[86:87], v[4:5], v[90:91]
	v_add_f64_e32 v[88:89], v[88:89], v[92:93]
	global_store_b128 v3, v[86:89], s[60:61] scale_offset
.LBB20_161:                             ;   in Loop: Header=BB20_111 Depth=2
	s_wait_xcnt 0x0
	s_or_b32 exec_lo, exec_lo, s63
	v_mul_f64_e32 v[4:5], v[16:17], v[28:29]
	v_mul_f64_e32 v[28:29], v[14:15], v[28:29]
	;; [unrolled: 1-line block ×4, first 2 shown]
	v_add_nc_u64_e32 v[228:229], s[40:41], v[228:229]
	v_add_nc_u64_e32 v[230:231], s[40:41], v[230:231]
	;; [unrolled: 1-line block ×14, first 2 shown]
	s_set_vgpr_msb 0x44                     ;  msbs: dst=1 src0=0 src1=1 src2=0
	v_add_nc_u64_e32 v[0:1] /*v[256:257]*/, s[40:41], v[0:1] /*v[256:257]*/
	v_add_nc_u64_e32 v[2:3] /*v[258:259]*/, s[40:41], v[2:3] /*v[258:259]*/
	s_add_co_i32 s63, s70, 1
	s_add_co_i32 s70, s70, 2
	;; [unrolled: 1-line block ×3, first 2 shown]
	s_cmp_ge_u32 s70, s24
	s_wait_storecnt 0x0
	s_barrier_signal -1
	s_barrier_wait -1
	s_set_vgpr_msb 0                        ;  msbs: dst=0 src0=0 src1=0 src2=0
	v_fma_f64 v[4:5], v[14:15], v[26:27], -v[4:5]
	v_fmac_f64_e32 v[28:29], v[16:17], v[26:27]
	v_mul_f64_e32 v[14:15], v[20:21], v[36:37]
	v_mul_f64_e32 v[16:17], v[18:19], v[36:37]
	v_fma_f64 v[10:11], v[10:11], v[38:39], -v[86:87]
	v_fmac_f64_e32 v[40:41], v[12:13], v[38:39]
	v_mul_f64_e32 v[12:13], v[22:23], v[32:33]
	v_add_f64_e32 v[4:5], v[6:7], v[4:5]
	v_add_f64_e32 v[6:7], v[8:9], v[28:29]
	v_mul_f64_e32 v[8:9], v[24:25], v[32:33]
	v_fma_f64 v[14:15], v[18:19], v[34:35], -v[14:15]
	v_fmac_f64_e32 v[16:17], v[20:21], v[34:35]
	v_mul_f64_e32 v[18:19], v[46:47], v[60:61]
	v_fmac_f64_e32 v[12:13], v[24:25], v[30:31]
	v_add_f64_e32 v[4:5], v[4:5], v[10:11]
	v_add_f64_e32 v[6:7], v[6:7], v[40:41]
	v_mul_f64_e32 v[10:11], v[48:49], v[60:61]
	v_fma_f64 v[8:9], v[22:23], v[30:31], -v[8:9]
	v_fmac_f64_e32 v[18:19], v[48:49], v[58:59]
	v_add_f64_e32 v[4:5], v[4:5], v[14:15]
	v_add_f64_e32 v[6:7], v[6:7], v[16:17]
	v_mul_f64_e32 v[14:15], v[44:45], v[76:77]
	v_mul_f64_e32 v[16:17], v[42:43], v[76:77]
	v_fma_f64 v[10:11], v[46:47], v[58:59], -v[10:11]
	v_add_f64_e32 v[4:5], v[4:5], v[8:9]
	v_add_f64_e32 v[6:7], v[6:7], v[12:13]
	v_mul_f64_e32 v[8:9], v[52:53], v[68:69]
	v_mul_f64_e32 v[12:13], v[50:51], v[68:69]
	v_fma_f64 v[14:15], v[42:43], v[74:75], -v[14:15]
	v_fmac_f64_e32 v[16:17], v[44:45], v[74:75]
	v_add_f64_e32 v[4:5], v[4:5], v[10:11]
	v_add_f64_e32 v[6:7], v[6:7], v[18:19]
	v_mul_f64_e32 v[10:11], v[56:57], v[64:65]
	v_mul_f64_e32 v[18:19], v[54:55], v[64:65]
	v_fma_f64 v[8:9], v[50:51], v[66:67], -v[8:9]
	v_fmac_f64_e32 v[12:13], v[52:53], v[66:67]
	;; [unrolled: 6-line block ×10, first 2 shown]
	v_add_f64_e32 v[4:5], v[4:5], v[10:11]
	v_add_f64_e32 v[6:7], v[6:7], v[18:19]
	v_fma_f64 v[8:9], v[142:143], v[158:159], -v[8:9]
	v_fmac_f64_e32 v[12:13], v[144:145], v[158:159]
	s_delay_alu instid0(VALU_DEP_4) | instskip(NEXT) | instid1(VALU_DEP_4)
	v_add_f64_e32 v[4:5], v[4:5], v[14:15]
	v_add_f64_e32 v[10:11], v[6:7], v[16:17]
	s_delay_alu instid0(VALU_DEP_2) | instskip(NEXT) | instid1(VALU_DEP_2)
	v_add_f64_e32 v[6:7], v[4:5], v[8:9]
	v_add_f64_e32 v[8:9], v[10:11], v[12:13]
	s_cbranch_scc1 .LBB20_163
; %bb.162:                              ;   in Loop: Header=BB20_111 Depth=2
	s_mov_b32 s70, s63
	s_delay_alu instid0(SALU_CYCLE_1)
	s_cmp_eq_u32 s27, s70
	s_cselect_b32 s71, s64, 0
	s_and_saveexec_b32 s72, s0
	s_cbranch_execnz .LBB20_107
	s_branch .LBB20_111
.LBB20_163:                             ;   in Loop: Header=BB20_4 Depth=1
	s_set_vgpr_msb 1                        ;  msbs: dst=0 src0=1 src1=0 src2=0
	ds_store_b128 v21 /*v277*/, v[6:9]
	s_wait_dscnt 0x0
	s_barrier_signal -1
	s_barrier_wait -1
	s_and_saveexec_b32 s62, s67
	s_set_vgpr_msb 0                        ;  msbs: dst=0 src0=0 src1=0 src2=0
	s_cbranch_execz .LBB20_2
; %bb.164:                              ;   in Loop: Header=BB20_4 Depth=1
	ds_load_b128 v[4:7], v186 offset:1072
	ds_load_b128 v[8:11], v186
	s_wait_dscnt 0x0
	v_add_f64_e32 v[12:13], v[4:5], v[8:9]
	v_add_f64_e32 v[14:15], v[6:7], v[10:11]
	ds_load_b128 v[4:7], v186 offset:2144
	ds_load_b128 v[8:11], v186 offset:3216
	s_wait_dscnt 0x1
	v_add_f64_e32 v[4:5], v[12:13], v[4:5]
	v_add_f64_e32 v[6:7], v[14:15], v[6:7]
	s_wait_dscnt 0x0
	s_delay_alu instid0(VALU_DEP_2) | instskip(NEXT) | instid1(VALU_DEP_2)
	v_add_f64_e32 v[4:5], v[4:5], v[8:9]
	v_add_f64_e32 v[6:7], v[6:7], v[10:11]
	v_lshl_add_u64 v[8:9], v[188:189], 4, s[60:61]
	global_store_b128 v[8:9], v[4:7], off
	s_branch .LBB20_2
.LBB20_165:                             ;   in Loop: Header=BB20_4 Depth=1
	s_set_vgpr_msb 1                        ;  msbs: dst=0 src0=1 src1=0 src2=0
	ds_load_b128 v[4:7], v13 /*v269*/
	s_mov_b32 s60, exec_lo
	s_wait_dscnt 0x0
	v_xor_b32_e32 v7, 0x80000000, v7
	ds_store_b64 v30 /*v286*/, v[4:5]
	s_or_saveexec_b32 s61, s61
	v_mov_b32_e32 v3, v30 /*v286*/
	s_xor_b32 exec_lo, exec_lo, s61
	s_set_vgpr_msb 0                        ;  msbs: dst=0 src0=0 src1=0 src2=0
	s_cbranch_execz .LBB20_33
.LBB20_166:                             ;   in Loop: Header=BB20_4 Depth=1
	v_mov_b64_e32 v[6:7], 0
	s_set_vgpr_msb 1                        ;  msbs: dst=0 src0=1 src1=0 src2=0
	v_mov_b32_e32 v3, v14 /*v270*/
	s_and_not1_b32 s60, s60, exec_lo
	s_and_b32 s62, s19, exec_lo
	s_delay_alu instid0(SALU_CYCLE_1)
	s_or_b32 s60, s60, s62
	s_or_b32 exec_lo, exec_lo, s61
	s_and_saveexec_b32 s61, s60
	s_set_vgpr_msb 0                        ;  msbs: dst=0 src0=0 src1=0 src2=0
	s_cbranch_execnz .LBB20_34
	s_branch .LBB20_35
.LBB20_167:                             ;   in Loop: Header=BB20_4 Depth=1
	s_set_vgpr_msb 1                        ;  msbs: dst=0 src0=1 src1=0 src2=0
	ds_load_b128 v[10:13], v13 /*v269*/
	s_mov_b32 s60, exec_lo
	s_wait_dscnt 0x0
	v_xor_b32_e32 v13, 0x80000000, v13
	ds_store_b64 v30 /*v286*/, v[10:11]
	s_or_saveexec_b32 s61, s61
	v_mov_b32_e32 v3, v30 /*v286*/
	s_xor_b32 exec_lo, exec_lo, s61
	s_set_vgpr_msb 0                        ;  msbs: dst=0 src0=0 src1=0 src2=0
	s_cbranch_execz .LBB20_71
.LBB20_168:                             ;   in Loop: Header=BB20_4 Depth=1
	v_mov_b64_e32 v[12:13], 0
	s_set_vgpr_msb 1                        ;  msbs: dst=0 src0=1 src1=0 src2=0
	v_mov_b32_e32 v3, v14 /*v270*/
	s_and_not1_b32 s60, s60, exec_lo
	s_and_b32 s62, s19, exec_lo
	s_delay_alu instid0(SALU_CYCLE_1)
	s_or_b32 s60, s60, s62
	s_or_b32 exec_lo, exec_lo, s61
	s_and_saveexec_b32 s61, s60
	s_set_vgpr_msb 0                        ;  msbs: dst=0 src0=0 src1=0 src2=0
	s_cbranch_execnz .LBB20_72
	s_branch .LBB20_73
.LBB20_169:                             ;   in Loop: Header=BB20_4 Depth=1
	global_load_b128 v[10:13], v[8:9], off
	s_wait_loadcnt 0x0
	s_set_vgpr_msb 1                        ;  msbs: dst=0 src0=1 src1=0 src2=0
	ds_store_2addr_b64 v7 /*v263*/, v[10:11], v[12:13] offset1:1
	s_wait_xcnt 0x0
	s_or_b32 exec_lo, exec_lo, s60
	s_and_saveexec_b32 s60, s3
	s_delay_alu instid0(SALU_CYCLE_1)
	s_xor_b32 s60, exec_lo, s60
	s_set_vgpr_msb 0                        ;  msbs: dst=0 src0=0 src1=0 src2=0
	s_cbranch_execz .LBB20_16
.LBB20_170:                             ;   in Loop: Header=BB20_4 Depth=1
	v_dual_mov_b32 v3, v2 :: v_dual_mov_b32 v4, v2
	v_mov_b32_e32 v5, v2
	s_set_vgpr_msb 1                        ;  msbs: dst=0 src0=1 src1=0 src2=0
	ds_store_b128 v27 /*v283*/, v[2:5]
	s_and_not1_saveexec_b32 s60, s60
	s_set_vgpr_msb 0                        ;  msbs: dst=0 src0=0 src1=0 src2=0
	s_cbranch_execz .LBB20_17
.LBB20_171:                             ;   in Loop: Header=BB20_4 Depth=1
	v_add_nc_u64_e32 v[4:5], s[36:37], v[8:9]
	global_load_b128 v[10:13], v[4:5], off
	s_wait_loadcnt 0x0
	s_set_vgpr_msb 1                        ;  msbs: dst=0 src0=1 src1=0 src2=0
	ds_store_2addr_b64 v27 /*v283*/, v[10:11], v[12:13] offset1:1
	s_wait_xcnt 0x0
	s_or_b32 exec_lo, exec_lo, s60
	s_and_saveexec_b32 s60, s8
	s_delay_alu instid0(SALU_CYCLE_1)
	s_xor_b32 s60, exec_lo, s60
	s_set_vgpr_msb 0                        ;  msbs: dst=0 src0=0 src1=0 src2=0
	s_cbranch_execz .LBB20_18
.LBB20_172:                             ;   in Loop: Header=BB20_4 Depth=1
	v_dual_mov_b32 v3, v2 :: v_dual_mov_b32 v4, v2
	v_mov_b32_e32 v5, v2
	s_set_vgpr_msb 1                        ;  msbs: dst=0 src0=1 src1=0 src2=0
	ds_store_b128 v28 /*v284*/, v[2:5]
	s_and_not1_saveexec_b32 s60, s60
	s_set_vgpr_msb 0                        ;  msbs: dst=0 src0=0 src1=0 src2=0
	s_cbranch_execz .LBB20_19
.LBB20_173:                             ;   in Loop: Header=BB20_4 Depth=1
	v_add_nc_u64_e32 v[4:5], s[38:39], v[8:9]
	global_load_b128 v[10:13], v[4:5], off
	s_wait_loadcnt 0x0
	s_set_vgpr_msb 1                        ;  msbs: dst=0 src0=1 src1=0 src2=0
	ds_store_2addr_b64 v28 /*v284*/, v[10:11], v[12:13] offset1:1
	s_wait_xcnt 0x0
	s_or_b32 exec_lo, exec_lo, s60
	s_and_saveexec_b32 s60, s9
	s_delay_alu instid0(SALU_CYCLE_1)
	s_xor_b32 s60, exec_lo, s60
	s_set_vgpr_msb 0                        ;  msbs: dst=0 src0=0 src1=0 src2=0
	s_cbranch_execz .LBB20_20
.LBB20_174:                             ;   in Loop: Header=BB20_4 Depth=1
	v_dual_mov_b32 v3, v2 :: v_dual_mov_b32 v4, v2
	v_mov_b32_e32 v5, v2
	s_set_vgpr_msb 1                        ;  msbs: dst=0 src0=1 src1=0 src2=0
	ds_store_b128 v29 /*v285*/, v[2:5]
	s_and_not1_saveexec_b32 s60, s60
	s_set_vgpr_msb 0                        ;  msbs: dst=0 src0=0 src1=0 src2=0
	s_cbranch_execnz .LBB20_21
	s_branch .LBB20_22
.LBB20_175:                             ;   in Loop: Header=BB20_4 Depth=1
	global_load_b128 v[16:19], v[14:15], off
	s_wait_loadcnt 0x0
	s_set_vgpr_msb 1                        ;  msbs: dst=0 src0=1 src1=0 src2=0
	ds_store_2addr_b64 v7 /*v263*/, v[16:17], v[18:19] offset1:1
	s_wait_xcnt 0x0
	s_or_b32 exec_lo, exec_lo, s60
	s_and_saveexec_b32 s60, s13
	s_delay_alu instid0(SALU_CYCLE_1)
	s_xor_b32 s60, exec_lo, s60
	s_set_vgpr_msb 0                        ;  msbs: dst=0 src0=0 src1=0 src2=0
	s_cbranch_execz .LBB20_54
.LBB20_176:                             ;   in Loop: Header=BB20_4 Depth=1
	v_dual_mov_b32 v3, v2 :: v_dual_mov_b32 v4, v2
	v_mov_b32_e32 v5, v2
	s_set_vgpr_msb 1                        ;  msbs: dst=0 src0=1 src1=0 src2=0
	ds_store_b128 v27 /*v283*/, v[2:5]
	s_and_not1_saveexec_b32 s60, s60
	s_set_vgpr_msb 0                        ;  msbs: dst=0 src0=0 src1=0 src2=0
	s_cbranch_execz .LBB20_55
.LBB20_177:                             ;   in Loop: Header=BB20_4 Depth=1
	v_add_nc_u64_e32 v[4:5], s[36:37], v[14:15]
	global_load_b128 v[16:19], v[4:5], off
	s_wait_loadcnt 0x0
	s_set_vgpr_msb 1                        ;  msbs: dst=0 src0=1 src1=0 src2=0
	ds_store_2addr_b64 v27 /*v283*/, v[16:17], v[18:19] offset1:1
	s_wait_xcnt 0x0
	s_or_b32 exec_lo, exec_lo, s60
	s_and_saveexec_b32 s60, s16
	s_delay_alu instid0(SALU_CYCLE_1)
	s_xor_b32 s60, exec_lo, s60
	s_set_vgpr_msb 0                        ;  msbs: dst=0 src0=0 src1=0 src2=0
	s_cbranch_execz .LBB20_56
.LBB20_178:                             ;   in Loop: Header=BB20_4 Depth=1
	v_dual_mov_b32 v3, v2 :: v_dual_mov_b32 v4, v2
	v_mov_b32_e32 v5, v2
	s_set_vgpr_msb 1                        ;  msbs: dst=0 src0=1 src1=0 src2=0
	ds_store_b128 v28 /*v284*/, v[2:5]
	s_and_not1_saveexec_b32 s60, s60
	s_set_vgpr_msb 0                        ;  msbs: dst=0 src0=0 src1=0 src2=0
	s_cbranch_execz .LBB20_57
.LBB20_179:                             ;   in Loop: Header=BB20_4 Depth=1
	v_add_nc_u64_e32 v[4:5], s[38:39], v[14:15]
	global_load_b128 v[16:19], v[4:5], off
	s_wait_loadcnt 0x0
	s_set_vgpr_msb 1                        ;  msbs: dst=0 src0=1 src1=0 src2=0
	ds_store_2addr_b64 v28 /*v284*/, v[16:17], v[18:19] offset1:1
	s_wait_xcnt 0x0
	s_or_b32 exec_lo, exec_lo, s60
	s_and_saveexec_b32 s60, s17
	s_delay_alu instid0(SALU_CYCLE_1)
	s_xor_b32 s60, exec_lo, s60
	s_set_vgpr_msb 0                        ;  msbs: dst=0 src0=0 src1=0 src2=0
	s_cbranch_execz .LBB20_58
.LBB20_180:                             ;   in Loop: Header=BB20_4 Depth=1
	v_dual_mov_b32 v3, v2 :: v_dual_mov_b32 v4, v2
	v_mov_b32_e32 v5, v2
	s_set_vgpr_msb 1                        ;  msbs: dst=0 src0=1 src1=0 src2=0
	ds_store_b128 v29 /*v285*/, v[2:5]
	s_and_not1_saveexec_b32 s60, s60
	s_set_vgpr_msb 0                        ;  msbs: dst=0 src0=0 src1=0 src2=0
	s_cbranch_execnz .LBB20_59
	s_branch .LBB20_60
.LBB20_181:                             ;   in Loop: Header=BB20_4 Depth=1
	global_load_b128 v[16:19], v[12:13], off
	s_wait_loadcnt 0x0
	s_set_vgpr_msb 1                        ;  msbs: dst=0 src0=1 src1=0 src2=0
	ds_store_2addr_b64 v7 /*v263*/, v[16:17], v[18:19] offset1:1
	s_wait_xcnt 0x0
	s_or_b32 exec_lo, exec_lo, s60
	s_and_saveexec_b32 s60, s13
	s_delay_alu instid0(SALU_CYCLE_1)
	s_xor_b32 s60, exec_lo, s60
	s_set_vgpr_msb 0                        ;  msbs: dst=0 src0=0 src1=0 src2=0
	s_cbranch_execz .LBB20_92
.LBB20_182:                             ;   in Loop: Header=BB20_4 Depth=1
	v_dual_mov_b32 v3, v2 :: v_dual_mov_b32 v4, v2
	v_mov_b32_e32 v5, v2
	s_set_vgpr_msb 1                        ;  msbs: dst=0 src0=1 src1=0 src2=0
	ds_store_b128 v27 /*v283*/, v[2:5]
	s_and_not1_saveexec_b32 s60, s60
	s_set_vgpr_msb 0                        ;  msbs: dst=0 src0=0 src1=0 src2=0
	s_cbranch_execz .LBB20_93
.LBB20_183:                             ;   in Loop: Header=BB20_4 Depth=1
	v_add_nc_u64_e32 v[4:5], s[36:37], v[12:13]
	global_load_b128 v[16:19], v[4:5], off
	s_wait_loadcnt 0x0
	s_set_vgpr_msb 1                        ;  msbs: dst=0 src0=1 src1=0 src2=0
	ds_store_2addr_b64 v27 /*v283*/, v[16:17], v[18:19] offset1:1
	s_wait_xcnt 0x0
	s_or_b32 exec_lo, exec_lo, s60
	s_and_saveexec_b32 s60, s16
	s_delay_alu instid0(SALU_CYCLE_1)
	s_xor_b32 s60, exec_lo, s60
	s_set_vgpr_msb 0                        ;  msbs: dst=0 src0=0 src1=0 src2=0
	s_cbranch_execz .LBB20_94
.LBB20_184:                             ;   in Loop: Header=BB20_4 Depth=1
	v_dual_mov_b32 v3, v2 :: v_dual_mov_b32 v4, v2
	v_mov_b32_e32 v5, v2
	s_set_vgpr_msb 1                        ;  msbs: dst=0 src0=1 src1=0 src2=0
	ds_store_b128 v28 /*v284*/, v[2:5]
	s_and_not1_saveexec_b32 s60, s60
	s_set_vgpr_msb 0                        ;  msbs: dst=0 src0=0 src1=0 src2=0
	s_cbranch_execz .LBB20_95
.LBB20_185:                             ;   in Loop: Header=BB20_4 Depth=1
	v_add_nc_u64_e32 v[4:5], s[38:39], v[12:13]
	global_load_b128 v[16:19], v[4:5], off
	s_wait_loadcnt 0x0
	s_set_vgpr_msb 1                        ;  msbs: dst=0 src0=1 src1=0 src2=0
	ds_store_2addr_b64 v28 /*v284*/, v[16:17], v[18:19] offset1:1
	s_wait_xcnt 0x0
	s_or_b32 exec_lo, exec_lo, s60
	s_and_saveexec_b32 s60, s17
	s_delay_alu instid0(SALU_CYCLE_1)
	s_xor_b32 s60, exec_lo, s60
	s_set_vgpr_msb 0                        ;  msbs: dst=0 src0=0 src1=0 src2=0
	s_cbranch_execz .LBB20_96
.LBB20_186:                             ;   in Loop: Header=BB20_4 Depth=1
	v_dual_mov_b32 v3, v2 :: v_dual_mov_b32 v4, v2
	v_mov_b32_e32 v5, v2
	s_set_vgpr_msb 1                        ;  msbs: dst=0 src0=1 src1=0 src2=0
	ds_store_b128 v29 /*v285*/, v[2:5]
	s_and_not1_saveexec_b32 s60, s60
	s_set_vgpr_msb 0                        ;  msbs: dst=0 src0=0 src1=0 src2=0
	s_cbranch_execnz .LBB20_97
	s_branch .LBB20_98
.LBB20_187:
	s_sendmsg sendmsg(MSG_DEALLOC_VGPRS)
	s_endpgm
	.section	.rodata,"a",@progbits
	.p2align	6, 0x0
	.amdhsa_kernel _ZL26rocblas_hemvn_kernel_upperILb1ELi64ELi4ELi33ELi32ELi16El19rocblas_complex_numIdEPKS1_PS1_EviT6_lT7_lT5_lS6_lS7_lS5_lT8_i
		.amdhsa_group_segment_fixed_size 19200
		.amdhsa_private_segment_fixed_size 0
		.amdhsa_kernarg_size 392
		.amdhsa_user_sgpr_count 2
		.amdhsa_user_sgpr_dispatch_ptr 0
		.amdhsa_user_sgpr_queue_ptr 0
		.amdhsa_user_sgpr_kernarg_segment_ptr 1
		.amdhsa_user_sgpr_dispatch_id 0
		.amdhsa_user_sgpr_kernarg_preload_length 0
		.amdhsa_user_sgpr_kernarg_preload_offset 0
		.amdhsa_user_sgpr_private_segment_size 0
		.amdhsa_wavefront_size32 1
		.amdhsa_uses_dynamic_stack 0
		.amdhsa_enable_private_segment 0
		.amdhsa_system_sgpr_workgroup_id_x 1
		.amdhsa_system_sgpr_workgroup_id_y 0
		.amdhsa_system_sgpr_workgroup_id_z 1
		.amdhsa_system_sgpr_workgroup_info 0
		.amdhsa_system_vgpr_workitem_id 1
		.amdhsa_next_free_vgpr 322
		.amdhsa_next_free_sgpr 76
		.amdhsa_named_barrier_count 0
		.amdhsa_reserve_vcc 1
		.amdhsa_float_round_mode_32 0
		.amdhsa_float_round_mode_16_64 0
		.amdhsa_float_denorm_mode_32 3
		.amdhsa_float_denorm_mode_16_64 3
		.amdhsa_fp16_overflow 0
		.amdhsa_memory_ordered 1
		.amdhsa_forward_progress 1
		.amdhsa_inst_pref_size 85
		.amdhsa_round_robin_scheduling 0
		.amdhsa_exception_fp_ieee_invalid_op 0
		.amdhsa_exception_fp_denorm_src 0
		.amdhsa_exception_fp_ieee_div_zero 0
		.amdhsa_exception_fp_ieee_overflow 0
		.amdhsa_exception_fp_ieee_underflow 0
		.amdhsa_exception_fp_ieee_inexact 0
		.amdhsa_exception_int_div_zero 0
	.end_amdhsa_kernel
	.section	.text._ZL26rocblas_hemvn_kernel_upperILb1ELi64ELi4ELi33ELi32ELi16El19rocblas_complex_numIdEPKS1_PS1_EviT6_lT7_lT5_lS6_lS7_lS5_lT8_i,"axG",@progbits,_ZL26rocblas_hemvn_kernel_upperILb1ELi64ELi4ELi33ELi32ELi16El19rocblas_complex_numIdEPKS1_PS1_EviT6_lT7_lT5_lS6_lS7_lS5_lT8_i,comdat
.Lfunc_end20:
	.size	_ZL26rocblas_hemvn_kernel_upperILb1ELi64ELi4ELi33ELi32ELi16El19rocblas_complex_numIdEPKS1_PS1_EviT6_lT7_lT5_lS6_lS7_lS5_lT8_i, .Lfunc_end20-_ZL26rocblas_hemvn_kernel_upperILb1ELi64ELi4ELi33ELi32ELi16El19rocblas_complex_numIdEPKS1_PS1_EviT6_lT7_lT5_lS6_lS7_lS5_lT8_i
                                        ; -- End function
	.set _ZL26rocblas_hemvn_kernel_upperILb1ELi64ELi4ELi33ELi32ELi16El19rocblas_complex_numIdEPKS1_PS1_EviT6_lT7_lT5_lS6_lS7_lS5_lT8_i.num_vgpr, 322
	.set _ZL26rocblas_hemvn_kernel_upperILb1ELi64ELi4ELi33ELi32ELi16El19rocblas_complex_numIdEPKS1_PS1_EviT6_lT7_lT5_lS6_lS7_lS5_lT8_i.num_agpr, 0
	.set _ZL26rocblas_hemvn_kernel_upperILb1ELi64ELi4ELi33ELi32ELi16El19rocblas_complex_numIdEPKS1_PS1_EviT6_lT7_lT5_lS6_lS7_lS5_lT8_i.numbered_sgpr, 76
	.set _ZL26rocblas_hemvn_kernel_upperILb1ELi64ELi4ELi33ELi32ELi16El19rocblas_complex_numIdEPKS1_PS1_EviT6_lT7_lT5_lS6_lS7_lS5_lT8_i.num_named_barrier, 0
	.set _ZL26rocblas_hemvn_kernel_upperILb1ELi64ELi4ELi33ELi32ELi16El19rocblas_complex_numIdEPKS1_PS1_EviT6_lT7_lT5_lS6_lS7_lS5_lT8_i.private_seg_size, 0
	.set _ZL26rocblas_hemvn_kernel_upperILb1ELi64ELi4ELi33ELi32ELi16El19rocblas_complex_numIdEPKS1_PS1_EviT6_lT7_lT5_lS6_lS7_lS5_lT8_i.uses_vcc, 1
	.set _ZL26rocblas_hemvn_kernel_upperILb1ELi64ELi4ELi33ELi32ELi16El19rocblas_complex_numIdEPKS1_PS1_EviT6_lT7_lT5_lS6_lS7_lS5_lT8_i.uses_flat_scratch, 0
	.set _ZL26rocblas_hemvn_kernel_upperILb1ELi64ELi4ELi33ELi32ELi16El19rocblas_complex_numIdEPKS1_PS1_EviT6_lT7_lT5_lS6_lS7_lS5_lT8_i.has_dyn_sized_stack, 0
	.set _ZL26rocblas_hemvn_kernel_upperILb1ELi64ELi4ELi33ELi32ELi16El19rocblas_complex_numIdEPKS1_PS1_EviT6_lT7_lT5_lS6_lS7_lS5_lT8_i.has_recursion, 0
	.set _ZL26rocblas_hemvn_kernel_upperILb1ELi64ELi4ELi33ELi32ELi16El19rocblas_complex_numIdEPKS1_PS1_EviT6_lT7_lT5_lS6_lS7_lS5_lT8_i.has_indirect_call, 0
	.section	.AMDGPU.csdata,"",@progbits
; Kernel info:
; codeLenInByte = 10784
; TotalNumSgprs: 78
; NumVgprs: 322
; ScratchSize: 0
; MemoryBound: 1
; FloatMode: 240
; IeeeMode: 1
; LDSByteSize: 19200 bytes/workgroup (compile time only)
; SGPRBlocks: 0
; VGPRBlocks: 20
; NumSGPRsForWavesPerEU: 78
; NumVGPRsForWavesPerEU: 322
; NamedBarCnt: 0
; Occupancy: 3
; WaveLimiterHint : 1
; COMPUTE_PGM_RSRC2:SCRATCH_EN: 0
; COMPUTE_PGM_RSRC2:USER_SGPR: 2
; COMPUTE_PGM_RSRC2:TRAP_HANDLER: 0
; COMPUTE_PGM_RSRC2:TGID_X_EN: 1
; COMPUTE_PGM_RSRC2:TGID_Y_EN: 0
; COMPUTE_PGM_RSRC2:TGID_Z_EN: 1
; COMPUTE_PGM_RSRC2:TIDIG_COMP_CNT: 1
	.section	.text._ZL36rocblas_hemvn_kernel_upper_block_sumILi64El19rocblas_complex_numIdEPS1_S1_EviT1_lS3_lT2_lT0_lPT3_i,"axG",@progbits,_ZL36rocblas_hemvn_kernel_upper_block_sumILi64El19rocblas_complex_numIdEPS1_S1_EviT1_lS3_lT2_lT0_lPT3_i,comdat
	.globl	_ZL36rocblas_hemvn_kernel_upper_block_sumILi64El19rocblas_complex_numIdEPS1_S1_EviT1_lS3_lT2_lT0_lPT3_i ; -- Begin function _ZL36rocblas_hemvn_kernel_upper_block_sumILi64El19rocblas_complex_numIdEPS1_S1_EviT1_lS3_lT2_lT0_lPT3_i
	.p2align	8
	.type	_ZL36rocblas_hemvn_kernel_upper_block_sumILi64El19rocblas_complex_numIdEPS1_S1_EviT1_lS3_lT2_lT0_lPT3_i,@function
_ZL36rocblas_hemvn_kernel_upper_block_sumILi64El19rocblas_complex_numIdEPS1_S1_EviT1_lS3_lT2_lT0_lPT3_i: ; @_ZL36rocblas_hemvn_kernel_upper_block_sumILi64El19rocblas_complex_numIdEPS1_S1_EviT1_lS3_lT2_lT0_lPT3_i
; %bb.0:
	s_load_b32 s3, s[0:1], 0x60
	s_bfe_u32 s2, ttmp6, 0x40014
	s_lshr_b32 s4, ttmp7, 16
	s_add_co_i32 s2, s2, 1
	s_bfe_u32 s6, ttmp6, 0x40008
	s_mul_i32 s5, s4, s2
	s_getreg_b32 s2, hwreg(HW_REG_IB_STS2, 6, 4)
	s_add_co_i32 s6, s6, s5
	s_cmp_eq_u32 s2, 0
	s_mov_b32 s21, 0
	s_cselect_b32 s20, s4, s6
	s_wait_kmcnt 0x0
	s_cmp_ge_u32 s20, s3
	s_cbranch_scc1 .LBB21_24
; %bb.1:
	s_clause 0x3
	s_load_b128 s[12:15], s[0:1], 0x8
	s_load_b32 s28, s[0:1], 0x0
	s_load_b128 s[16:19], s[0:1], 0x20
	s_load_b256 s[4:11], s[0:1], 0x40
	s_bfe_u32 s24, ttmp6, 0x4000c
	s_and_b32 s25, ttmp6, 15
	s_add_co_i32 s24, s24, 1
	s_delay_alu instid0(SALU_CYCLE_1) | instskip(NEXT) | instid1(SALU_CYCLE_1)
	s_mul_i32 s24, ttmp9, s24
	s_add_co_i32 s25, s25, s24
	s_wait_kmcnt 0x0
	v_cmp_neq_f64_e64 s22, s[12:13], 0
	v_cmp_neq_f64_e64 s23, s[14:15], 0
	s_lshl_b64 s[4:5], s[4:5], 4
	v_cmp_neq_f64_e64 s26, s[18:19], 0
	v_cmp_neq_f64_e64 s27, s[16:17], 0
	v_cmp_neq_f64_e64 s33, s[16:17], 1.0
	s_or_b32 s30, s22, s23
	s_delay_alu instid0(SALU_CYCLE_1)
	s_xor_b32 s22, s30, -1
	s_cmp_eq_u32 s2, 0
	s_cselect_b32 s31, ttmp9, s25
	s_load_b64 s[24:25], s[0:1], 0x38
	v_lshl_or_b32 v0, s31, 6, v0
	s_or_b32 s2, s27, s26
	s_ashr_i32 s29, s28, 31
	s_xor_b32 s23, s2, -1
	s_cmp_gt_i32 s31, -1
	v_ashrrev_i32_e32 v1, 31, v0
	v_cndmask_b32_e64 v10, 0, 1, s2
	v_cmp_gt_i32_e64 s2, s28, v0
	s_wait_xcnt 0x0
	s_add_nc_u64 s[0:1], s[0:1], 0x68
	v_mul_u64_e32 v[4:5], s[6:7], v[0:1]
	v_lshl_add_u64 v[2:3], v[0:1], 4, s[10:11]
	s_delay_alu instid0(VALU_DEP_1) | instskip(SKIP_4) | instid1(SALU_CYCLE_1)
	v_add_nc_u64_e32 v[6:7], 8, v[2:3]
	s_wait_kmcnt 0x0
	s_add_nc_u64 s[4:5], s[24:25], s[4:5]
	s_cselect_b32 s24, -1, 0
	s_or_b32 s6, s30, s33
	s_or_b32 s25, s6, s26
	s_add_co_i32 s26, s31, 1
	s_lshl_b64 s[6:7], s[28:29], 4
	s_branch .LBB21_4
.LBB21_2:                               ;   in Loop: Header=BB21_4 Depth=1
	s_wait_xcnt 0x0
	s_or_b32 exec_lo, exec_lo, s28
.LBB21_3:                               ;   in Loop: Header=BB21_4 Depth=1
	s_add_co_i32 s20, s20, 0x10000
	s_delay_alu instid0(SALU_CYCLE_1)
	s_cmp_lt_u32 s20, s3
	s_cbranch_scc0 .LBB21_24
.LBB21_4:                               ; =>This Loop Header: Depth=1
                                        ;     Child Loop BB21_15 Depth 2
	s_and_not1_b32 vcc_lo, exec_lo, s25
	s_cbranch_vccnz .LBB21_3
; %bb.5:                                ;   in Loop: Header=BB21_4 Depth=1
	s_mul_u64 s[10:11], s[8:9], s[20:21]
	s_and_not1_b32 vcc_lo, exec_lo, s22
	s_lshl_b64 s[10:11], s[10:11], 4
	s_delay_alu instid0(SALU_CYCLE_1)
	s_add_nc_u64 s[10:11], s[4:5], s[10:11]
	s_cbranch_vccnz .LBB21_10
; %bb.6:                                ;   in Loop: Header=BB21_4 Depth=1
	s_mov_b32 s28, 0
	s_mov_b32 s27, 0
                                        ; implicit-def: $vgpr2_vgpr3
	s_and_saveexec_b32 s29, s2
	s_cbranch_execz .LBB21_11
; %bb.7:                                ;   in Loop: Header=BB21_4 Depth=1
	v_mov_b64_e32 v[2:3], 0
	v_cmp_ne_u32_e32 vcc_lo, 1, v10
	v_mov_b64_e32 v[0:1], 0
	s_cbranch_vccnz .LBB21_9
; %bb.8:                                ;   in Loop: Header=BB21_4 Depth=1
	v_lshl_add_u64 v[0:1], v[4:5], 4, s[10:11]
	global_load_b128 v[12:15], v[0:1], off
	s_wait_loadcnt 0x0
	s_wait_xcnt 0x0
	v_mul_f64_e32 v[0:1], s[18:19], v[14:15]
	v_mul_f64_e32 v[2:3], s[16:17], v[14:15]
	s_delay_alu instid0(VALU_DEP_2) | instskip(NEXT) | instid1(VALU_DEP_2)
	v_fma_f64 v[0:1], s[16:17], v[12:13], -v[0:1]
	v_fmac_f64_e32 v[2:3], s[18:19], v[12:13]
.LBB21_9:                               ;   in Loop: Header=BB21_4 Depth=1
	s_mov_b32 s27, exec_lo
	s_or_b32 exec_lo, exec_lo, s29
	s_delay_alu instid0(SALU_CYCLE_1)
	s_and_b32 vcc_lo, exec_lo, s28
	s_cbranch_vccnz .LBB21_12
	s_branch .LBB21_22
.LBB21_10:                              ;   in Loop: Header=BB21_4 Depth=1
	s_mov_b32 s27, 0
                                        ; implicit-def: $vgpr2_vgpr3
	s_cbranch_execnz .LBB21_12
	s_branch .LBB21_22
.LBB21_11:                              ;   in Loop: Header=BB21_4 Depth=1
	s_or_b32 exec_lo, exec_lo, s29
	s_delay_alu instid0(SALU_CYCLE_1)
	s_and_b32 vcc_lo, exec_lo, s28
	s_cbranch_vccz .LBB21_22
.LBB21_12:                              ;   in Loop: Header=BB21_4 Depth=1
                                        ; implicit-def: $vgpr2_vgpr3
	s_and_saveexec_b32 s28, s2
	s_cbranch_execz .LBB21_21
; %bb.13:                               ;   in Loop: Header=BB21_4 Depth=1
	v_mov_b64_e32 v[0:1], 0
	v_mov_b64_e32 v[8:9], 0
	s_and_not1_b32 vcc_lo, exec_lo, s24
	s_cbranch_vccnz .LBB21_16
; %bb.14:                               ;   in Loop: Header=BB21_4 Depth=1
	s_load_b32 s30, s[0:1], 0x0
	s_mov_b32 s31, s21
	v_mov_b64_e32 v[0:1], 0
	v_mov_b64_e32 v[8:9], 0
	s_mov_b32 s29, s26
	s_wait_kmcnt 0x0
	s_mul_u64 s[30:31], s[6:7], s[30:31]
	s_delay_alu instid0(SALU_CYCLE_1) | instskip(NEXT) | instid1(VALU_DEP_1)
	v_mad_nc_u64_u32 v[2:3], s30, s20, v[6:7]
	v_mad_u32 v3, s31, s20, v3
.LBB21_15:                              ;   Parent Loop BB21_4 Depth=1
                                        ; =>  This Inner Loop Header: Depth=2
	global_load_b128 v[12:15], v[2:3], off offset:-8
	s_wait_xcnt 0x0
	v_add_nc_u64_e32 v[2:3], s[6:7], v[2:3]
	s_add_co_i32 s29, s29, -1
	s_delay_alu instid0(SALU_CYCLE_1)
	s_cmp_eq_u32 s29, 0
	s_wait_loadcnt 0x0
	v_add_f64_e32 v[8:9], v[8:9], v[12:13]
	v_add_f64_e32 v[0:1], v[0:1], v[14:15]
	s_cbranch_scc0 .LBB21_15
.LBB21_16:                              ;   in Loop: Header=BB21_4 Depth=1
	s_delay_alu instid0(VALU_DEP_1) | instskip(SKIP_3) | instid1(VALU_DEP_2)
	v_mul_f64_e32 v[12:13], s[14:15], v[0:1]
	v_mul_f64_e32 v[2:3], s[12:13], v[0:1]
	s_and_b32 vcc_lo, exec_lo, s23
	s_mov_b32 s29, -1
	v_fma_f64 v[0:1], s[12:13], v[8:9], -v[12:13]
	s_delay_alu instid0(VALU_DEP_2)
	v_fmac_f64_e32 v[2:3], s[14:15], v[8:9]
	s_cbranch_vccz .LBB21_18
; %bb.17:                               ;   in Loop: Header=BB21_4 Depth=1
	s_mov_b32 s29, 0
.LBB21_18:                              ;   in Loop: Header=BB21_4 Depth=1
	s_delay_alu instid0(SALU_CYCLE_1)
	s_and_not1_b32 vcc_lo, exec_lo, s29
	s_cbranch_vccnz .LBB21_20
; %bb.19:                               ;   in Loop: Header=BB21_4 Depth=1
	v_lshl_add_u64 v[8:9], v[4:5], 4, s[10:11]
	global_load_b128 v[12:15], v[8:9], off
	s_wait_loadcnt 0x0
	s_wait_xcnt 0x0
	v_mul_f64_e32 v[8:9], s[18:19], v[14:15]
	v_mul_f64_e32 v[14:15], s[16:17], v[14:15]
	s_delay_alu instid0(VALU_DEP_2) | instskip(NEXT) | instid1(VALU_DEP_2)
	v_fma_f64 v[8:9], s[16:17], v[12:13], -v[8:9]
	v_fmac_f64_e32 v[14:15], s[18:19], v[12:13]
	s_delay_alu instid0(VALU_DEP_2) | instskip(NEXT) | instid1(VALU_DEP_2)
	v_add_f64_e32 v[0:1], v[0:1], v[8:9]
	v_add_f64_e32 v[2:3], v[2:3], v[14:15]
.LBB21_20:                              ;   in Loop: Header=BB21_4 Depth=1
	s_or_b32 s27, s27, exec_lo
.LBB21_21:                              ;   in Loop: Header=BB21_4 Depth=1
	s_or_b32 exec_lo, exec_lo, s28
.LBB21_22:                              ;   in Loop: Header=BB21_4 Depth=1
	s_and_saveexec_b32 s28, s27
	s_cbranch_execz .LBB21_2
; %bb.23:                               ;   in Loop: Header=BB21_4 Depth=1
	s_delay_alu instid0(VALU_DEP_3)
	v_lshl_add_u64 v[8:9], v[4:5], 4, s[10:11]
	global_store_b128 v[8:9], v[0:3], off
	s_branch .LBB21_2
.LBB21_24:
	s_endpgm
	.section	.rodata,"a",@progbits
	.p2align	6, 0x0
	.amdhsa_kernel _ZL36rocblas_hemvn_kernel_upper_block_sumILi64El19rocblas_complex_numIdEPS1_S1_EviT1_lS3_lT2_lT0_lPT3_i
		.amdhsa_group_segment_fixed_size 0
		.amdhsa_private_segment_fixed_size 0
		.amdhsa_kernarg_size 360
		.amdhsa_user_sgpr_count 2
		.amdhsa_user_sgpr_dispatch_ptr 0
		.amdhsa_user_sgpr_queue_ptr 0
		.amdhsa_user_sgpr_kernarg_segment_ptr 1
		.amdhsa_user_sgpr_dispatch_id 0
		.amdhsa_user_sgpr_kernarg_preload_length 0
		.amdhsa_user_sgpr_kernarg_preload_offset 0
		.amdhsa_user_sgpr_private_segment_size 0
		.amdhsa_wavefront_size32 1
		.amdhsa_uses_dynamic_stack 0
		.amdhsa_enable_private_segment 0
		.amdhsa_system_sgpr_workgroup_id_x 1
		.amdhsa_system_sgpr_workgroup_id_y 0
		.amdhsa_system_sgpr_workgroup_id_z 1
		.amdhsa_system_sgpr_workgroup_info 0
		.amdhsa_system_vgpr_workitem_id 0
		.amdhsa_next_free_vgpr 16
		.amdhsa_next_free_sgpr 34
		.amdhsa_named_barrier_count 0
		.amdhsa_reserve_vcc 1
		.amdhsa_float_round_mode_32 0
		.amdhsa_float_round_mode_16_64 0
		.amdhsa_float_denorm_mode_32 3
		.amdhsa_float_denorm_mode_16_64 3
		.amdhsa_fp16_overflow 0
		.amdhsa_memory_ordered 1
		.amdhsa_forward_progress 1
		.amdhsa_inst_pref_size 7
		.amdhsa_round_robin_scheduling 0
		.amdhsa_exception_fp_ieee_invalid_op 0
		.amdhsa_exception_fp_denorm_src 0
		.amdhsa_exception_fp_ieee_div_zero 0
		.amdhsa_exception_fp_ieee_overflow 0
		.amdhsa_exception_fp_ieee_underflow 0
		.amdhsa_exception_fp_ieee_inexact 0
		.amdhsa_exception_int_div_zero 0
	.end_amdhsa_kernel
	.section	.text._ZL36rocblas_hemvn_kernel_upper_block_sumILi64El19rocblas_complex_numIdEPS1_S1_EviT1_lS3_lT2_lT0_lPT3_i,"axG",@progbits,_ZL36rocblas_hemvn_kernel_upper_block_sumILi64El19rocblas_complex_numIdEPS1_S1_EviT1_lS3_lT2_lT0_lPT3_i,comdat
.Lfunc_end21:
	.size	_ZL36rocblas_hemvn_kernel_upper_block_sumILi64El19rocblas_complex_numIdEPS1_S1_EviT1_lS3_lT2_lT0_lPT3_i, .Lfunc_end21-_ZL36rocblas_hemvn_kernel_upper_block_sumILi64El19rocblas_complex_numIdEPS1_S1_EviT1_lS3_lT2_lT0_lPT3_i
                                        ; -- End function
	.set _ZL36rocblas_hemvn_kernel_upper_block_sumILi64El19rocblas_complex_numIdEPS1_S1_EviT1_lS3_lT2_lT0_lPT3_i.num_vgpr, 16
	.set _ZL36rocblas_hemvn_kernel_upper_block_sumILi64El19rocblas_complex_numIdEPS1_S1_EviT1_lS3_lT2_lT0_lPT3_i.num_agpr, 0
	.set _ZL36rocblas_hemvn_kernel_upper_block_sumILi64El19rocblas_complex_numIdEPS1_S1_EviT1_lS3_lT2_lT0_lPT3_i.numbered_sgpr, 34
	.set _ZL36rocblas_hemvn_kernel_upper_block_sumILi64El19rocblas_complex_numIdEPS1_S1_EviT1_lS3_lT2_lT0_lPT3_i.num_named_barrier, 0
	.set _ZL36rocblas_hemvn_kernel_upper_block_sumILi64El19rocblas_complex_numIdEPS1_S1_EviT1_lS3_lT2_lT0_lPT3_i.private_seg_size, 0
	.set _ZL36rocblas_hemvn_kernel_upper_block_sumILi64El19rocblas_complex_numIdEPS1_S1_EviT1_lS3_lT2_lT0_lPT3_i.uses_vcc, 1
	.set _ZL36rocblas_hemvn_kernel_upper_block_sumILi64El19rocblas_complex_numIdEPS1_S1_EviT1_lS3_lT2_lT0_lPT3_i.uses_flat_scratch, 0
	.set _ZL36rocblas_hemvn_kernel_upper_block_sumILi64El19rocblas_complex_numIdEPS1_S1_EviT1_lS3_lT2_lT0_lPT3_i.has_dyn_sized_stack, 0
	.set _ZL36rocblas_hemvn_kernel_upper_block_sumILi64El19rocblas_complex_numIdEPS1_S1_EviT1_lS3_lT2_lT0_lPT3_i.has_recursion, 0
	.set _ZL36rocblas_hemvn_kernel_upper_block_sumILi64El19rocblas_complex_numIdEPS1_S1_EviT1_lS3_lT2_lT0_lPT3_i.has_indirect_call, 0
	.section	.AMDGPU.csdata,"",@progbits
; Kernel info:
; codeLenInByte = 804
; TotalNumSgprs: 36
; NumVgprs: 16
; ScratchSize: 0
; MemoryBound: 0
; FloatMode: 240
; IeeeMode: 1
; LDSByteSize: 0 bytes/workgroup (compile time only)
; SGPRBlocks: 0
; VGPRBlocks: 0
; NumSGPRsForWavesPerEU: 36
; NumVGPRsForWavesPerEU: 16
; NamedBarCnt: 0
; Occupancy: 16
; WaveLimiterHint : 0
; COMPUTE_PGM_RSRC2:SCRATCH_EN: 0
; COMPUTE_PGM_RSRC2:USER_SGPR: 2
; COMPUTE_PGM_RSRC2:TRAP_HANDLER: 0
; COMPUTE_PGM_RSRC2:TGID_X_EN: 1
; COMPUTE_PGM_RSRC2:TGID_Y_EN: 0
; COMPUTE_PGM_RSRC2:TGID_Z_EN: 1
; COMPUTE_PGM_RSRC2:TIDIG_COMP_CNT: 0
	.section	.text._ZL26rocblas_hemvn_kernel_upperILb1ELi64ELi4ELi33ELi32ELi16Ei19rocblas_complex_numIdEPKS1_PS1_EviT6_lT7_lT5_lS6_lS7_lS5_lT8_i,"axG",@progbits,_ZL26rocblas_hemvn_kernel_upperILb1ELi64ELi4ELi33ELi32ELi16Ei19rocblas_complex_numIdEPKS1_PS1_EviT6_lT7_lT5_lS6_lS7_lS5_lT8_i,comdat
	.globl	_ZL26rocblas_hemvn_kernel_upperILb1ELi64ELi4ELi33ELi32ELi16Ei19rocblas_complex_numIdEPKS1_PS1_EviT6_lT7_lT5_lS6_lS7_lS5_lT8_i ; -- Begin function _ZL26rocblas_hemvn_kernel_upperILb1ELi64ELi4ELi33ELi32ELi16Ei19rocblas_complex_numIdEPKS1_PS1_EviT6_lT7_lT5_lS6_lS7_lS5_lT8_i
	.p2align	8
	.type	_ZL26rocblas_hemvn_kernel_upperILb1ELi64ELi4ELi33ELi32ELi16Ei19rocblas_complex_numIdEPKS1_PS1_EviT6_lT7_lT5_lS6_lS7_lS5_lT8_i,@function
_ZL26rocblas_hemvn_kernel_upperILb1ELi64ELi4ELi33ELi32ELi16Ei19rocblas_complex_numIdEPKS1_PS1_EviT6_lT7_lT5_lS6_lS7_lS5_lT8_i: ; @_ZL26rocblas_hemvn_kernel_upperILb1ELi64ELi4ELi33ELi32ELi16Ei19rocblas_complex_numIdEPKS1_PS1_EviT6_lT7_lT5_lS6_lS7_lS5_lT8_i
; %bb.0:
	s_clause 0x1
	s_load_b64 s[2:3], s[0:1], 0x94
	s_load_b32 s33, s[0:1], 0x80
	s_bfe_u32 s4, ttmp6, 0x40014
	s_lshr_b32 s5, ttmp7, 16
	s_add_co_i32 s4, s4, 1
	s_bfe_u32 s6, ttmp6, 0x40008
	s_mul_i32 s4, s5, s4
	s_getreg_b32 s18, hwreg(HW_REG_IB_STS2, 6, 4)
	s_add_co_i32 s6, s6, s4
	s_mov_b32 s29, 0
	s_wait_kmcnt 0x0
	s_lshr_b32 s4, s2, 16
	s_and_b32 s2, s2, 0xffff
	s_and_b32 s3, s3, 0xffff
	s_mul_i32 s2, s4, s2
	s_cmp_eq_u32 s18, 0
	s_mul_i32 s2, s2, s3
	s_cselect_b32 s28, s5, s6
	s_cmp_lg_u32 s2, 0x100
	s_cselect_b32 s2, -1, 0
	s_cmp_ge_u32 s28, s33
	s_cselect_b32 s3, -1, 0
	s_delay_alu instid0(SALU_CYCLE_1) | instskip(NEXT) | instid1(SALU_CYCLE_1)
	s_or_b32 s2, s2, s3
	s_and_b32 vcc_lo, exec_lo, s2
	s_cbranch_vccnz .LBB22_187
; %bb.1:
	s_clause 0x6
	s_load_b128 s[12:15], s[0:1], 0x8
	s_load_b32 s2, s[0:1], 0x0
	s_load_b128 s[4:7], s[0:1], 0x20
	s_load_b32 s56, s[0:1], 0x30
	s_load_b128 s[24:27], s[0:1], 0x38
	s_load_b96 s[20:22], s[0:1], 0x48
	s_load_b64 s[16:17], s[0:1], 0x78
	s_add_nc_u64 s[34:35], s[0:1], 0x88
	s_clause 0x1
	s_load_b64 s[30:31], s[0:1], 0x58
	s_load_b128 s[8:11], s[0:1], 0x60
	v_bfe_u32 v1, v0, 10, 10
	s_wait_xcnt 0x0
	s_bfe_u32 s0, ttmp6, 0x4000c
	s_set_vgpr_msb 64                       ;  msbs: dst=1 src0=0 src1=0 src2=0
	v_and_b32_e32 v6 /*v262*/, 0x3ff, v0
	s_set_vgpr_msb 0                        ;  msbs: dst=0 src0=0 src1=0 src2=0
	v_and_b32_e32 v4, 31, v0
	s_load_b32 s34, s[34:35], 0x0
	v_lshlrev_b32_e32 v3, 6, v1
	s_add_co_i32 s0, s0, 1
	s_and_b32 s3, ttmp6, 15
	v_mov_b32_e32 v2, 0
	s_wait_xcnt 0x0
	s_mov_b32 s35, s29
	s_set_vgpr_msb 4                        ;  msbs: dst=0 src0=0 src1=1 src2=0
	v_add_nc_u32_e32 v10, v3, v6 /*v262*/
	s_set_vgpr_msb 0                        ;  msbs: dst=0 src0=0 src1=0 src2=0
	v_lshlrev_b32_e32 v12, 4, v4
	s_set_vgpr_msb 0x44                     ;  msbs: dst=1 src0=0 src1=1 src2=0
	v_lshlrev_b32_e32 v7 /*v263*/, 4, v6 /*v262*/
	s_set_vgpr_msb 64                       ;  msbs: dst=1 src0=0 src1=0 src2=0
	v_add_nc_u32_e32 v16 /*v272*/, 0x4300, v3
	s_wait_kmcnt 0x0
	s_ashr_i32 s57, s56, 31
	v_cmp_neq_f64_e64 s1, s[12:13], 0
	v_cmp_neq_f64_e64 s12, s[14:15], 0
	s_mul_i32 s13, ttmp9, s0
	s_set_vgpr_msb 0                        ;  msbs: dst=0 src0=0 src1=0 src2=0
	v_lshrrev_b32_e32 v11, 5, v10
	s_add_co_i32 s13, s3, s13
	s_ashr_i32 s3, s2, 31
	s_cmp_eq_u32 s18, 0
	v_cmp_neq_f64_e64 s60, s[10:11], 0
	s_cselect_b32 s36, ttmp9, s13
	v_mad_u32 v6, s56, v11, v4
	s_lshl_b32 s50, s36, 6
	s_lshr_b32 s11, s3, 26
	s_set_vgpr_msb 4                        ;  msbs: dst=0 src0=0 src1=1 src2=0
	v_dual_mov_b32 v5, v2 :: v_dual_add_nc_u32 v170, s50, v6 /*v262*/
	s_add_co_i32 s11, s2, s11
	s_add_co_i32 s10, s34, -1
	s_and_not1_b32 s11, s11, 63
	s_set_vgpr_msb 0                        ;  msbs: dst=0 src0=0 src1=0 src2=0
	v_mul_lo_u32 v8, s22, v170
	v_cmp_neq_f64_e64 s23, s[8:9], 1.0
	s_mul_u64 s[38:39], s[34:35], s[2:3]
	s_lshl_b64 s[8:9], s[20:21], 4
	s_lshl_b64 s[6:7], s[6:7], 4
	s_sub_co_i32 s35, s2, s11
	s_add_nc_u64 s[8:9], s[26:27], s[8:9]
	v_ashrrev_i32_e32 v7, 31, v6
	s_add_nc_u64 s[4:5], s[4:5], s[6:7]
	s_mul_i32 s6, s56, s50
	v_mul_u32_u24_e32 v18, 0x840, v11
	v_ashrrev_i32_e32 v9, 31, v8
	v_lshlrev_b64_e32 v[6:7], 4, v[6:7]
	s_set_vgpr_msb 64                       ;  msbs: dst=1 src0=0 src1=0 src2=0
	v_lshlrev_b32_e32 v14 /*v270*/, 2, v1
	s_set_vgpr_msb 0                        ;  msbs: dst=0 src0=0 src1=0 src2=0
	v_dual_add_nc_u32 v13, 24, v11 :: v_dual_lshlrev_b32 v14, 2, v11
	s_or_b32 s52, s1, s12
	s_cmp_eq_u32 s36, s10
	v_lshl_add_u64 v[172:173], v[8:9], 4, s[8:9]
	s_cselect_b32 s26, s35, 0
	s_set_vgpr_msb 64                       ;  msbs: dst=1 src0=0 src1=0 src2=0
	v_add_nc_u32_e32 v24 /*v280*/, v12, v18
	s_cmp_lg_u32 s26, 0
	s_set_vgpr_msb 0                        ;  msbs: dst=0 src0=0 src1=0 src2=0
	v_lshl_or_b32 v15, v4, 9, v12
	s_cselect_b32 s64, -1, 0
	s_cmp_eq_u32 s26, 0
	v_dual_lshlrev_b32 v16, 6, v11 :: v_dual_bitop2_b32 v17, 1, v14 bitop3:0x54
	s_cselect_b32 s10, -1, 0
	s_ashr_i32 s51, s50, 31
	s_ashr_i32 s7, s6, 31
	s_lshl_b64 s[8:9], s[50:51], 4
	s_ashr_i32 s37, s36, 31
	s_add_nc_u64 s[4:5], s[4:5], s[8:9]
	s_mul_u64 s[2:3], s[2:3], s[36:37]
	v_add_nc_u64_e32 v[8:9], s[4:5], v[6:7]
	s_lshl_b64 s[2:3], s[2:3], 4
	s_sub_co_i32 s19, s26, 32
	s_add_nc_u64 s[40:41], s[16:17], s[2:3]
	s_set_vgpr_msb 4                        ;  msbs: dst=0 src0=0 src1=1 src2=0
	v_cmp_gt_i32_e32 vcc_lo, s26, v6 /*v262*/
	s_set_vgpr_msb 0                        ;  msbs: dst=0 src0=0 src1=0 src2=0
	v_cmp_ge_u32_e64 s8, v14, v4
	v_mul_u32_u24_e32 v19, 0x210, v17
	v_lshl_add_u64 v[174:175], s[6:7], 4, v[8:9]
	v_dual_add_nc_u32 v8, 8, v11 :: v_dual_add_nc_u32 v9, 16, v11
	v_cmp_le_u32_e64 s6, v14, v4
	v_cmp_eq_u32_e64 s7, v14, v4
	v_cmp_eq_u32_e64 s9, v17, v4
	s_delay_alu instid0(VALU_DEP_4)
	v_cmp_le_i32_e64 s3, s26, v8
	v_cmp_le_i32_e64 s17, s19, v8
	s_set_vgpr_msb 20                       ;  msbs: dst=0 src0=0 src1=1 src2=1
	v_mad_u32 v8, s56, v14 /*v270*/, v6 /*v262*/
	s_set_vgpr_msb 0                        ;  msbs: dst=0 src0=0 src1=0 src2=0
	v_mul_u32_u24_e32 v17, 33, v4
	s_set_vgpr_msb 64                       ;  msbs: dst=1 src0=0 src1=0 src2=0
	v_add_nc_u32_e32 v10 /*v266*/, v15, v16
	s_set_vgpr_msb 0                        ;  msbs: dst=0 src0=0 src1=0 src2=0
	v_or_b32_e32 v15, 2, v14
	v_or_b32_e32 v14, 3, v14
	s_or_b32 s53, s10, vcc_lo
	v_cmp_le_i32_e64 s2, s26, v11
	s_set_vgpr_msb 64                       ;  msbs: dst=1 src0=0 src1=0 src2=0
	v_mad_u32_u24 v8 /*v264*/, 0x210, v11, v12
	v_cmp_le_i32_e64 s4, s26, v9
	v_cmp_le_i32_e64 s5, s26, v13
	;; [unrolled: 1-line block ×5, first 2 shown]
	v_cmp_eq_u32_e64 s20, 1, v11
	v_mul_i32_i24_e32 v15 /*v271*/, 0xffffffd0, v11
	s_set_vgpr_msb 0                        ;  msbs: dst=0 src0=0 src1=0 src2=0
	v_ashrrev_i32_e32 v9, 31, v8
	v_cmp_le_u32_e64 s10, v15, v4
	v_cmp_eq_u32_e64 s11, v15, v4
	v_lshlrev_b32_e32 v15, 4, v11
	v_cmp_le_u32_e64 s12, v14, v4
	v_cmp_eq_u32_e64 s13, v14, v4
	v_dual_lshrrev_b32 v11, 4, v10 :: v_dual_bitop2_b32 v14, 32, v4 bitop3:0x54
	v_and_b32_e32 v13, 15, v0
	v_dual_ashrrev_i32 v171, 31, v170 :: v_dual_bitop2_b32 v0, 48, v0 bitop3:0x40
	s_lshl_b32 s48, s56, 5
	v_cmp_eq_u32_e64 s0, 0, v1
	s_ashr_i32 s49, s48, 31
	v_lshlrev_b32_e32 v0, 4, v0
	v_cmp_gt_i32_e64 s15, s26, v14
	v_lshlrev_b32_e32 v14, 6, v11
	s_set_vgpr_msb 0x50                     ;  msbs: dst=1 src0=0 src1=0 src2=1
	v_mad_u32_u24 v17 /*v273*/, 0x10c0, v1, v7 /*v263*/
	v_mad_u32_u24 v21 /*v277*/, 0x430, v1, v7 /*v263*/
	s_set_vgpr_msb 64                       ;  msbs: dst=1 src0=0 src1=0 src2=0
	v_mad_u32_u24 v19 /*v275*/, 0x430, v13, v0
	s_set_vgpr_msb 0                        ;  msbs: dst=0 src0=0 src1=0 src2=0
	v_add_nc_u64_e32 v[0:1], s[48:49], v[8:9]
	s_lshl_b32 s42, s56, 3
	s_lshl_b32 s44, s56, 4
	s_mul_i32 s46, s56, 24
	s_mul_i32 s50, s22, s50
	s_add_co_i32 s61, s36, 1
	s_xor_b32 s37, s53, -1
	s_ashr_i32 s27, s26, 31
	s_ashr_i32 s43, s42, 31
	;; [unrolled: 1-line block ×5, first 2 shown]
	s_cmp_lt_u32 s61, s34
	v_cmp_gt_u32_e64 s14, 32, v10
	s_cselect_b32 s65, -1, 0
	s_lshl_b32 s54, s56, 1
	s_set_vgpr_msb 64                       ;  msbs: dst=1 src0=0 src1=0 src2=0
	v_mad_u32_u24 v18 /*v274*/, 0x430, v13, v14
	s_set_vgpr_msb 0                        ;  msbs: dst=0 src0=0 src1=0 src2=0
	v_mul_i32_i24_e32 v14, 0xffffffd0, v11
	v_cmp_gt_u32_e64 s21, 64, v10
	v_lshlrev_b64_e32 v[8:9], 4, v[8:9]
	v_lshlrev_b64_e32 v[10:11], 4, v[0:1]
	s_mul_i32 s58, s56, 3
	s_ashr_i32 s55, s54, 31
	s_lshl_b32 s67, s22, 6
	s_ashr_i32 s59, s58, 31
	s_or_b32 s69, s52, s23
	s_lshl_b64 s[70:71], s[48:49], 4
	s_mul_i32 s61, s22, s61
	s_mul_u64 s[22:23], s[44:45], 48
	s_lshl_b64 s[72:73], s[56:57], 5
	s_lshl_b64 s[74:75], s[54:55], 4
	;; [unrolled: 1-line block ×3, first 2 shown]
	s_add_nc_u64 s[22:23], s[22:23], s[72:73]
	s_add_nc_u64 s[54:55], s[70:71], s[74:75]
	s_lshl_b64 s[58:59], s[58:59], 4
	v_add_nc_u64_e32 v[178:179], s[22:23], v[10:11]
	s_add_nc_u64 s[22:23], s[62:63], s[70:71]
	v_add_nc_u64_e32 v[182:183], s[54:55], v[8:9]
	s_add_nc_u64 s[54:55], s[72:73], s[70:71]
	s_lshl_b64 s[72:73], s[44:45], 4
	s_add_nc_u64 s[76:77], s[70:71], s[58:59]
	v_add_nc_u64_e32 v[180:181], s[22:23], v[8:9]
	v_mad_nc_i64_i32 v[184:185], s44, 48, v[10:11]
	v_add_nc_u64_e32 v[186:187], s[76:77], v[8:9]
	s_add_nc_u64 s[22:23], s[22:23], s[72:73]
	s_lshl_b64 s[76:77], s[44:45], 5
	s_add_nc_u64 s[78:79], s[70:71], s[72:73]
	v_add_nc_u64_e32 v[190:191], s[22:23], v[8:9]
	s_add_nc_u64 s[22:23], s[54:55], s[76:77]
	v_add_nc_u64_e32 v[188:189], s[78:79], v[8:9]
	;; [unrolled: 2-line block ×3, first 2 shown]
	s_add_nc_u64 s[22:23], s[76:77], s[70:71]
	s_add_nc_u64 s[78:79], s[78:79], s[58:59]
	v_add_nc_u64_e32 v[0:1], s[70:71], v[8:9]
	v_add_nc_u64_e32 v[194:195], s[80:81], v[8:9]
	;; [unrolled: 1-line block ×4, first 2 shown]
	s_set_vgpr_msb 64                       ;  msbs: dst=1 src0=0 src1=0 src2=0
	v_lshlrev_b32_e32 v11 /*v267*/, 4, v17
	s_set_vgpr_msb 4                        ;  msbs: dst=0 src0=0 src1=1 src2=0
	v_or_b32_e32 v3, 0xf0, v7 /*v263*/
	s_add_nc_u64 s[70:71], s[22:23], s[58:59]
	s_add_nc_u64 s[76:77], s[22:23], s[74:75]
	;; [unrolled: 1-line block ×4, first 2 shown]
	s_set_vgpr_msb 0                        ;  msbs: dst=0 src0=0 src1=0 src2=0
	v_sub_nc_u64_e32 v[176:177], 0, v[6:7]
	v_add_nc_u64_e32 v[200:201], s[54:55], v[8:9]
	v_add_nc_u64_e32 v[202:203], s[70:71], v[8:9]
	;; [unrolled: 1-line block ×5, first 2 shown]
	v_sub_nc_u64_e32 v[210:211], 0, v[4:5]
	v_add_nc_u64_e32 v[214:215], s[58:59], v[184:185]
	v_add_nc_u64_e32 v[216:217], s[74:75], v[184:185]
	;; [unrolled: 1-line block ×3, first 2 shown]
	v_cmp_gt_i32_e64 s1, s26, v4
	s_set_vgpr_msb 0x41                     ;  msbs: dst=1 src0=1 src1=0 src2=0
	v_mad_u32_u24 v9 /*v265*/, 0x210, v4, v12
	v_add_nc_u32_e32 v12 /*v268*/, 0x4700, v16
	v_dual_add_nc_u32 v13 /*v269*/, v11 /*v267*/, v15 :: v_dual_add_nc_u32 v26 /*v282*/, v18 /*v274*/, v14
	v_mad_u32_u24 v20 /*v276*/, 0x430, v13, v3
	v_cndmask_b32_e64 v22 /*v278*/, 0, 1, s52
	v_add_nc_u32_e32 v23 /*v279*/, 0x4700, v15
	s_set_vgpr_msb 0                        ;  msbs: dst=0 src0=0 src1=0 src2=0
	v_or_b32_e32 v0, 8, v0
	v_or_b32_e32 v178, 8, v178
	;; [unrolled: 1-line block ×3, first 2 shown]
	v_dual_lshlrev_b32 v212, 4, v4 :: v_dual_bitop2_b32 v182, 8, v182 bitop3:0x54
	v_or_b32_e32 v186, 8, v186
	v_or_b32_e32 v188, 8, v188
	;; [unrolled: 1-line block ×5, first 2 shown]
	s_set_vgpr_msb 64                       ;  msbs: dst=1 src0=0 src1=0 src2=0
	v_dual_add_nc_u32 v25 /*v281*/, v12, v19 :: v_dual_add_nc_u32 v50 /*v306*/, 64, v170
	s_set_vgpr_msb 0                        ;  msbs: dst=0 src0=0 src1=0 src2=0
	v_or_b32_e32 v196, 8, v196
	v_or_b32_e32 v198, 8, v198
	s_set_vgpr_msb 0x44                     ;  msbs: dst=1 src0=0 src1=1 src2=0
	v_add_nc_u32_e32 v27 /*v283*/, 0x4700, v7 /*v263*/
	v_add_nc_u32_e32 v28 /*v284*/, 0x1080, v8 /*v264*/
	;; [unrolled: 1-line block ×4, first 2 shown]
	v_dual_add_nc_u32 v31 /*v287*/, 16, v10 /*v266*/ :: v_dual_add_nc_u32 v32 /*v288*/, 32, v10 /*v266*/
	v_add_nc_u32_e32 v33 /*v289*/, 48, v10 /*v266*/
	v_add_nc_u32_e32 v34 /*v290*/, 0x4300, v7 /*v263*/
	v_dual_add_nc_u32 v38 /*v294*/, 16, v14 /*v270*/ :: v_dual_bitop2_b32 v35 /*v291*/, 1, v14 /*v270*/ bitop3:0x54
	v_dual_add_nc_u32 v39 /*v295*/, 17, v14 /*v270*/ :: v_dual_bitop2_b32 v36 /*v292*/, 2, v14 /*v270*/ bitop3:0x54
	;; [unrolled: 1-line block ×3, first 2 shown]
	v_dual_add_nc_u32 v41 /*v297*/, 19, v14 /*v270*/ :: v_dual_add_nc_u32 v42 /*v298*/, 32, v14 /*v270*/
	v_dual_add_nc_u32 v43 /*v299*/, 33, v14 /*v270*/ :: v_dual_add_nc_u32 v44 /*v300*/, 34, v14 /*v270*/
	;; [unrolled: 1-line block ×4, first 2 shown]
	v_add_nc_u32_e32 v49 /*v305*/, 51, v14 /*v270*/
	s_sub_nc_u64 s[50:51], 0, s[50:51]
	s_add_co_i32 s66, s34, -2
	s_and_b32 s68, s0, s53
	s_sub_nc_u64 s[52:53], 0, s[26:27]
	s_mov_b64 s[22:23], 0xfffffffffffffe00
	s_mov_b64 s[54:55], 0xfffffffffffffdf0
	s_or_b32 s69, s69, s60
	s_lshl_b64 s[56:57], s[56:57], 7
	s_lshl_b32 s70, s61, 6
	s_lshl_b64 s[58:59], s[44:45], 6
	s_set_vgpr_msb 0                        ;  msbs: dst=0 src0=0 src1=0 src2=0
	s_branch .LBB22_4
.LBB22_2:                               ;   in Loop: Header=BB22_4 Depth=1
	s_wait_xcnt 0x0
	s_or_b32 exec_lo, exec_lo, s62
.LBB22_3:                               ;   in Loop: Header=BB22_4 Depth=1
	s_add_co_i32 s28, s28, 0x10000
	s_delay_alu instid0(SALU_CYCLE_1)
	s_cmp_lt_u32 s28, s33
	s_cbranch_scc0 .LBB22_187
.LBB22_4:                               ; =>This Loop Header: Depth=1
                                        ;     Child Loop BB22_111 Depth 2
	s_and_not1_b32 vcc_lo, exec_lo, s69
	s_cbranch_vccnz .LBB22_3
; %bb.5:                                ;   in Loop: Header=BB22_4 Depth=1
	s_set_vgpr_msb 4                        ;  msbs: dst=0 src0=0 src1=1 src2=0
	v_cmp_ne_u32_e32 vcc_lo, 1, v22 /*v278*/
	s_set_vgpr_msb 0                        ;  msbs: dst=0 src0=0 src1=0 src2=0
	s_cbranch_vccnz .LBB22_3
; %bb.6:                                ;   in Loop: Header=BB22_4 Depth=1
	s_mul_u64 s[60:61], s[30:31], s[28:29]
	s_delay_alu instid0(SALU_CYCLE_1)
	v_lshl_add_u64 v[42:43], s[60:61], 4, v[172:173]
	s_and_saveexec_b32 s60, s0
	s_cbranch_execz .LBB22_11
; %bb.7:                                ;   in Loop: Header=BB22_4 Depth=1
	s_and_saveexec_b32 s61, s37
	s_delay_alu instid0(SALU_CYCLE_1)
	s_xor_b32 s61, exec_lo, s61
; %bb.8:                                ;   in Loop: Header=BB22_4 Depth=1
	v_dual_mov_b32 v3, v2 :: v_dual_mov_b32 v4, v2
	v_mov_b32_e32 v5, v2
	s_set_vgpr_msb 1                        ;  msbs: dst=0 src0=1 src1=0 src2=0
	ds_store_b128 v27 /*v283*/, v[2:5]
; %bb.9:                                ;   in Loop: Header=BB22_4 Depth=1
	s_and_not1_saveexec_b32 s61, s61
	s_set_vgpr_msb 0                        ;  msbs: dst=0 src0=0 src1=0 src2=0
	s_cbranch_execz .LBB22_11
; %bb.10:                               ;   in Loop: Header=BB22_4 Depth=1
	global_load_b128 v[4:7], v[42:43], off
	s_wait_loadcnt 0x0
	s_set_vgpr_msb 1                        ;  msbs: dst=0 src0=1 src1=0 src2=0
	ds_store_2addr_b64 v27 /*v283*/, v[4:5], v[6:7] offset1:1
.LBB22_11:                              ;   in Loop: Header=BB22_4 Depth=1
	s_wait_xcnt 0x0
	s_or_b32 exec_lo, exec_lo, s60
	s_mul_u64 s[60:61], s[24:25], s[28:29]
	s_and_b32 vcc_lo, exec_lo, s64
	s_set_vgpr_msb 0                        ;  msbs: dst=0 src0=0 src1=0 src2=0
	v_lshl_add_u64 v[6:7], s[60:61], 4, v[174:175]
	s_mov_b32 s60, -1
                                        ; implicit-def: $vgpr10_vgpr11
	s_cbranch_vccz .LBB22_23
; %bb.12:                               ;   in Loop: Header=BB22_4 Depth=1
	s_and_saveexec_b32 s60, s2
	s_delay_alu instid0(SALU_CYCLE_1)
	s_xor_b32 s60, exec_lo, s60
; %bb.13:                               ;   in Loop: Header=BB22_4 Depth=1
	v_dual_mov_b32 v3, v2 :: v_dual_mov_b32 v4, v2
	v_mov_b32_e32 v5, v2
	s_set_vgpr_msb 1                        ;  msbs: dst=0 src0=1 src1=0 src2=0
	ds_store_b128 v8 /*v264*/, v[2:5]
; %bb.14:                               ;   in Loop: Header=BB22_4 Depth=1
	s_or_saveexec_b32 s60, s60
	s_set_vgpr_msb 0                        ;  msbs: dst=0 src0=0 src1=0 src2=0
	v_lshl_add_u64 v[4:5], v[210:211], 4, v[6:7]
	s_delay_alu instid0(VALU_DEP_1) | instskip(NEXT) | instid1(VALU_DEP_1)
	v_lshl_add_u64 v[4:5], s[26:27], 4, v[4:5]
	v_add_nc_u64_e32 v[4:5], -16, v[4:5]
	s_delay_alu instid0(VALU_DEP_1)
	v_dual_cndmask_b32 v9, v5, v7, s1 :: v_dual_cndmask_b32 v8, v4, v6, s1
	s_xor_b32 exec_lo, exec_lo, s60
	s_cbranch_execnz .LBB22_169
; %bb.15:                               ;   in Loop: Header=BB22_4 Depth=1
	s_or_b32 exec_lo, exec_lo, s60
	s_and_saveexec_b32 s60, s3
	s_delay_alu instid0(SALU_CYCLE_1)
	s_xor_b32 s60, exec_lo, s60
	s_cbranch_execnz .LBB22_170
.LBB22_16:                              ;   in Loop: Header=BB22_4 Depth=1
	s_and_not1_saveexec_b32 s60, s60
	s_cbranch_execnz .LBB22_171
.LBB22_17:                              ;   in Loop: Header=BB22_4 Depth=1
	s_or_b32 exec_lo, exec_lo, s60
	s_and_saveexec_b32 s60, s4
	s_delay_alu instid0(SALU_CYCLE_1)
	s_xor_b32 s60, exec_lo, s60
	s_cbranch_execnz .LBB22_172
.LBB22_18:                              ;   in Loop: Header=BB22_4 Depth=1
	s_and_not1_saveexec_b32 s60, s60
	s_cbranch_execnz .LBB22_173
.LBB22_19:                              ;   in Loop: Header=BB22_4 Depth=1
	s_or_b32 exec_lo, exec_lo, s60
	s_and_saveexec_b32 s60, s5
	s_delay_alu instid0(SALU_CYCLE_1)
	s_xor_b32 s60, exec_lo, s60
	s_cbranch_execnz .LBB22_174
.LBB22_20:                              ;   in Loop: Header=BB22_4 Depth=1
	s_and_not1_saveexec_b32 s60, s60
	s_cbranch_execz .LBB22_22
.LBB22_21:                              ;   in Loop: Header=BB22_4 Depth=1
	v_lshl_add_u64 v[4:5], s[46:47], 4, v[8:9]
	global_load_b128 v[10:13], v[4:5], off
	s_wait_loadcnt 0x0
	s_set_vgpr_msb 1                        ;  msbs: dst=0 src0=1 src1=0 src2=0
	ds_store_2addr_b64 v30 /*v286*/, v[10:11], v[12:13] offset1:1
.LBB22_22:                              ;   in Loop: Header=BB22_4 Depth=1
	s_wait_xcnt 0x0
	s_or_b32 exec_lo, exec_lo, s60
	s_set_vgpr_msb 0                        ;  msbs: dst=0 src0=0 src1=0 src2=0
	v_mov_b32_e32 v213, v2
	s_mov_b32 s60, 0
	s_delay_alu instid0(VALU_DEP_1) | instskip(NEXT) | instid1(VALU_DEP_1)
	v_add_nc_u64_e32 v[4:5], v[8:9], v[212:213]
	v_lshl_add_u64 v[4:5], s[52:53], 4, v[4:5]
	s_delay_alu instid0(VALU_DEP_1) | instskip(NEXT) | instid1(VALU_DEP_1)
	v_add_nc_u64_e32 v[4:5], 16, v[4:5]
	v_dual_cndmask_b32 v11, v5, v7, s1 :: v_dual_cndmask_b32 v10, v4, v6, s1
.LBB22_23:                              ;   in Loop: Header=BB22_4 Depth=1
	s_and_b32 vcc_lo, exec_lo, s60
	s_cbranch_vccz .LBB22_25
; %bb.24:                               ;   in Loop: Header=BB22_4 Depth=1
	v_lshl_add_u64 v[4:5], s[42:43], 4, v[6:7]
	s_delay_alu instid0(VALU_DEP_1) | instskip(NEXT) | instid1(VALU_DEP_1)
	v_add_nc_u64_e32 v[8:9], s[56:57], v[4:5]
	v_add_nc_u64_e32 v[10:11], s[56:57], v[8:9]
	s_clause 0x3
	global_load_b128 v[12:15], v[6:7], off
	global_load_b128 v[16:19], v[4:5], off
	;; [unrolled: 1-line block ×4, first 2 shown]
	s_wait_xcnt 0x0
	v_mov_b64_e32 v[10:11], v[6:7]
	s_wait_loadcnt 0x3
	s_set_vgpr_msb 1                        ;  msbs: dst=0 src0=1 src1=0 src2=0
	ds_store_2addr_b64 v8 /*v264*/, v[12:13], v[14:15] offset1:1
	s_wait_loadcnt 0x2
	ds_store_2addr_b64 v28 /*v284*/, v[16:17], v[18:19] offset1:1
	s_wait_loadcnt 0x1
	;; [unrolled: 2-line block ×3, first 2 shown]
	ds_store_2addr_b64 v30 /*v286*/, v[24:25], v[26:27] offset1:1
.LBB22_25:                              ;   in Loop: Header=BB22_4 Depth=1
	s_mov_b32 s60, 0
	s_wait_dscnt 0x0
	s_barrier_signal -1
	s_barrier_wait -1
	s_and_saveexec_b32 s61, s6
	s_delay_alu instid0(SALU_CYCLE_1)
	s_xor_b32 s61, exec_lo, s61
; %bb.26:                               ;   in Loop: Header=BB22_4 Depth=1
	s_and_b32 s60, s7, exec_lo
; %bb.27:                               ;   in Loop: Header=BB22_4 Depth=1
	s_or_saveexec_b32 s61, s61
	s_set_vgpr_msb 1                        ;  msbs: dst=0 src0=1 src1=0 src2=0
	v_mov_b64_e32 v[6:7], 0
	v_mov_b32_e32 v3, v9 /*v265*/
	s_xor_b32 exec_lo, exec_lo, s61
	s_set_vgpr_msb 0                        ;  msbs: dst=0 src0=0 src1=0 src2=0
	s_cbranch_execz .LBB22_29
; %bb.28:                               ;   in Loop: Header=BB22_4 Depth=1
	s_set_vgpr_msb 1                        ;  msbs: dst=0 src0=1 src1=0 src2=0
	ds_load_b128 v[4:7], v24 /*v280*/
	v_mov_b32_e32 v3, v10 /*v266*/
	s_or_b32 s60, s60, exec_lo
	s_wait_dscnt 0x0
	v_xor_b32_e32 v7, 0x80000000, v7
	ds_store_b64 v10 /*v266*/, v[4:5]
.LBB22_29:                              ;   in Loop: Header=BB22_4 Depth=1
	s_or_b32 exec_lo, exec_lo, s61
	s_and_saveexec_b32 s61, s60
; %bb.30:                               ;   in Loop: Header=BB22_4 Depth=1
	s_set_vgpr_msb 0                        ;  msbs: dst=0 src0=0 src1=0 src2=0
	ds_store_b64 v3, v[6:7] offset:8
; %bb.31:                               ;   in Loop: Header=BB22_4 Depth=1
	s_or_b32 exec_lo, exec_lo, s61
	s_mov_b32 s60, 0
                                        ; implicit-def: $vgpr6_vgpr7
	s_and_saveexec_b32 s61, s8
	s_delay_alu instid0(SALU_CYCLE_1)
	s_xor_b32 s61, exec_lo, s61
	s_cbranch_execnz .LBB22_165
; %bb.32:                               ;   in Loop: Header=BB22_4 Depth=1
	s_or_saveexec_b32 s61, s61
	s_set_vgpr_msb 1                        ;  msbs: dst=0 src0=1 src1=0 src2=0
	v_mov_b32_e32 v3, v31 /*v287*/
	s_xor_b32 exec_lo, exec_lo, s61
	s_set_vgpr_msb 0                        ;  msbs: dst=0 src0=0 src1=0 src2=0
	s_cbranch_execnz .LBB22_166
.LBB22_33:                              ;   in Loop: Header=BB22_4 Depth=1
	s_or_b32 exec_lo, exec_lo, s61
	s_and_saveexec_b32 s61, s60
.LBB22_34:                              ;   in Loop: Header=BB22_4 Depth=1
	ds_store_b64 v3, v[6:7] offset:8
.LBB22_35:                              ;   in Loop: Header=BB22_4 Depth=1
	s_or_b32 exec_lo, exec_lo, s61
	s_mov_b32 s60, 0
	s_and_saveexec_b32 s61, s10
	s_delay_alu instid0(SALU_CYCLE_1)
	s_xor_b32 s61, exec_lo, s61
; %bb.36:                               ;   in Loop: Header=BB22_4 Depth=1
	s_and_b32 s60, s11, exec_lo
; %bb.37:                               ;   in Loop: Header=BB22_4 Depth=1
	s_or_saveexec_b32 s61, s61
	v_mov_b64_e32 v[6:7], 0
	s_set_vgpr_msb 1                        ;  msbs: dst=0 src0=1 src1=0 src2=0
	v_mov_b32_e32 v3, v9 /*v265*/
	s_xor_b32 exec_lo, exec_lo, s61
	s_set_vgpr_msb 0                        ;  msbs: dst=0 src0=0 src1=0 src2=0
	s_cbranch_execz .LBB22_39
; %bb.38:                               ;   in Loop: Header=BB22_4 Depth=1
	s_set_vgpr_msb 1                        ;  msbs: dst=0 src0=1 src1=0 src2=0
	ds_load_b128 v[4:7], v25 /*v281*/ offset:528
	v_mov_b32_e32 v3, v32 /*v288*/
	s_or_b32 s60, s60, exec_lo
	s_wait_dscnt 0x0
	v_xor_b32_e32 v7, 0x80000000, v7
	ds_store_b64 v32 /*v288*/, v[4:5]
.LBB22_39:                              ;   in Loop: Header=BB22_4 Depth=1
	s_or_b32 exec_lo, exec_lo, s61
	s_and_saveexec_b32 s61, s60
; %bb.40:                               ;   in Loop: Header=BB22_4 Depth=1
	s_set_vgpr_msb 0                        ;  msbs: dst=0 src0=0 src1=0 src2=0
	ds_store_b64 v3, v[6:7] offset:8
; %bb.41:                               ;   in Loop: Header=BB22_4 Depth=1
	s_or_b32 exec_lo, exec_lo, s61
	s_mov_b32 s60, 0
	s_and_saveexec_b32 s61, s12
	s_delay_alu instid0(SALU_CYCLE_1)
	s_xor_b32 s61, exec_lo, s61
; %bb.42:                               ;   in Loop: Header=BB22_4 Depth=1
	s_and_b32 s60, s13, exec_lo
; %bb.43:                               ;   in Loop: Header=BB22_4 Depth=1
	s_or_saveexec_b32 s61, s61
	v_mov_b64_e32 v[6:7], 0
	s_set_vgpr_msb 1                        ;  msbs: dst=0 src0=1 src1=0 src2=0
	v_mov_b32_e32 v3, v9 /*v265*/
	s_xor_b32 exec_lo, exec_lo, s61
	s_set_vgpr_msb 0                        ;  msbs: dst=0 src0=0 src1=0 src2=0
	s_cbranch_execz .LBB22_45
; %bb.44:                               ;   in Loop: Header=BB22_4 Depth=1
	s_set_vgpr_msb 1                        ;  msbs: dst=0 src0=1 src1=0 src2=0
	ds_load_b128 v[4:7], v25 /*v281*/ offset:1056
	v_mov_b32_e32 v3, v33 /*v289*/
	s_or_b32 s60, s60, exec_lo
	s_wait_dscnt 0x0
	v_xor_b32_e32 v7, 0x80000000, v7
	ds_store_b64 v33 /*v289*/, v[4:5]
.LBB22_45:                              ;   in Loop: Header=BB22_4 Depth=1
	s_or_b32 exec_lo, exec_lo, s61
	s_and_saveexec_b32 s61, s60
; %bb.46:                               ;   in Loop: Header=BB22_4 Depth=1
	s_set_vgpr_msb 0                        ;  msbs: dst=0 src0=0 src1=0 src2=0
	ds_store_b64 v3, v[6:7] offset:8
; %bb.47:                               ;   in Loop: Header=BB22_4 Depth=1
	s_or_b32 exec_lo, exec_lo, s61
	s_wait_dscnt 0x0
	s_barrier_signal -1
	s_barrier_wait -1
	s_set_vgpr_msb 1                        ;  msbs: dst=0 src0=1 src1=0 src2=0
	ds_load_b128 v[4:7], v24 /*v280*/
	ds_load_b128 v[12:15], v12 /*v268*/
	ds_load_b128 v[16:19], v12 /*v268*/ offset:16
	ds_load_b128 v[20:23], v25 /*v281*/
	s_wait_dscnt 0x2
	s_set_vgpr_msb 0                        ;  msbs: dst=0 src0=0 src1=0 src2=0
	v_mul_f64_e32 v[8:9], v[14:15], v[6:7]
	v_mul_f64_e32 v[30:31], v[12:13], v[6:7]
	s_wait_dscnt 0x0
	v_mul_f64_e32 v[32:33], v[18:19], v[22:23]
	v_mul_f64_e32 v[34:35], v[16:17], v[22:23]
	s_delay_alu instid0(VALU_DEP_4) | instskip(NEXT) | instid1(VALU_DEP_4)
	v_fma_f64 v[8:9], v[12:13], v[4:5], -v[8:9]
	v_fmac_f64_e32 v[30:31], v[14:15], v[4:5]
	s_set_vgpr_msb 1                        ;  msbs: dst=0 src0=1 src1=0 src2=0
	ds_load_b128 v[4:7], v25 /*v281*/ offset:528
	ds_load_b128 v[12:15], v12 /*v268*/ offset:32
	ds_load_b128 v[22:25], v12 /*v268*/ offset:48
	ds_load_b128 v[26:29], v25 /*v281*/ offset:1056
	s_set_vgpr_msb 0                        ;  msbs: dst=0 src0=0 src1=0 src2=0
	v_fma_f64 v[16:17], v[16:17], v[20:21], -v[32:33]
	v_fmac_f64_e32 v[34:35], v[18:19], v[20:21]
	s_wait_dscnt 0x0
	s_barrier_signal -1
	s_barrier_wait -1
	v_mul_f64_e32 v[36:37], v[14:15], v[6:7]
	v_mul_f64_e32 v[6:7], v[12:13], v[6:7]
	;; [unrolled: 1-line block ×4, first 2 shown]
	v_add_f64_e32 v[8:9], 0, v[8:9]
	v_add_f64_e32 v[18:19], 0, v[30:31]
	v_fma_f64 v[12:13], v[12:13], v[4:5], -v[36:37]
	v_fmac_f64_e32 v[6:7], v[14:15], v[4:5]
	v_fma_f64 v[14:15], v[22:23], v[26:27], -v[20:21]
	v_fmac_f64_e32 v[28:29], v[24:25], v[26:27]
	v_add_f64_e32 v[4:5], v[8:9], v[16:17]
	v_add_f64_e32 v[8:9], v[18:19], v[34:35]
	s_delay_alu instid0(VALU_DEP_2) | instskip(NEXT) | instid1(VALU_DEP_2)
	v_add_f64_e32 v[4:5], v[4:5], v[12:13]
	v_add_f64_e32 v[6:7], v[8:9], v[6:7]
	v_mov_b64_e32 v[8:9], 0
	s_delay_alu instid0(VALU_DEP_3) | instskip(NEXT) | instid1(VALU_DEP_3)
	v_add_f64_e32 v[12:13], v[4:5], v[14:15]
	v_add_f64_e32 v[14:15], v[6:7], v[28:29]
	v_mov_b64_e32 v[6:7], 0
	s_set_vgpr_msb 1                        ;  msbs: dst=0 src0=1 src1=0 src2=0
	ds_store_b128 v13 /*v269*/, v[12:15]
	s_wait_dscnt 0x0
	s_barrier_signal -1
	s_barrier_wait -1
	s_and_saveexec_b32 s60, s14
	s_set_vgpr_msb 0                        ;  msbs: dst=0 src0=0 src1=0 src2=0
	s_cbranch_execz .LBB22_49
; %bb.48:                               ;   in Loop: Header=BB22_4 Depth=1
	s_set_vgpr_msb 1                        ;  msbs: dst=0 src0=1 src1=0 src2=0
	ds_load_b128 v[4:7], v11 /*v267*/
	ds_load_b128 v[12:15], v11 /*v267*/ offset:16
	s_wait_dscnt 0x0
	s_set_vgpr_msb 0                        ;  msbs: dst=0 src0=0 src1=0 src2=0
	v_add_f64_e32 v[8:9], v[12:13], v[4:5]
	v_add_f64_e32 v[16:17], v[14:15], v[6:7]
	s_set_vgpr_msb 1                        ;  msbs: dst=0 src0=1 src1=0 src2=0
	ds_load_b128 v[4:7], v11 /*v267*/ offset:32
	ds_load_b128 v[12:15], v11 /*v267*/ offset:48
	s_wait_dscnt 0x1
	s_set_vgpr_msb 0                        ;  msbs: dst=0 src0=0 src1=0 src2=0
	v_add_f64_e32 v[4:5], v[8:9], v[4:5]
	v_add_f64_e32 v[6:7], v[16:17], v[6:7]
	s_wait_dscnt 0x0
	s_delay_alu instid0(VALU_DEP_2) | instskip(NEXT) | instid1(VALU_DEP_2)
	v_add_f64_e32 v[8:9], v[4:5], v[12:13]
	v_add_f64_e32 v[16:17], v[6:7], v[14:15]
	s_set_vgpr_msb 1                        ;  msbs: dst=0 src0=1 src1=0 src2=0
	ds_load_b128 v[4:7], v11 /*v267*/ offset:64
	ds_load_b128 v[12:15], v11 /*v267*/ offset:80
	s_wait_dscnt 0x1
	s_set_vgpr_msb 0                        ;  msbs: dst=0 src0=0 src1=0 src2=0
	v_add_f64_e32 v[4:5], v[8:9], v[4:5]
	v_add_f64_e32 v[6:7], v[16:17], v[6:7]
	s_wait_dscnt 0x0
	s_delay_alu instid0(VALU_DEP_2) | instskip(NEXT) | instid1(VALU_DEP_2)
	;; [unrolled: 11-line block ×3, first 2 shown]
	v_add_f64_e32 v[6:7], v[4:5], v[12:13]
	v_add_f64_e32 v[8:9], v[8:9], v[14:15]
.LBB22_49:                              ;   in Loop: Header=BB22_4 Depth=1
	s_or_b32 exec_lo, exec_lo, s60
	v_lshl_add_u64 v[12:13], s[48:49], 4, v[10:11]
	s_and_b32 vcc_lo, exec_lo, s64
	s_mov_b32 s60, -1
	s_barrier_signal -1
	s_delay_alu instid0(VALU_DEP_1)
	v_add_nc_u64_e32 v[10:11], 0x200, v[12:13]
	s_barrier_wait -1
                                        ; implicit-def: $vgpr14_vgpr15
	s_cbranch_vccz .LBB22_61
; %bb.50:                               ;   in Loop: Header=BB22_4 Depth=1
	s_and_saveexec_b32 s60, s16
	s_delay_alu instid0(SALU_CYCLE_1)
	s_xor_b32 s60, exec_lo, s60
; %bb.51:                               ;   in Loop: Header=BB22_4 Depth=1
	v_dual_mov_b32 v3, v2 :: v_dual_mov_b32 v4, v2
	v_mov_b32_e32 v5, v2
	s_set_vgpr_msb 1                        ;  msbs: dst=0 src0=1 src1=0 src2=0
	ds_store_b128 v8 /*v264*/, v[2:5]
; %bb.52:                               ;   in Loop: Header=BB22_4 Depth=1
	s_or_saveexec_b32 s60, s60
	s_set_vgpr_msb 0                        ;  msbs: dst=0 src0=0 src1=0 src2=0
	v_lshl_add_u64 v[4:5], v[210:211], 4, v[12:13]
	s_delay_alu instid0(VALU_DEP_1) | instskip(NEXT) | instid1(VALU_DEP_1)
	v_lshl_add_u64 v[4:5], s[26:27], 4, v[4:5]
	v_add_nc_u64_e32 v[4:5], -16, v[4:5]
	s_delay_alu instid0(VALU_DEP_1)
	v_dual_cndmask_b32 v15, v5, v11, s15 :: v_dual_cndmask_b32 v14, v4, v10, s15
	s_xor_b32 exec_lo, exec_lo, s60
	s_cbranch_execnz .LBB22_175
; %bb.53:                               ;   in Loop: Header=BB22_4 Depth=1
	s_or_b32 exec_lo, exec_lo, s60
	s_and_saveexec_b32 s60, s17
	s_delay_alu instid0(SALU_CYCLE_1)
	s_xor_b32 s60, exec_lo, s60
	s_cbranch_execnz .LBB22_176
.LBB22_54:                              ;   in Loop: Header=BB22_4 Depth=1
	s_and_not1_saveexec_b32 s60, s60
	s_cbranch_execnz .LBB22_177
.LBB22_55:                              ;   in Loop: Header=BB22_4 Depth=1
	s_or_b32 exec_lo, exec_lo, s60
	s_and_saveexec_b32 s60, s18
	s_delay_alu instid0(SALU_CYCLE_1)
	s_xor_b32 s60, exec_lo, s60
	s_cbranch_execnz .LBB22_178
.LBB22_56:                              ;   in Loop: Header=BB22_4 Depth=1
	s_and_not1_saveexec_b32 s60, s60
	s_cbranch_execnz .LBB22_179
.LBB22_57:                              ;   in Loop: Header=BB22_4 Depth=1
	s_or_b32 exec_lo, exec_lo, s60
	s_and_saveexec_b32 s60, s19
	s_delay_alu instid0(SALU_CYCLE_1)
	s_xor_b32 s60, exec_lo, s60
	s_cbranch_execnz .LBB22_180
.LBB22_58:                              ;   in Loop: Header=BB22_4 Depth=1
	s_and_not1_saveexec_b32 s60, s60
	s_cbranch_execz .LBB22_60
.LBB22_59:                              ;   in Loop: Header=BB22_4 Depth=1
	v_lshl_add_u64 v[4:5], s[46:47], 4, v[14:15]
	global_load_b128 v[16:19], v[4:5], off
	s_wait_loadcnt 0x0
	s_set_vgpr_msb 1                        ;  msbs: dst=0 src0=1 src1=0 src2=0
	ds_store_2addr_b64 v30 /*v286*/, v[16:17], v[18:19] offset1:1
.LBB22_60:                              ;   in Loop: Header=BB22_4 Depth=1
	s_wait_xcnt 0x0
	s_or_b32 exec_lo, exec_lo, s60
	s_set_vgpr_msb 0                        ;  msbs: dst=0 src0=0 src1=0 src2=0
	v_mov_b32_e32 v213, v2
	s_mov_b32 s60, 0
	s_delay_alu instid0(VALU_DEP_1) | instskip(NEXT) | instid1(VALU_DEP_1)
	v_add_nc_u64_e32 v[4:5], v[14:15], v[212:213]
	v_lshl_add_u64 v[4:5], s[52:53], 4, v[4:5]
	s_delay_alu instid0(VALU_DEP_1) | instskip(NEXT) | instid1(VALU_DEP_1)
	v_add_nc_u64_e32 v[4:5], 0x210, v[4:5]
	v_dual_cndmask_b32 v15, v5, v11, s15 :: v_dual_cndmask_b32 v14, v4, v10, s15
.LBB22_61:                              ;   in Loop: Header=BB22_4 Depth=1
	s_and_b32 vcc_lo, exec_lo, s60
	s_cbranch_vccz .LBB22_63
; %bb.62:                               ;   in Loop: Header=BB22_4 Depth=1
	v_lshl_add_u64 v[4:5], s[42:43], 4, v[12:13]
	s_delay_alu instid0(VALU_DEP_1) | instskip(NEXT) | instid1(VALU_DEP_1)
	v_add_nc_u64_e32 v[12:13], s[56:57], v[4:5]
	v_add_nc_u64_e32 v[14:15], s[56:57], v[12:13]
	s_clause 0x3
	global_load_b128 v[16:19], v[10:11], off
	global_load_b128 v[20:23], v[4:5], off offset:512
	global_load_b128 v[24:27], v[12:13], off offset:512
	;; [unrolled: 1-line block ×3, first 2 shown]
	s_wait_xcnt 0x0
	v_mov_b64_e32 v[14:15], v[10:11]
	s_wait_loadcnt 0x3
	s_set_vgpr_msb 1                        ;  msbs: dst=0 src0=1 src1=0 src2=0
	ds_store_2addr_b64 v8 /*v264*/, v[16:17], v[18:19] offset1:1
	s_wait_loadcnt 0x2
	ds_store_2addr_b64 v28 /*v284*/, v[20:21], v[22:23] offset1:1
	s_wait_loadcnt 0x1
	;; [unrolled: 2-line block ×3, first 2 shown]
	ds_store_2addr_b64 v30 /*v286*/, v[28:29], v[30:31] offset1:1
.LBB22_63:                              ;   in Loop: Header=BB22_4 Depth=1
	s_mov_b32 s60, 0
	s_wait_dscnt 0x0
	s_barrier_signal -1
	s_barrier_wait -1
	s_and_saveexec_b32 s61, s6
	s_delay_alu instid0(SALU_CYCLE_1)
	s_xor_b32 s61, exec_lo, s61
; %bb.64:                               ;   in Loop: Header=BB22_4 Depth=1
	s_and_b32 s60, s7, exec_lo
; %bb.65:                               ;   in Loop: Header=BB22_4 Depth=1
	s_or_saveexec_b32 s61, s61
	s_set_vgpr_msb 1                        ;  msbs: dst=0 src0=1 src1=0 src2=0
	v_mov_b64_e32 v[12:13], 0
	v_mov_b32_e32 v3, v9 /*v265*/
	s_xor_b32 exec_lo, exec_lo, s61
	s_set_vgpr_msb 0                        ;  msbs: dst=0 src0=0 src1=0 src2=0
	s_cbranch_execz .LBB22_67
; %bb.66:                               ;   in Loop: Header=BB22_4 Depth=1
	s_set_vgpr_msb 1                        ;  msbs: dst=0 src0=1 src1=0 src2=0
	ds_load_b128 v[10:13], v24 /*v280*/
	v_mov_b32_e32 v3, v10 /*v266*/
	s_or_b32 s60, s60, exec_lo
	s_wait_dscnt 0x0
	v_xor_b32_e32 v13, 0x80000000, v13
	ds_store_b64 v10 /*v266*/, v[10:11]
.LBB22_67:                              ;   in Loop: Header=BB22_4 Depth=1
	s_or_b32 exec_lo, exec_lo, s61
	s_and_saveexec_b32 s61, s60
; %bb.68:                               ;   in Loop: Header=BB22_4 Depth=1
	s_set_vgpr_msb 0                        ;  msbs: dst=0 src0=0 src1=0 src2=0
	ds_store_b64 v3, v[12:13] offset:8
; %bb.69:                               ;   in Loop: Header=BB22_4 Depth=1
	s_or_b32 exec_lo, exec_lo, s61
	s_mov_b32 s60, 0
                                        ; implicit-def: $vgpr12_vgpr13
	s_and_saveexec_b32 s61, s8
	s_delay_alu instid0(SALU_CYCLE_1)
	s_xor_b32 s61, exec_lo, s61
	s_cbranch_execnz .LBB22_167
; %bb.70:                               ;   in Loop: Header=BB22_4 Depth=1
	s_or_saveexec_b32 s61, s61
	s_set_vgpr_msb 1                        ;  msbs: dst=0 src0=1 src1=0 src2=0
	v_mov_b32_e32 v3, v31 /*v287*/
	s_xor_b32 exec_lo, exec_lo, s61
	s_set_vgpr_msb 0                        ;  msbs: dst=0 src0=0 src1=0 src2=0
	s_cbranch_execnz .LBB22_168
.LBB22_71:                              ;   in Loop: Header=BB22_4 Depth=1
	s_or_b32 exec_lo, exec_lo, s61
	s_and_saveexec_b32 s61, s60
.LBB22_72:                              ;   in Loop: Header=BB22_4 Depth=1
	ds_store_b64 v3, v[12:13] offset:8
.LBB22_73:                              ;   in Loop: Header=BB22_4 Depth=1
	s_or_b32 exec_lo, exec_lo, s61
	s_mov_b32 s60, 0
	s_and_saveexec_b32 s61, s10
	s_delay_alu instid0(SALU_CYCLE_1)
	s_xor_b32 s61, exec_lo, s61
; %bb.74:                               ;   in Loop: Header=BB22_4 Depth=1
	s_and_b32 s60, s11, exec_lo
; %bb.75:                               ;   in Loop: Header=BB22_4 Depth=1
	s_or_saveexec_b32 s61, s61
	v_mov_b64_e32 v[12:13], 0
	s_set_vgpr_msb 1                        ;  msbs: dst=0 src0=1 src1=0 src2=0
	v_mov_b32_e32 v3, v9 /*v265*/
	s_xor_b32 exec_lo, exec_lo, s61
	s_set_vgpr_msb 0                        ;  msbs: dst=0 src0=0 src1=0 src2=0
	s_cbranch_execz .LBB22_77
; %bb.76:                               ;   in Loop: Header=BB22_4 Depth=1
	s_set_vgpr_msb 1                        ;  msbs: dst=0 src0=1 src1=0 src2=0
	ds_load_b128 v[10:13], v25 /*v281*/ offset:528
	v_mov_b32_e32 v3, v32 /*v288*/
	s_or_b32 s60, s60, exec_lo
	s_wait_dscnt 0x0
	v_xor_b32_e32 v13, 0x80000000, v13
	ds_store_b64 v32 /*v288*/, v[10:11]
.LBB22_77:                              ;   in Loop: Header=BB22_4 Depth=1
	s_or_b32 exec_lo, exec_lo, s61
	s_and_saveexec_b32 s61, s60
; %bb.78:                               ;   in Loop: Header=BB22_4 Depth=1
	s_set_vgpr_msb 0                        ;  msbs: dst=0 src0=0 src1=0 src2=0
	ds_store_b64 v3, v[12:13] offset:8
; %bb.79:                               ;   in Loop: Header=BB22_4 Depth=1
	s_or_b32 exec_lo, exec_lo, s61
	s_mov_b32 s60, 0
	s_and_saveexec_b32 s61, s12
	s_delay_alu instid0(SALU_CYCLE_1)
	s_xor_b32 s61, exec_lo, s61
; %bb.80:                               ;   in Loop: Header=BB22_4 Depth=1
	s_and_b32 s60, s13, exec_lo
; %bb.81:                               ;   in Loop: Header=BB22_4 Depth=1
	s_or_saveexec_b32 s61, s61
	v_mov_b64_e32 v[12:13], 0
	s_set_vgpr_msb 1                        ;  msbs: dst=0 src0=1 src1=0 src2=0
	v_mov_b32_e32 v3, v9 /*v265*/
	s_xor_b32 exec_lo, exec_lo, s61
	s_set_vgpr_msb 0                        ;  msbs: dst=0 src0=0 src1=0 src2=0
	s_cbranch_execz .LBB22_83
; %bb.82:                               ;   in Loop: Header=BB22_4 Depth=1
	s_set_vgpr_msb 1                        ;  msbs: dst=0 src0=1 src1=0 src2=0
	ds_load_b128 v[10:13], v25 /*v281*/ offset:1056
	v_mov_b32_e32 v3, v33 /*v289*/
	s_or_b32 s60, s60, exec_lo
	s_wait_dscnt 0x0
	v_xor_b32_e32 v13, 0x80000000, v13
	ds_store_b64 v33 /*v289*/, v[10:11]
.LBB22_83:                              ;   in Loop: Header=BB22_4 Depth=1
	s_or_b32 exec_lo, exec_lo, s61
	s_and_saveexec_b32 s61, s60
; %bb.84:                               ;   in Loop: Header=BB22_4 Depth=1
	s_set_vgpr_msb 0                        ;  msbs: dst=0 src0=0 src1=0 src2=0
	ds_store_b64 v3, v[12:13] offset:8
; %bb.85:                               ;   in Loop: Header=BB22_4 Depth=1
	s_or_b32 exec_lo, exec_lo, s61
	s_wait_dscnt 0x0
	s_barrier_signal -1
	s_barrier_wait -1
	s_set_vgpr_msb 1                        ;  msbs: dst=0 src0=1 src1=0 src2=0
	ds_load_b128 v[10:13], v24 /*v280*/
	ds_load_b128 v[16:19], v12 /*v268*/ offset:512
	ds_load_b128 v[20:23], v12 /*v268*/ offset:528
	ds_load_b128 v[24:27], v25 /*v281*/
	s_wait_dscnt 0x2
	s_set_vgpr_msb 0                        ;  msbs: dst=0 src0=0 src1=0 src2=0
	v_mul_f64_e32 v[4:5], v[18:19], v[12:13]
	v_mul_f64_e32 v[34:35], v[16:17], v[12:13]
	s_wait_dscnt 0x0
	v_mul_f64_e32 v[36:37], v[22:23], v[26:27]
	v_mul_f64_e32 v[38:39], v[20:21], v[26:27]
	s_delay_alu instid0(VALU_DEP_4) | instskip(NEXT) | instid1(VALU_DEP_4)
	v_fma_f64 v[4:5], v[16:17], v[10:11], -v[4:5]
	v_fmac_f64_e32 v[34:35], v[18:19], v[10:11]
	s_set_vgpr_msb 1                        ;  msbs: dst=0 src0=1 src1=0 src2=0
	ds_load_b128 v[10:13], v25 /*v281*/ offset:528
	ds_load_b128 v[16:19], v12 /*v268*/ offset:544
	;; [unrolled: 1-line block ×4, first 2 shown]
	s_set_vgpr_msb 0                        ;  msbs: dst=0 src0=0 src1=0 src2=0
	v_fma_f64 v[20:21], v[20:21], v[24:25], -v[36:37]
	v_fmac_f64_e32 v[38:39], v[22:23], v[24:25]
	s_wait_dscnt 0x0
	s_barrier_signal -1
	s_barrier_wait -1
	v_mul_f64_e32 v[40:41], v[18:19], v[12:13]
	v_mul_f64_e32 v[12:13], v[16:17], v[12:13]
	;; [unrolled: 1-line block ×4, first 2 shown]
	v_add_f64_e32 v[4:5], 0, v[4:5]
	v_add_f64_e32 v[22:23], 0, v[34:35]
	v_fma_f64 v[16:17], v[16:17], v[10:11], -v[40:41]
	v_fmac_f64_e32 v[12:13], v[18:19], v[10:11]
	v_fma_f64 v[18:19], v[26:27], v[30:31], -v[24:25]
	v_fmac_f64_e32 v[32:33], v[28:29], v[30:31]
	v_add_f64_e32 v[4:5], v[4:5], v[20:21]
	v_add_f64_e32 v[10:11], v[22:23], v[38:39]
	s_delay_alu instid0(VALU_DEP_2) | instskip(NEXT) | instid1(VALU_DEP_2)
	v_add_f64_e32 v[4:5], v[4:5], v[16:17]
	v_add_f64_e32 v[12:13], v[10:11], v[12:13]
	s_delay_alu instid0(VALU_DEP_2) | instskip(NEXT) | instid1(VALU_DEP_2)
	v_add_f64_e32 v[10:11], v[4:5], v[18:19]
	v_add_f64_e32 v[12:13], v[12:13], v[32:33]
	s_set_vgpr_msb 1                        ;  msbs: dst=0 src0=1 src1=0 src2=0
	ds_store_b128 v13 /*v269*/, v[10:13]
	s_wait_dscnt 0x0
	s_barrier_signal -1
	s_barrier_wait -1
	s_and_saveexec_b32 s60, s20
	s_set_vgpr_msb 0                        ;  msbs: dst=0 src0=0 src1=0 src2=0
	s_cbranch_execz .LBB22_87
; %bb.86:                               ;   in Loop: Header=BB22_4 Depth=1
	s_set_vgpr_msb 1                        ;  msbs: dst=0 src0=1 src1=0 src2=0
	ds_load_b128 v[4:7], v11 /*v267*/
	ds_load_b128 v[8:11], v11 /*v267*/ offset:16
	s_wait_dscnt 0x0
	s_set_vgpr_msb 0                        ;  msbs: dst=0 src0=0 src1=0 src2=0
	v_add_f64_e32 v[12:13], v[8:9], v[4:5]
	v_add_f64_e32 v[16:17], v[10:11], v[6:7]
	s_set_vgpr_msb 1                        ;  msbs: dst=0 src0=1 src1=0 src2=0
	ds_load_b128 v[4:7], v11 /*v267*/ offset:32
	ds_load_b128 v[8:11], v11 /*v267*/ offset:48
	s_wait_dscnt 0x1
	s_set_vgpr_msb 0                        ;  msbs: dst=0 src0=0 src1=0 src2=0
	v_add_f64_e32 v[4:5], v[12:13], v[4:5]
	v_add_f64_e32 v[6:7], v[16:17], v[6:7]
	s_wait_dscnt 0x0
	s_delay_alu instid0(VALU_DEP_2) | instskip(NEXT) | instid1(VALU_DEP_2)
	v_add_f64_e32 v[12:13], v[4:5], v[8:9]
	v_add_f64_e32 v[16:17], v[6:7], v[10:11]
	s_set_vgpr_msb 1                        ;  msbs: dst=0 src0=1 src1=0 src2=0
	ds_load_b128 v[4:7], v11 /*v267*/ offset:64
	ds_load_b128 v[8:11], v11 /*v267*/ offset:80
	s_wait_dscnt 0x1
	s_set_vgpr_msb 0                        ;  msbs: dst=0 src0=0 src1=0 src2=0
	v_add_f64_e32 v[4:5], v[12:13], v[4:5]
	v_add_f64_e32 v[6:7], v[16:17], v[6:7]
	s_wait_dscnt 0x0
	s_delay_alu instid0(VALU_DEP_2) | instskip(NEXT) | instid1(VALU_DEP_2)
	;; [unrolled: 11-line block ×3, first 2 shown]
	v_add_f64_e32 v[6:7], v[4:5], v[8:9]
	v_add_f64_e32 v[8:9], v[12:13], v[10:11]
.LBB22_87:                              ;   in Loop: Header=BB22_4 Depth=1
	s_or_b32 exec_lo, exec_lo, s60
	v_add_nc_u64_e32 v[10:11], s[22:23], v[14:15]
	s_and_b32 vcc_lo, exec_lo, s64
	s_mov_b32 s60, -1
	s_barrier_signal -1
	s_barrier_wait -1
                                        ; implicit-def: $vgpr4_vgpr5
	s_cbranch_vccz .LBB22_99
; %bb.88:                               ;   in Loop: Header=BB22_4 Depth=1
	s_and_saveexec_b32 s60, s16
	s_delay_alu instid0(SALU_CYCLE_1)
	s_xor_b32 s60, exec_lo, s60
; %bb.89:                               ;   in Loop: Header=BB22_4 Depth=1
	v_dual_mov_b32 v3, v2 :: v_dual_mov_b32 v4, v2
	v_mov_b32_e32 v5, v2
	s_set_vgpr_msb 1                        ;  msbs: dst=0 src0=1 src1=0 src2=0
	ds_store_b128 v8 /*v264*/, v[2:5]
; %bb.90:                               ;   in Loop: Header=BB22_4 Depth=1
	s_or_saveexec_b32 s60, s60
	s_set_vgpr_msb 0                        ;  msbs: dst=0 src0=0 src1=0 src2=0
	v_lshl_add_u64 v[4:5], v[210:211], 4, v[14:15]
	s_delay_alu instid0(VALU_DEP_1) | instskip(NEXT) | instid1(VALU_DEP_1)
	v_lshl_add_u64 v[4:5], s[26:27], 4, v[4:5]
	v_add_nc_u64_e32 v[4:5], s[54:55], v[4:5]
	s_delay_alu instid0(VALU_DEP_1)
	v_dual_cndmask_b32 v13, v5, v11, s1 :: v_dual_cndmask_b32 v12, v4, v10, s1
	s_xor_b32 exec_lo, exec_lo, s60
	s_cbranch_execnz .LBB22_181
; %bb.91:                               ;   in Loop: Header=BB22_4 Depth=1
	s_or_b32 exec_lo, exec_lo, s60
	s_and_saveexec_b32 s60, s17
	s_delay_alu instid0(SALU_CYCLE_1)
	s_xor_b32 s60, exec_lo, s60
	s_cbranch_execnz .LBB22_182
.LBB22_92:                              ;   in Loop: Header=BB22_4 Depth=1
	s_and_not1_saveexec_b32 s60, s60
	s_cbranch_execnz .LBB22_183
.LBB22_93:                              ;   in Loop: Header=BB22_4 Depth=1
	s_or_b32 exec_lo, exec_lo, s60
	s_and_saveexec_b32 s60, s18
	s_delay_alu instid0(SALU_CYCLE_1)
	s_xor_b32 s60, exec_lo, s60
	s_cbranch_execnz .LBB22_184
.LBB22_94:                              ;   in Loop: Header=BB22_4 Depth=1
	s_and_not1_saveexec_b32 s60, s60
	s_cbranch_execnz .LBB22_185
.LBB22_95:                              ;   in Loop: Header=BB22_4 Depth=1
	s_or_b32 exec_lo, exec_lo, s60
	s_and_saveexec_b32 s60, s19
	s_delay_alu instid0(SALU_CYCLE_1)
	s_xor_b32 s60, exec_lo, s60
	s_cbranch_execnz .LBB22_186
.LBB22_96:                              ;   in Loop: Header=BB22_4 Depth=1
	s_and_not1_saveexec_b32 s60, s60
	s_cbranch_execz .LBB22_98
.LBB22_97:                              ;   in Loop: Header=BB22_4 Depth=1
	v_lshl_add_u64 v[4:5], s[46:47], 4, v[12:13]
	global_load_b128 v[16:19], v[4:5], off
	s_wait_loadcnt 0x0
	s_set_vgpr_msb 1                        ;  msbs: dst=0 src0=1 src1=0 src2=0
	ds_store_2addr_b64 v30 /*v286*/, v[16:17], v[18:19] offset1:1
.LBB22_98:                              ;   in Loop: Header=BB22_4 Depth=1
	s_wait_xcnt 0x0
	s_or_b32 exec_lo, exec_lo, s60
	s_set_vgpr_msb 0                        ;  msbs: dst=0 src0=0 src1=0 src2=0
	v_mov_b32_e32 v213, v2
	s_mov_b32 s60, 0
	s_delay_alu instid0(VALU_DEP_1) | instskip(NEXT) | instid1(VALU_DEP_1)
	v_add_nc_u64_e32 v[4:5], v[12:13], v[212:213]
	v_lshl_add_u64 v[4:5], s[52:53], 4, v[4:5]
	s_delay_alu instid0(VALU_DEP_1) | instskip(NEXT) | instid1(VALU_DEP_1)
	v_add_nc_u64_e32 v[4:5], 16, v[4:5]
	v_dual_cndmask_b32 v5, v5, v11, s1 :: v_dual_cndmask_b32 v4, v4, v10, s1
.LBB22_99:                              ;   in Loop: Header=BB22_4 Depth=1
	s_and_b32 vcc_lo, exec_lo, s60
	s_cbranch_vccz .LBB22_101
; %bb.100:                              ;   in Loop: Header=BB22_4 Depth=1
	v_lshl_add_u64 v[4:5], s[42:43], 4, v[14:15]
	s_delay_alu instid0(VALU_DEP_1) | instskip(NEXT) | instid1(VALU_DEP_1)
	v_add_nc_u64_e32 v[20:21], s[56:57], v[4:5]
	v_add_nc_u64_e32 v[24:25], s[56:57], v[20:21]
	s_clause 0x3
	global_load_b128 v[12:15], v[10:11], off
	global_load_b128 v[16:19], v[4:5], off offset:-512
	global_load_b128 v[20:23], v[20:21], off offset:-512
	;; [unrolled: 1-line block ×3, first 2 shown]
	s_wait_xcnt 0x2
	v_mov_b64_e32 v[4:5], v[10:11]
	s_wait_loadcnt 0x3
	s_set_vgpr_msb 1                        ;  msbs: dst=0 src0=1 src1=0 src2=0
	ds_store_2addr_b64 v8 /*v264*/, v[12:13], v[14:15] offset1:1
	s_wait_loadcnt 0x2
	ds_store_2addr_b64 v28 /*v284*/, v[16:17], v[18:19] offset1:1
	s_wait_loadcnt 0x1
	;; [unrolled: 2-line block ×3, first 2 shown]
	ds_store_2addr_b64 v30 /*v286*/, v[24:25], v[26:27] offset1:1
.LBB22_101:                             ;   in Loop: Header=BB22_4 Depth=1
	s_set_vgpr_msb 5                        ;  msbs: dst=0 src0=1 src1=1 src2=0
	v_dual_add_nc_u32 v3, v10 /*v266*/, v15 /*v271*/ :: v_dual_add_nc_u32 v14, v12 /*v268*/, v15 /*v271*/
	s_wait_dscnt 0x0
	s_barrier_signal -1
	s_barrier_wait -1
	s_set_vgpr_msb 0                        ;  msbs: dst=0 src0=0 src1=0 src2=0
	ds_load_b128 v[10:13], v3
	ds_load_b128 v[14:17], v14
	s_wait_xcnt 0x1
	s_set_vgpr_msb 1                        ;  msbs: dst=0 src0=1 src1=0 src2=0
	ds_load_b128 v[18:21], v23 /*v279*/ offset:128
	s_wait_xcnt 0x0
	ds_load_b128 v[22:25], v13 /*v269*/ offset:128
	ds_load_b128 v[26:29], v13 /*v269*/ offset:256
	;; [unrolled: 1-line block ×3, first 2 shown]
	s_wait_dscnt 0x2
	s_set_vgpr_msb 0                        ;  msbs: dst=0 src0=0 src1=0 src2=0
	v_mul_f64_e32 v[36:37], v[24:25], v[20:21]
	v_mul_f64_e32 v[34:35], v[12:13], v[16:17]
	;; [unrolled: 1-line block ×4, first 2 shown]
	s_delay_alu instid0(VALU_DEP_4) | instskip(NEXT) | instid1(VALU_DEP_4)
	v_fmac_f64_e32 v[36:37], v[22:23], v[18:19]
	v_fmac_f64_e32 v[34:35], v[10:11], v[14:15]
	s_delay_alu instid0(VALU_DEP_4)
	v_fma_f64 v[38:39], v[10:11], v[16:17], -v[12:13]
	s_set_vgpr_msb 1                        ;  msbs: dst=0 src0=1 src1=0 src2=0
	ds_load_b128 v[10:13], v23 /*v279*/ offset:256
	ds_load_b128 v[14:17], v23 /*v279*/ offset:384
	s_set_vgpr_msb 0                        ;  msbs: dst=0 src0=0 src1=0 src2=0
	v_fma_f64 v[18:19], v[22:23], v[20:21], -v[24:25]
	s_wait_dscnt 0x1
	v_mul_f64_e32 v[40:41], v[28:29], v[12:13]
	v_mul_f64_e32 v[28:29], v[28:29], v[10:11]
	s_wait_dscnt 0x0
	v_mul_f64_e32 v[24:25], v[32:33], v[16:17]
	v_mul_f64_e32 v[32:33], v[32:33], v[14:15]
	v_add_f64_e32 v[20:21], 0, v[34:35]
	v_add_f64_e32 v[22:23], 0, v[38:39]
	v_fmac_f64_e32 v[40:41], v[26:27], v[10:11]
	v_fma_f64 v[10:11], v[26:27], v[12:13], -v[28:29]
	v_fmac_f64_e32 v[24:25], v[30:31], v[14:15]
	v_fma_f64 v[14:15], v[30:31], v[16:17], -v[32:33]
	v_add_f64_e32 v[12:13], v[20:21], v[36:37]
	v_add_f64_e32 v[18:19], v[22:23], v[18:19]
	s_delay_alu instid0(VALU_DEP_2) | instskip(NEXT) | instid1(VALU_DEP_2)
	v_add_f64_e32 v[12:13], v[12:13], v[40:41]
	v_add_f64_e32 v[10:11], v[18:19], v[10:11]
	s_delay_alu instid0(VALU_DEP_2) | instskip(NEXT) | instid1(VALU_DEP_2)
	v_add_f64_e32 v[44:45], v[12:13], v[24:25]
	v_add_f64_e32 v[46:47], v[10:11], v[14:15]
	s_set_vgpr_msb 1                        ;  msbs: dst=0 src0=1 src1=0 src2=0
	ds_load_b128 v[34:37], v12 /*v268*/ offset:512
	ds_load_b128 v[26:29], v12 /*v268*/ offset:528
	;; [unrolled: 1-line block ×4, first 2 shown]
	ds_load_b128 v[38:41], v24 /*v280*/
	ds_load_b128 v[30:33], v25 /*v281*/
	ds_load_b128 v[22:25], v25 /*v281*/ offset:528
	ds_load_b128 v[18:21], v25 /*v281*/ offset:1056
	s_wait_dscnt 0x0
	s_barrier_signal -1
	s_barrier_wait -1
	ds_store_b128 v13 /*v269*/, v[44:47]
	s_wait_dscnt 0x0
	s_barrier_signal -1
	s_barrier_wait -1
	s_and_saveexec_b32 s60, s20
	s_set_vgpr_msb 0                        ;  msbs: dst=0 src0=0 src1=0 src2=0
	s_cbranch_execz .LBB22_103
; %bb.102:                              ;   in Loop: Header=BB22_4 Depth=1
	s_set_vgpr_msb 1                        ;  msbs: dst=0 src0=1 src1=0 src2=0
	ds_load_b128 v[44:47], v11 /*v267*/
	ds_load_b128 v[48:51], v11 /*v267*/ offset:16
	s_wait_dscnt 0x1
	s_set_vgpr_msb 0                        ;  msbs: dst=0 src0=0 src1=0 src2=0
	v_add_f64_e32 v[6:7], v[6:7], v[44:45]
	v_add_f64_e32 v[8:9], v[8:9], v[46:47]
	s_wait_dscnt 0x0
	s_delay_alu instid0(VALU_DEP_2) | instskip(NEXT) | instid1(VALU_DEP_2)
	v_add_f64_e32 v[48:49], v[6:7], v[48:49]
	v_add_f64_e32 v[50:51], v[8:9], v[50:51]
	s_set_vgpr_msb 1                        ;  msbs: dst=0 src0=1 src1=0 src2=0
	ds_load_b128 v[6:9], v11 /*v267*/ offset:32
	ds_load_b128 v[44:47], v11 /*v267*/ offset:48
	s_wait_dscnt 0x1
	s_set_vgpr_msb 0                        ;  msbs: dst=0 src0=0 src1=0 src2=0
	v_add_f64_e32 v[6:7], v[48:49], v[6:7]
	v_add_f64_e32 v[8:9], v[50:51], v[8:9]
	s_wait_dscnt 0x0
	s_delay_alu instid0(VALU_DEP_2) | instskip(NEXT) | instid1(VALU_DEP_2)
	v_add_f64_e32 v[48:49], v[6:7], v[44:45]
	v_add_f64_e32 v[50:51], v[8:9], v[46:47]
	s_set_vgpr_msb 1                        ;  msbs: dst=0 src0=1 src1=0 src2=0
	ds_load_b128 v[6:9], v11 /*v267*/ offset:64
	;; [unrolled: 11-line block ×3, first 2 shown]
	ds_load_b128 v[44:47], v11 /*v267*/ offset:112
	s_wait_dscnt 0x1
	s_set_vgpr_msb 0                        ;  msbs: dst=0 src0=0 src1=0 src2=0
	v_add_f64_e32 v[6:7], v[48:49], v[6:7]
	v_add_f64_e32 v[8:9], v[50:51], v[8:9]
	s_wait_dscnt 0x0
	s_delay_alu instid0(VALU_DEP_2) | instskip(NEXT) | instid1(VALU_DEP_2)
	v_add_f64_e32 v[6:7], v[6:7], v[44:45]
	v_add_f64_e32 v[8:9], v[8:9], v[46:47]
.LBB22_103:                             ;   in Loop: Header=BB22_4 Depth=1
	s_or_b32 exec_lo, exec_lo, s60
	v_mul_f64_e32 v[44:45], v[36:37], v[40:41]
	v_mul_f64_e32 v[40:41], v[34:35], v[40:41]
	;; [unrolled: 1-line block ×4, first 2 shown]
	s_barrier_signal -1
	s_barrier_wait -1
	s_delay_alu instid0(VALU_DEP_4) | instskip(NEXT) | instid1(VALU_DEP_4)
	v_fma_f64 v[34:35], v[34:35], v[38:39], -v[44:45]
	v_fmac_f64_e32 v[40:41], v[36:37], v[38:39]
	v_mul_f64_e32 v[36:37], v[16:17], v[24:25]
	v_mul_f64_e32 v[24:25], v[14:15], v[24:25]
	v_fma_f64 v[26:27], v[26:27], v[30:31], -v[46:47]
	v_fmac_f64_e32 v[32:33], v[28:29], v[30:31]
	v_add_f64_e32 v[28:29], 0, v[34:35]
	v_add_f64_e32 v[30:31], 0, v[40:41]
	v_mul_f64_e32 v[34:35], v[12:13], v[20:21]
	v_mul_f64_e32 v[20:21], v[10:11], v[20:21]
	v_fma_f64 v[14:15], v[14:15], v[22:23], -v[36:37]
	v_fmac_f64_e32 v[24:25], v[16:17], v[22:23]
	v_add_f64_e32 v[16:17], v[28:29], v[26:27]
	v_add_f64_e32 v[22:23], v[30:31], v[32:33]
	v_fma_f64 v[10:11], v[10:11], v[18:19], -v[34:35]
	v_fmac_f64_e32 v[20:21], v[12:13], v[18:19]
	s_delay_alu instid0(VALU_DEP_4) | instskip(NEXT) | instid1(VALU_DEP_4)
	v_add_f64_e32 v[12:13], v[16:17], v[14:15]
	v_add_f64_e32 v[14:15], v[22:23], v[24:25]
	s_delay_alu instid0(VALU_DEP_2) | instskip(NEXT) | instid1(VALU_DEP_2)
	v_add_f64_e32 v[10:11], v[12:13], v[10:11]
	v_add_f64_e32 v[12:13], v[14:15], v[20:21]
	s_set_vgpr_msb 1                        ;  msbs: dst=0 src0=1 src1=0 src2=0
	ds_store_b128 v13 /*v269*/, v[10:13]
	s_wait_dscnt 0x0
	s_barrier_signal -1
	s_barrier_wait -1
	s_and_saveexec_b32 s60, s14
	s_set_vgpr_msb 0                        ;  msbs: dst=0 src0=0 src1=0 src2=0
	s_cbranch_execz .LBB22_105
; %bb.104:                              ;   in Loop: Header=BB22_4 Depth=1
	s_set_vgpr_msb 1                        ;  msbs: dst=0 src0=1 src1=0 src2=0
	ds_load_b128 v[10:13], v11 /*v267*/
	ds_load_b128 v[14:17], v11 /*v267*/ offset:16
	s_wait_dscnt 0x1
	s_set_vgpr_msb 0                        ;  msbs: dst=0 src0=0 src1=0 src2=0
	v_add_f64_e32 v[6:7], v[6:7], v[10:11]
	v_add_f64_e32 v[8:9], v[8:9], v[12:13]
	s_wait_dscnt 0x0
	s_delay_alu instid0(VALU_DEP_2) | instskip(NEXT) | instid1(VALU_DEP_2)
	v_add_f64_e32 v[14:15], v[6:7], v[14:15]
	v_add_f64_e32 v[16:17], v[8:9], v[16:17]
	s_set_vgpr_msb 1                        ;  msbs: dst=0 src0=1 src1=0 src2=0
	ds_load_b128 v[6:9], v11 /*v267*/ offset:32
	ds_load_b128 v[10:13], v11 /*v267*/ offset:48
	s_wait_dscnt 0x1
	s_set_vgpr_msb 0                        ;  msbs: dst=0 src0=0 src1=0 src2=0
	v_add_f64_e32 v[6:7], v[14:15], v[6:7]
	v_add_f64_e32 v[8:9], v[16:17], v[8:9]
	s_wait_dscnt 0x0
	s_delay_alu instid0(VALU_DEP_2) | instskip(NEXT) | instid1(VALU_DEP_2)
	v_add_f64_e32 v[14:15], v[6:7], v[10:11]
	v_add_f64_e32 v[16:17], v[8:9], v[12:13]
	s_set_vgpr_msb 1                        ;  msbs: dst=0 src0=1 src1=0 src2=0
	ds_load_b128 v[6:9], v11 /*v267*/ offset:64
	;; [unrolled: 11-line block ×3, first 2 shown]
	ds_load_b128 v[10:13], v11 /*v267*/ offset:112
	s_wait_dscnt 0x1
	s_set_vgpr_msb 0                        ;  msbs: dst=0 src0=0 src1=0 src2=0
	v_add_f64_e32 v[6:7], v[14:15], v[6:7]
	v_add_f64_e32 v[8:9], v[16:17], v[8:9]
	s_wait_dscnt 0x0
	s_delay_alu instid0(VALU_DEP_2) | instskip(NEXT) | instid1(VALU_DEP_2)
	v_add_f64_e32 v[6:7], v[6:7], v[10:11]
	v_add_f64_e32 v[8:9], v[8:9], v[12:13]
.LBB22_105:                             ;   in Loop: Header=BB22_4 Depth=1
	s_or_b32 exec_lo, exec_lo, s60
	s_mul_u64 s[60:61], s[38:39], s[28:29]
	s_and_not1_b32 vcc_lo, exec_lo, s65
	s_lshl_b64 s[60:61], s[60:61], 4
	s_delay_alu instid0(SALU_CYCLE_1)
	s_add_nc_u64 s[60:61], s[40:41], s[60:61]
	s_barrier_signal -1
	s_barrier_wait -1
	s_cbranch_vccnz .LBB22_163
; %bb.106:                              ;   in Loop: Header=BB22_4 Depth=1
	v_add_nc_u64_e32 v[220:221], v[4:5], v[0:1]
	v_add_nc_u64_e32 v[222:223], v[4:5], v[214:215]
	;; [unrolled: 1-line block ×18, first 2 shown]
	s_set_vgpr_msb 64                       ;  msbs: dst=1 src0=0 src1=0 src2=0
	v_add_nc_u64_e32 v[0:1] /*v[256:257]*/, v[4:5], v[196:197]
	v_add_nc_u64_e32 v[2:3] /*v[258:259]*/, v[4:5], v[198:199]
	v_lshl_add_u64 v[4:5] /*v[260:261]*/, s[50:51], 4, v[42:43]
	s_set_vgpr_msb 1                        ;  msbs: dst=0 src0=1 src1=0 src2=0
	v_mov_b32_e32 v213, v50 /*v306*/
	s_mov_b32 s62, s70
	s_mov_b32 s71, s36
	s_delay_alu instid0(SALU_CYCLE_1)
	s_cmp_eq_u32 s66, s71
	s_cselect_b32 s72, s35, 0
	s_and_saveexec_b32 s73, s0
	s_set_vgpr_msb 0                        ;  msbs: dst=0 src0=0 src1=0 src2=0
	s_cbranch_execz .LBB22_111
.LBB22_107:                             ;   in Loop: Header=BB22_4 Depth=1
	s_set_vgpr_msb 4                        ;  msbs: dst=0 src0=0 src1=1 src2=0
	v_cmp_le_i32_e32 vcc_lo, s72, v6 /*v262*/
	s_cmp_lg_u32 s72, 0
	s_cselect_b32 s63, -1, 0
	s_delay_alu instid0(SALU_CYCLE_1) | instskip(NEXT) | instid1(SALU_CYCLE_1)
	s_and_b32 s63, s63, vcc_lo
	s_and_saveexec_b32 s74, s63
	s_delay_alu instid0(SALU_CYCLE_1)
	s_xor_b32 s63, exec_lo, s74
; %bb.108:                              ;   in Loop: Header=BB22_4 Depth=1
	v_dual_mov_b32 v3, v2 :: v_dual_mov_b32 v4, v2
	v_mov_b32_e32 v5, v2
	s_set_vgpr_msb 1                        ;  msbs: dst=0 src0=1 src1=0 src2=0
	ds_store_b128 v34 /*v290*/, v[2:5]
; %bb.109:                              ;   in Loop: Header=BB22_4 Depth=1
	s_and_not1_saveexec_b32 s63, s63
	s_set_vgpr_msb 0                        ;  msbs: dst=0 src0=0 src1=0 src2=0
	s_cbranch_execz .LBB22_111
; %bb.110:                              ;   in Loop: Header=BB22_4 Depth=1
	s_ashr_i32 s63, s62, 31
	s_set_vgpr_msb 16                       ;  msbs: dst=0 src0=0 src1=0 src2=1
	v_lshl_add_u64 v[4:5], s[62:63], 4, v[4:5] /*v[260:261]*/
	global_load_b128 v[10:13], v[4:5], off
	s_wait_loadcnt 0x0
	s_set_vgpr_msb 1                        ;  msbs: dst=0 src0=1 src1=0 src2=0
	ds_store_2addr_b64 v34 /*v290*/, v[10:11], v[12:13] offset1:1
.LBB22_111:                             ;   Parent Loop BB22_4 Depth=1
                                        ; =>  This Inner Loop Header: Depth=2
	s_wait_xcnt 0x0
	s_or_b32 exec_lo, exec_lo, s73
	s_cmp_eq_u32 s72, 0
	s_set_vgpr_msb 0                        ;  msbs: dst=0 src0=0 src1=0 src2=0
	v_add_nc_u64_e32 v[4:5], v[220:221], v[176:177]
	s_cselect_b32 s63, -1, 0
	s_cmp_lg_u32 s72, 0
	s_wait_dscnt 0x0
	s_cselect_b32 s73, -1, 0
	s_barrier_signal -1
	s_and_b32 vcc_lo, exec_lo, s73
	s_barrier_wait -1
	s_cbranch_vccz .LBB22_119
; %bb.112:                              ;   in Loop: Header=BB22_111 Depth=2
	v_mov_b64_e32 v[10:11], 0
	v_mov_b64_e32 v[14:15], 0
	;; [unrolled: 1-line block ×3, first 2 shown]
	s_mov_b32 s74, exec_lo
	s_set_vgpr_msb 4                        ;  msbs: dst=0 src0=0 src1=1 src2=0
	v_cmpx_gt_i32_e64 s72, v14 /*v270*/
	s_set_vgpr_msb 0                        ;  msbs: dst=0 src0=0 src1=0 src2=0
	s_cbranch_execz .LBB22_114
; %bb.113:                              ;   in Loop: Header=BB22_111 Depth=2
	global_load_b128 v[14:17], v[4:5], off offset:-8
.LBB22_114:                             ;   in Loop: Header=BB22_111 Depth=2
	s_wait_xcnt 0x0
	s_or_b32 exec_lo, exec_lo, s74
	v_mov_b64_e32 v[12:13], 0
	s_mov_b32 s74, exec_lo
	s_set_vgpr_msb 4                        ;  msbs: dst=0 src0=0 src1=1 src2=0
	v_cmpx_gt_i32_e64 s72, v35 /*v291*/
	s_set_vgpr_msb 0                        ;  msbs: dst=0 src0=0 src1=0 src2=0
	s_cbranch_execz .LBB22_116
; %bb.115:                              ;   in Loop: Header=BB22_111 Depth=2
	v_add_nc_u64_e32 v[10:11], v[228:229], v[176:177]
	global_load_b128 v[10:13], v[10:11], off offset:-8
.LBB22_116:                             ;   in Loop: Header=BB22_111 Depth=2
	s_wait_xcnt 0x0
	s_or_b32 exec_lo, exec_lo, s74
	v_mov_b64_e32 v[18:19], 0
	v_mov_b64_e32 v[20:21], 0
	s_mov_b32 s74, exec_lo
	s_set_vgpr_msb 4                        ;  msbs: dst=0 src0=0 src1=1 src2=0
	v_cmpx_gt_i32_e64 s72, v36 /*v292*/
	s_set_vgpr_msb 0                        ;  msbs: dst=0 src0=0 src1=0 src2=0
	s_cbranch_execz .LBB22_118
; %bb.117:                              ;   in Loop: Header=BB22_111 Depth=2
	v_add_nc_u64_e32 v[18:19], v[232:233], v[176:177]
	global_load_b128 v[18:21], v[18:19], off offset:-8
.LBB22_118:                             ;   in Loop: Header=BB22_111 Depth=2
	s_wait_xcnt 0x0
	s_or_b32 exec_lo, exec_lo, s74
	s_set_vgpr_msb 4                        ;  msbs: dst=0 src0=0 src1=1 src2=0
	v_cmp_gt_i32_e64 s74, s72, v37 /*v293*/
	s_set_vgpr_msb 0                        ;  msbs: dst=0 src0=0 src1=0 src2=0
	s_branch .LBB22_121
.LBB22_119:                             ;   in Loop: Header=BB22_111 Depth=2
	s_mov_b32 s74, 0
                                        ; implicit-def: $vgpr20_vgpr21
                                        ; implicit-def: $vgpr12_vgpr13
                                        ; implicit-def: $vgpr16_vgpr17
	s_cbranch_execz .LBB22_121
; %bb.120:                              ;   in Loop: Header=BB22_111 Depth=2
	s_wait_loadcnt 0x0
	v_add_nc_u64_e32 v[10:11], v[228:229], v[176:177]
	v_add_nc_u64_e32 v[18:19], v[224:225], v[176:177]
	s_or_b32 s74, s74, exec_lo
	global_load_b128 v[14:17], v[4:5], off offset:-8
	global_load_b128 v[10:13], v[10:11], off offset:-8
	global_load_b128 v[18:21], v[18:19], off
.LBB22_121:                             ;   in Loop: Header=BB22_111 Depth=2
	v_mov_b64_e32 v[22:23], 0
	v_mov_b64_e32 v[24:25], 0
	s_wait_xcnt 0x0
	s_and_saveexec_b32 s75, s74
	s_cbranch_execz .LBB22_123
; %bb.122:                              ;   in Loop: Header=BB22_111 Depth=2
	v_add_nc_u64_e32 v[4:5], v[236:237], v[176:177]
	global_load_b128 v[22:25], v[4:5], off offset:-8
.LBB22_123:                             ;   in Loop: Header=BB22_111 Depth=2
	s_wait_xcnt 0x0
	s_or_b32 exec_lo, exec_lo, s75
	s_set_vgpr_msb 1                        ;  msbs: dst=0 src0=1 src1=0 src2=0
	ds_load_b128 v[30:33], v27 /*v283*/
	ds_load_b128 v[26:29], v16 /*v272*/
	v_cndmask_b32_e64 v3, 0, 1, s73
	s_and_not1_b32 vcc_lo, exec_lo, s73
	s_wait_loadcnt_dscnt 0x1
	s_set_vgpr_msb 0                        ;  msbs: dst=0 src0=0 src1=0 src2=0
	v_mul_f64_e32 v[42:43], v[16:17], v[32:33]
	v_mul_f64_e32 v[4:5], v[16:17], v[30:31]
	;; [unrolled: 1-line block ×8, first 2 shown]
	v_fmac_f64_e32 v[42:43], v[14:15], v[30:31]
	v_fma_f64 v[44:45], v[14:15], v[32:33], -v[4:5]
	v_fmac_f64_e32 v[46:47], v[10:11], v[30:31]
	v_fma_f64 v[48:49], v[10:11], v[32:33], -v[34:35]
	;; [unrolled: 2-line block ×4, first 2 shown]
	s_set_vgpr_msb 1                        ;  msbs: dst=0 src0=1 src1=0 src2=0
	ds_load_b128 v[38:41], v16 /*v272*/ offset:16
	ds_load_b128 v[34:37], v16 /*v272*/ offset:32
	;; [unrolled: 1-line block ×3, first 2 shown]
	s_set_vgpr_msb 0                        ;  msbs: dst=0 src0=0 src1=0 src2=0
	v_add_nc_u64_e32 v[4:5], v[240:241], v[176:177]
	s_set_vgpr_msb 1                        ;  msbs: dst=0 src0=1 src1=0 src2=0
	ds_store_b128 v17 /*v273*/, v[42:45]
	ds_store_b128 v17 /*v273*/, v[46:49] offset:1072
	ds_store_b128 v17 /*v273*/, v[50:53] offset:2144
	;; [unrolled: 1-line block ×3, first 2 shown]
	s_wait_dscnt 0x0
	s_barrier_signal -1
	s_barrier_wait -1
	ds_load_b128 v[130:133], v18 /*v274*/
	ds_load_b128 v[126:129], v18 /*v274*/ offset:16
	ds_load_b128 v[122:125], v18 /*v274*/ offset:32
	;; [unrolled: 1-line block ×3, first 2 shown]
	s_wait_dscnt 0x0
	s_barrier_signal -1
	s_barrier_wait -1
	s_set_vgpr_msb 0                        ;  msbs: dst=0 src0=0 src1=0 src2=0
	s_cbranch_vccnz .LBB22_131
; %bb.124:                              ;   in Loop: Header=BB22_111 Depth=2
	v_mov_b64_e32 v[42:43], 0
	v_mov_b64_e32 v[46:47], 0
	;; [unrolled: 1-line block ×3, first 2 shown]
	s_mov_b32 s73, exec_lo
	s_set_vgpr_msb 4                        ;  msbs: dst=0 src0=0 src1=1 src2=0
	v_cmpx_gt_i32_e64 s72, v38 /*v294*/
	s_set_vgpr_msb 0                        ;  msbs: dst=0 src0=0 src1=0 src2=0
	s_cbranch_execz .LBB22_126
; %bb.125:                              ;   in Loop: Header=BB22_111 Depth=2
	global_load_b128 v[46:49], v[4:5], off offset:-8
.LBB22_126:                             ;   in Loop: Header=BB22_111 Depth=2
	s_wait_xcnt 0x0
	s_or_b32 exec_lo, exec_lo, s73
	v_mov_b64_e32 v[44:45], 0
	s_mov_b32 s73, exec_lo
	s_set_vgpr_msb 4                        ;  msbs: dst=0 src0=0 src1=1 src2=0
	v_cmpx_gt_i32_e64 s72, v39 /*v295*/
	s_set_vgpr_msb 0                        ;  msbs: dst=0 src0=0 src1=0 src2=0
	s_cbranch_execz .LBB22_128
; %bb.127:                              ;   in Loop: Header=BB22_111 Depth=2
	v_add_nc_u64_e32 v[42:43], v[244:245], v[176:177]
	global_load_b128 v[42:45], v[42:43], off offset:-8
.LBB22_128:                             ;   in Loop: Header=BB22_111 Depth=2
	s_wait_xcnt 0x0
	s_or_b32 exec_lo, exec_lo, s73
	v_mov_b64_e32 v[50:51], 0
	v_mov_b64_e32 v[52:53], 0
	s_mov_b32 s73, exec_lo
	s_set_vgpr_msb 4                        ;  msbs: dst=0 src0=0 src1=1 src2=0
	v_cmpx_gt_i32_e64 s72, v40 /*v296*/
	s_set_vgpr_msb 0                        ;  msbs: dst=0 src0=0 src1=0 src2=0
	s_cbranch_execz .LBB22_130
; %bb.129:                              ;   in Loop: Header=BB22_111 Depth=2
	v_add_nc_u64_e32 v[50:51], v[248:249], v[176:177]
	global_load_b128 v[50:53], v[50:51], off offset:-8
.LBB22_130:                             ;   in Loop: Header=BB22_111 Depth=2
	s_wait_xcnt 0x0
	s_or_b32 exec_lo, exec_lo, s73
	s_set_vgpr_msb 4                        ;  msbs: dst=0 src0=0 src1=1 src2=0
	v_cmp_gt_i32_e64 s73, s72, v41 /*v297*/
	s_set_vgpr_msb 0                        ;  msbs: dst=0 src0=0 src1=0 src2=0
	s_branch .LBB22_133
.LBB22_131:                             ;   in Loop: Header=BB22_111 Depth=2
	s_mov_b32 s73, 0
                                        ; implicit-def: $vgpr52_vgpr53
                                        ; implicit-def: $vgpr44_vgpr45
                                        ; implicit-def: $vgpr48_vgpr49
	s_cbranch_execz .LBB22_133
; %bb.132:                              ;   in Loop: Header=BB22_111 Depth=2
	s_wait_loadcnt 0x0
	v_add_nc_u64_e32 v[42:43], v[244:245], v[176:177]
	v_add_nc_u64_e32 v[50:51], v[252:253], v[176:177]
	s_or_b32 s73, s73, exec_lo
	global_load_b128 v[46:49], v[4:5], off offset:-8
	global_load_b128 v[42:45], v[42:43], off offset:-8
	global_load_b128 v[50:53], v[50:51], off
.LBB22_133:                             ;   in Loop: Header=BB22_111 Depth=2
	v_mov_b64_e32 v[54:55], 0
	v_mov_b64_e32 v[56:57], 0
	s_wait_xcnt 0x0
	s_and_saveexec_b32 s74, s73
	s_cbranch_execz .LBB22_135
; %bb.134:                              ;   in Loop: Header=BB22_111 Depth=2
	s_set_vgpr_msb 1                        ;  msbs: dst=0 src0=1 src1=0 src2=0
	v_add_nc_u64_e32 v[4:5], v[0:1] /*v[256:257]*/, v[176:177]
	s_set_vgpr_msb 0                        ;  msbs: dst=0 src0=0 src1=0 src2=0
	global_load_b128 v[54:57], v[4:5], off offset:-8
.LBB22_135:                             ;   in Loop: Header=BB22_111 Depth=2
	s_wait_xcnt 0x0
	s_or_b32 exec_lo, exec_lo, s74
	s_set_vgpr_msb 1                        ;  msbs: dst=0 src0=1 src1=0 src2=0
	ds_load_b128 v[62:65], v27 /*v283*/
	ds_load_b128 v[58:61], v16 /*v272*/ offset:256
	v_cmp_ne_u32_e32 vcc_lo, 1, v3
	s_and_b32 vcc_lo, exec_lo, vcc_lo
	s_wait_loadcnt_dscnt 0x1
	s_set_vgpr_msb 0                        ;  msbs: dst=0 src0=0 src1=0 src2=0
	v_mul_f64_e32 v[70:71], v[48:49], v[64:65]
	v_mul_f64_e32 v[4:5], v[48:49], v[62:63]
	;; [unrolled: 1-line block ×8, first 2 shown]
	v_fmac_f64_e32 v[70:71], v[46:47], v[62:63]
	v_fma_f64 v[72:73], v[46:47], v[64:65], -v[4:5]
	v_fmac_f64_e32 v[78:79], v[42:43], v[62:63]
	v_fma_f64 v[80:81], v[42:43], v[64:65], -v[66:67]
	;; [unrolled: 2-line block ×4, first 2 shown]
	s_set_vgpr_msb 1                        ;  msbs: dst=0 src0=1 src1=0 src2=0
	ds_load_b128 v[74:77], v16 /*v272*/ offset:272
	ds_load_b128 v[66:69], v16 /*v272*/ offset:288
	;; [unrolled: 1-line block ×3, first 2 shown]
	v_add_nc_u64_e32 v[4:5], v[2:3] /*v[258:259]*/, v[176:177]
	ds_store_b128 v17 /*v273*/, v[70:73]
	ds_store_b128 v17 /*v273*/, v[78:81] offset:1072
	ds_store_b128 v17 /*v273*/, v[82:85] offset:2144
	;; [unrolled: 1-line block ×3, first 2 shown]
	s_wait_dscnt 0x0
	s_barrier_signal -1
	s_barrier_wait -1
	ds_load_b128 v[150:153], v18 /*v274*/
	ds_load_b128 v[146:149], v18 /*v274*/ offset:16
	ds_load_b128 v[142:145], v18 /*v274*/ offset:32
	;; [unrolled: 1-line block ×3, first 2 shown]
	s_wait_dscnt 0x0
	s_barrier_signal -1
	s_barrier_wait -1
	s_set_vgpr_msb 0                        ;  msbs: dst=0 src0=0 src1=0 src2=0
	s_cbranch_vccnz .LBB22_143
; %bb.136:                              ;   in Loop: Header=BB22_111 Depth=2
	v_mov_b64_e32 v[70:71], 0
	v_mov_b64_e32 v[78:79], 0
	;; [unrolled: 1-line block ×3, first 2 shown]
	s_mov_b32 s73, exec_lo
	s_set_vgpr_msb 4                        ;  msbs: dst=0 src0=0 src1=1 src2=0
	v_cmpx_gt_i32_e64 s72, v42 /*v298*/
	s_set_vgpr_msb 0                        ;  msbs: dst=0 src0=0 src1=0 src2=0
	s_cbranch_execz .LBB22_138
; %bb.137:                              ;   in Loop: Header=BB22_111 Depth=2
	global_load_b128 v[78:81], v[4:5], off offset:-8
.LBB22_138:                             ;   in Loop: Header=BB22_111 Depth=2
	s_wait_xcnt 0x0
	s_or_b32 exec_lo, exec_lo, s73
	v_mov_b64_e32 v[72:73], 0
	s_mov_b32 s73, exec_lo
	s_set_vgpr_msb 4                        ;  msbs: dst=0 src0=0 src1=1 src2=0
	v_cmpx_gt_i32_e64 s72, v43 /*v299*/
	s_set_vgpr_msb 0                        ;  msbs: dst=0 src0=0 src1=0 src2=0
	s_cbranch_execz .LBB22_140
; %bb.139:                              ;   in Loop: Header=BB22_111 Depth=2
	v_add_nc_u64_e32 v[70:71], v[254:255], v[176:177]
	global_load_b128 v[70:73], v[70:71], off
.LBB22_140:                             ;   in Loop: Header=BB22_111 Depth=2
	s_wait_xcnt 0x0
	s_or_b32 exec_lo, exec_lo, s73
	v_mov_b64_e32 v[82:83], 0
	v_mov_b64_e32 v[84:85], 0
	s_mov_b32 s73, exec_lo
	s_set_vgpr_msb 4                        ;  msbs: dst=0 src0=0 src1=1 src2=0
	v_cmpx_gt_i32_e64 s72, v44 /*v300*/
	s_set_vgpr_msb 0                        ;  msbs: dst=0 src0=0 src1=0 src2=0
	s_cbranch_execz .LBB22_142
; %bb.141:                              ;   in Loop: Header=BB22_111 Depth=2
	v_add_nc_u64_e32 v[82:83], v[250:251], v[176:177]
	global_load_b128 v[82:85], v[82:83], off
.LBB22_142:                             ;   in Loop: Header=BB22_111 Depth=2
	s_wait_xcnt 0x0
	s_or_b32 exec_lo, exec_lo, s73
	s_set_vgpr_msb 4                        ;  msbs: dst=0 src0=0 src1=1 src2=0
	v_cmp_gt_i32_e64 s73, s72, v45 /*v301*/
	s_set_vgpr_msb 0                        ;  msbs: dst=0 src0=0 src1=0 src2=0
	s_branch .LBB22_145
.LBB22_143:                             ;   in Loop: Header=BB22_111 Depth=2
	s_mov_b32 s73, 0
                                        ; implicit-def: $vgpr84_vgpr85
                                        ; implicit-def: $vgpr72_vgpr73
                                        ; implicit-def: $vgpr80_vgpr81
	s_cbranch_execz .LBB22_145
; %bb.144:                              ;   in Loop: Header=BB22_111 Depth=2
	s_wait_loadcnt 0x0
	v_add_nc_u64_e32 v[70:71], v[254:255], v[176:177]
	v_add_nc_u64_e32 v[82:83], v[246:247], v[176:177]
	s_or_b32 s73, s73, exec_lo
	global_load_b128 v[78:81], v[4:5], off offset:-8
	global_load_b128 v[70:73], v[70:71], off
	global_load_b128 v[82:85], v[82:83], off offset:-8
.LBB22_145:                             ;   in Loop: Header=BB22_111 Depth=2
	v_mov_b64_e32 v[86:87], 0
	v_mov_b64_e32 v[88:89], 0
	s_wait_xcnt 0x0
	s_and_saveexec_b32 s74, s73
	s_cbranch_execz .LBB22_147
; %bb.146:                              ;   in Loop: Header=BB22_111 Depth=2
	v_add_nc_u64_e32 v[4:5], v[242:243], v[176:177]
	global_load_b128 v[86:89], v[4:5], off
.LBB22_147:                             ;   in Loop: Header=BB22_111 Depth=2
	s_wait_xcnt 0x0
	s_or_b32 exec_lo, exec_lo, s74
	s_set_vgpr_msb 1                        ;  msbs: dst=0 src0=1 src1=0 src2=0
	ds_load_b128 v[94:97], v27 /*v283*/
	ds_load_b128 v[90:93], v16 /*v272*/ offset:512
	v_cmp_ne_u32_e32 vcc_lo, 1, v3
	s_and_b32 vcc_lo, exec_lo, vcc_lo
	s_wait_loadcnt_dscnt 0x1
	s_set_vgpr_msb 0                        ;  msbs: dst=0 src0=0 src1=0 src2=0
	v_mul_f64_e32 v[106:107], v[80:81], v[96:97]
	v_mul_f64_e32 v[4:5], v[80:81], v[94:95]
	;; [unrolled: 1-line block ×8, first 2 shown]
	v_fmac_f64_e32 v[106:107], v[78:79], v[94:95]
	v_fma_f64 v[108:109], v[78:79], v[96:97], -v[4:5]
	v_fmac_f64_e32 v[110:111], v[70:71], v[94:95]
	v_fma_f64 v[112:113], v[70:71], v[96:97], -v[98:99]
	;; [unrolled: 2-line block ×4, first 2 shown]
	s_set_vgpr_msb 1                        ;  msbs: dst=0 src0=1 src1=0 src2=0
	ds_load_b128 v[102:105], v16 /*v272*/ offset:528
	ds_load_b128 v[98:101], v16 /*v272*/ offset:544
	;; [unrolled: 1-line block ×3, first 2 shown]
	s_set_vgpr_msb 0                        ;  msbs: dst=0 src0=0 src1=0 src2=0
	v_add_nc_u64_e32 v[4:5], v[238:239], v[176:177]
	s_set_vgpr_msb 1                        ;  msbs: dst=0 src0=1 src1=0 src2=0
	ds_store_b128 v17 /*v273*/, v[106:109]
	ds_store_b128 v17 /*v273*/, v[110:113] offset:1072
	ds_store_b128 v17 /*v273*/, v[114:117] offset:2144
	;; [unrolled: 1-line block ×3, first 2 shown]
	s_wait_dscnt 0x0
	s_barrier_signal -1
	s_barrier_wait -1
	ds_load_b128 v[166:169], v18 /*v274*/
	ds_load_b128 v[162:165], v18 /*v274*/ offset:16
	ds_load_b128 v[158:161], v18 /*v274*/ offset:32
	;; [unrolled: 1-line block ×3, first 2 shown]
	s_wait_dscnt 0x0
	s_barrier_signal -1
	s_barrier_wait -1
	s_set_vgpr_msb 0                        ;  msbs: dst=0 src0=0 src1=0 src2=0
	s_cbranch_vccnz .LBB22_155
; %bb.148:                              ;   in Loop: Header=BB22_111 Depth=2
	v_mov_b64_e32 v[106:107], 0
	v_mov_b64_e32 v[110:111], 0
	;; [unrolled: 1-line block ×3, first 2 shown]
	s_mov_b32 s73, exec_lo
	s_set_vgpr_msb 4                        ;  msbs: dst=0 src0=0 src1=1 src2=0
	v_cmpx_gt_i32_e64 s72, v46 /*v302*/
	s_set_vgpr_msb 0                        ;  msbs: dst=0 src0=0 src1=0 src2=0
	s_cbranch_execz .LBB22_150
; %bb.149:                              ;   in Loop: Header=BB22_111 Depth=2
	global_load_b128 v[110:113], v[4:5], off
.LBB22_150:                             ;   in Loop: Header=BB22_111 Depth=2
	s_wait_xcnt 0x0
	s_or_b32 exec_lo, exec_lo, s73
	v_mov_b64_e32 v[108:109], 0
	s_mov_b32 s73, exec_lo
	s_set_vgpr_msb 4                        ;  msbs: dst=0 src0=0 src1=1 src2=0
	v_cmpx_gt_i32_e64 s72, v47 /*v303*/
	s_set_vgpr_msb 0                        ;  msbs: dst=0 src0=0 src1=0 src2=0
	s_cbranch_execz .LBB22_152
; %bb.151:                              ;   in Loop: Header=BB22_111 Depth=2
	v_add_nc_u64_e32 v[106:107], v[234:235], v[176:177]
	global_load_b128 v[106:109], v[106:107], off
.LBB22_152:                             ;   in Loop: Header=BB22_111 Depth=2
	s_wait_xcnt 0x0
	s_or_b32 exec_lo, exec_lo, s73
	v_mov_b64_e32 v[114:115], 0
	v_mov_b64_e32 v[116:117], 0
	s_mov_b32 s73, exec_lo
	s_set_vgpr_msb 4                        ;  msbs: dst=0 src0=0 src1=1 src2=0
	v_cmpx_gt_i32_e64 s72, v48 /*v304*/
	s_set_vgpr_msb 0                        ;  msbs: dst=0 src0=0 src1=0 src2=0
	s_cbranch_execz .LBB22_154
; %bb.153:                              ;   in Loop: Header=BB22_111 Depth=2
	v_add_nc_u64_e32 v[114:115], v[230:231], v[176:177]
	global_load_b128 v[114:117], v[114:115], off
.LBB22_154:                             ;   in Loop: Header=BB22_111 Depth=2
	s_wait_xcnt 0x0
	s_or_b32 exec_lo, exec_lo, s73
	s_set_vgpr_msb 4                        ;  msbs: dst=0 src0=0 src1=1 src2=0
	v_cmp_gt_i32_e64 s73, s72, v49 /*v305*/
	s_set_vgpr_msb 0                        ;  msbs: dst=0 src0=0 src1=0 src2=0
	s_branch .LBB22_157
.LBB22_155:                             ;   in Loop: Header=BB22_111 Depth=2
	s_mov_b32 s73, 0
                                        ; implicit-def: $vgpr116_vgpr117
                                        ; implicit-def: $vgpr108_vgpr109
                                        ; implicit-def: $vgpr112_vgpr113
	s_cbranch_execz .LBB22_157
; %bb.156:                              ;   in Loop: Header=BB22_111 Depth=2
	s_wait_loadcnt 0x0
	v_add_nc_u64_e32 v[106:107], v[234:235], v[176:177]
	v_add_nc_u64_e32 v[114:115], v[226:227], v[176:177]
	s_or_b32 s73, s73, exec_lo
	global_load_b128 v[110:113], v[4:5], off
	global_load_b128 v[106:109], v[106:107], off
	global_load_b128 v[114:117], v[114:115], off offset:-8
.LBB22_157:                             ;   in Loop: Header=BB22_111 Depth=2
	v_mov_b64_e32 v[134:135], 0
	v_mov_b64_e32 v[136:137], 0
	s_wait_xcnt 0x0
	s_and_saveexec_b32 s74, s73
	s_cbranch_execz .LBB22_159
; %bb.158:                              ;   in Loop: Header=BB22_111 Depth=2
	v_add_nc_u64_e32 v[4:5], v[222:223], v[176:177]
	global_load_b128 v[134:137], v[4:5], off
.LBB22_159:                             ;   in Loop: Header=BB22_111 Depth=2
	s_wait_xcnt 0x0
	s_or_b32 exec_lo, exec_lo, s74
	v_add_f64_e32 v[4:5], 0, v[166:167]
	v_add_f64_e32 v[166:167], 0, v[168:169]
	s_set_vgpr_msb 4                        ;  msbs: dst=0 src0=0 src1=1 src2=0
	v_cmp_gt_i32_e32 vcc_lo, s72, v6 /*v262*/
	s_or_b32 s63, s63, vcc_lo
	s_delay_alu instid0(SALU_CYCLE_1) | instskip(SKIP_1) | instid1(VALU_DEP_3)
	s_and_b32 s72, s21, s63
	s_set_vgpr_msb 0                        ;  msbs: dst=0 src0=0 src1=0 src2=0
	v_add_f64_e32 v[4:5], v[4:5], v[162:163]
	s_delay_alu instid0(VALU_DEP_3) | instskip(NEXT) | instid1(VALU_DEP_2)
	v_add_f64_e32 v[162:163], v[166:167], v[164:165]
	v_add_f64_e32 v[4:5], v[4:5], v[158:159]
	s_delay_alu instid0(VALU_DEP_2) | instskip(NEXT) | instid1(VALU_DEP_2)
	v_add_f64_e32 v[158:159], v[162:163], v[160:161]
	v_add_f64_e32 v[154:155], v[4:5], v[154:155]
	;; [unrolled: 1-line block ×4, first 2 shown]
	s_delay_alu instid0(VALU_DEP_4) | instskip(NEXT) | instid1(VALU_DEP_3)
	v_add_f64_e32 v[156:157], v[158:159], v[156:157]
	v_add_f64_e32 v[4:5], v[4:5], v[146:147]
	s_delay_alu instid0(VALU_DEP_3) | instskip(NEXT) | instid1(VALU_DEP_2)
	v_add_f64_e32 v[146:147], v[150:151], v[148:149]
	v_add_f64_e32 v[4:5], v[4:5], v[142:143]
	s_delay_alu instid0(VALU_DEP_2) | instskip(NEXT) | instid1(VALU_DEP_2)
	v_add_f64_e32 v[142:143], v[146:147], v[144:145]
	v_add_f64_e32 v[138:139], v[4:5], v[138:139]
	;; [unrolled: 1-line block ×4, first 2 shown]
	s_delay_alu instid0(VALU_DEP_4) | instskip(NEXT) | instid1(VALU_DEP_3)
	v_add_f64_e32 v[140:141], v[142:143], v[140:141]
	v_add_f64_e32 v[4:5], v[4:5], v[126:127]
	s_delay_alu instid0(VALU_DEP_3) | instskip(NEXT) | instid1(VALU_DEP_2)
	v_add_f64_e32 v[126:127], v[130:131], v[128:129]
	v_add_f64_e32 v[4:5], v[4:5], v[122:123]
	s_delay_alu instid0(VALU_DEP_2) | instskip(NEXT) | instid1(VALU_DEP_2)
	v_add_f64_e32 v[122:123], v[126:127], v[124:125]
	v_add_f64_e32 v[142:143], v[4:5], v[118:119]
	s_delay_alu instid0(VALU_DEP_2)
	v_add_f64_e32 v[144:145], v[122:123], v[120:121]
	s_set_vgpr_msb 1                        ;  msbs: dst=0 src0=1 src1=0 src2=0
	ds_load_b128 v[146:149], v27 /*v283*/
	ds_load_b128 v[130:133], v16 /*v272*/ offset:768
	ds_load_b128 v[126:129], v16 /*v272*/ offset:784
	;; [unrolled: 1-line block ×4, first 2 shown]
	s_wait_loadcnt_dscnt 0x4
	s_set_vgpr_msb 0                        ;  msbs: dst=0 src0=0 src1=0 src2=0
	v_mul_f64_e32 v[150:151], v[112:113], v[148:149]
	v_mul_f64_e32 v[4:5], v[112:113], v[146:147]
	s_delay_alu instid0(VALU_DEP_2) | instskip(NEXT) | instid1(VALU_DEP_2)
	v_fmac_f64_e32 v[150:151], v[110:111], v[146:147]
	v_fma_f64 v[152:153], v[110:111], v[148:149], -v[4:5]
	v_mul_f64_e32 v[4:5], v[108:109], v[146:147]
	s_set_vgpr_msb 1                        ;  msbs: dst=0 src0=1 src1=0 src2=0
	ds_store_b128 v17 /*v273*/, v[150:153]
	s_set_vgpr_msb 0                        ;  msbs: dst=0 src0=0 src1=0 src2=0
	v_mul_f64_e32 v[150:151], v[108:109], v[148:149]
	v_fma_f64 v[152:153], v[106:107], v[148:149], -v[4:5]
	v_mul_f64_e32 v[4:5], v[116:117], v[146:147]
	s_delay_alu instid0(VALU_DEP_3)
	v_fmac_f64_e32 v[150:151], v[106:107], v[146:147]
	s_set_vgpr_msb 1                        ;  msbs: dst=0 src0=1 src1=0 src2=0
	ds_store_b128 v17 /*v273*/, v[150:153] offset:1072
	s_set_vgpr_msb 0                        ;  msbs: dst=0 src0=0 src1=0 src2=0
	v_mul_f64_e32 v[150:151], v[116:117], v[148:149]
	v_fma_f64 v[152:153], v[114:115], v[148:149], -v[4:5]
	v_mul_f64_e32 v[4:5], v[136:137], v[146:147]
	s_delay_alu instid0(VALU_DEP_3)
	v_fmac_f64_e32 v[150:151], v[114:115], v[146:147]
	s_set_vgpr_msb 1                        ;  msbs: dst=0 src0=1 src1=0 src2=0
	ds_store_b128 v17 /*v273*/, v[150:153] offset:2144
	s_set_vgpr_msb 0                        ;  msbs: dst=0 src0=0 src1=0 src2=0
	v_mul_f64_e32 v[150:151], v[136:137], v[148:149]
	v_fma_f64 v[152:153], v[134:135], v[148:149], -v[4:5]
	s_delay_alu instid0(VALU_DEP_2)
	v_fmac_f64_e32 v[150:151], v[134:135], v[146:147]
	s_set_vgpr_msb 1                        ;  msbs: dst=0 src0=1 src1=0 src2=0
	ds_store_b128 v17 /*v273*/, v[150:153] offset:3216
	s_wait_dscnt 0x0
	s_barrier_signal -1
	s_barrier_wait -1
	ds_load_b128 v[146:149], v18 /*v274*/
	ds_load_b128 v[150:153], v18 /*v274*/ offset:16
	ds_load_b128 v[158:161], v18 /*v274*/ offset:32
	;; [unrolled: 1-line block ×3, first 2 shown]
	s_wait_dscnt 0x0
	s_barrier_signal -1
	s_barrier_wait -1
	v_add_f64_e32 v[4:5], 0, v[146:147]
	v_add_f64_e32 v[146:147], 0, v[148:149]
	s_set_vgpr_msb 0                        ;  msbs: dst=0 src0=0 src1=0 src2=0
	s_delay_alu instid0(VALU_DEP_2) | instskip(NEXT) | instid1(VALU_DEP_2)
	v_add_f64_e32 v[4:5], v[4:5], v[150:151]
	v_add_f64_e32 v[146:147], v[146:147], v[152:153]
	s_delay_alu instid0(VALU_DEP_2) | instskip(NEXT) | instid1(VALU_DEP_2)
	v_add_f64_e32 v[4:5], v[4:5], v[158:159]
	v_add_f64_e32 v[148:149], v[146:147], v[160:161]
	;; [unrolled: 3-line block ×3, first 2 shown]
	s_set_vgpr_msb 1                        ;  msbs: dst=0 src0=1 src1=0 src2=0
	ds_store_b128 v26 /*v282*/, v[142:145]
	ds_store_b128 v26 /*v282*/, v[138:141] offset:256
	ds_store_b128 v26 /*v282*/, v[154:157] offset:512
	;; [unrolled: 1-line block ×3, first 2 shown]
	s_wait_dscnt 0x0
	s_barrier_signal -1
	s_barrier_wait -1
	s_and_saveexec_b32 s63, s72
	s_set_vgpr_msb 0                        ;  msbs: dst=0 src0=0 src1=0 src2=0
	s_cbranch_execz .LBB22_161
; %bb.160:                              ;   in Loop: Header=BB22_111 Depth=2
	s_set_vgpr_msb 1                        ;  msbs: dst=0 src0=1 src1=0 src2=0
	ds_load_b128 v[138:141], v19 /*v275*/
	ds_load_b128 v[142:145], v19 /*v275*/ offset:16
	s_wait_dscnt 0x0
	s_set_vgpr_msb 0                        ;  msbs: dst=0 src0=0 src1=0 src2=0
	v_add_f64_e32 v[4:5], v[142:143], v[138:139]
	v_add_f64_e32 v[146:147], v[144:145], v[140:141]
	s_set_vgpr_msb 1                        ;  msbs: dst=0 src0=1 src1=0 src2=0
	ds_load_b128 v[138:141], v19 /*v275*/ offset:32
	ds_load_b128 v[142:145], v19 /*v275*/ offset:48
	s_wait_dscnt 0x1
	s_set_vgpr_msb 0                        ;  msbs: dst=0 src0=0 src1=0 src2=0
	v_add_f64_e32 v[4:5], v[4:5], v[138:139]
	v_add_f64_e32 v[138:139], v[146:147], v[140:141]
	s_wait_dscnt 0x0
	s_delay_alu instid0(VALU_DEP_2) | instskip(NEXT) | instid1(VALU_DEP_2)
	v_add_f64_e32 v[4:5], v[4:5], v[142:143]
	v_add_f64_e32 v[146:147], v[138:139], v[144:145]
	s_set_vgpr_msb 1                        ;  msbs: dst=0 src0=1 src1=0 src2=0
	ds_load_b128 v[138:141], v19 /*v275*/ offset:64
	ds_load_b128 v[142:145], v19 /*v275*/ offset:80
	s_wait_dscnt 0x1
	s_set_vgpr_msb 0                        ;  msbs: dst=0 src0=0 src1=0 src2=0
	v_add_f64_e32 v[4:5], v[4:5], v[138:139]
	v_add_f64_e32 v[138:139], v[146:147], v[140:141]
	s_wait_dscnt 0x0
	s_delay_alu instid0(VALU_DEP_2) | instskip(NEXT) | instid1(VALU_DEP_2)
	;; [unrolled: 11-line block ×6, first 2 shown]
	v_add_f64_e32 v[4:5], v[4:5], v[142:143]
	v_add_f64_e32 v[146:147], v[138:139], v[144:145]
	s_set_vgpr_msb 1                        ;  msbs: dst=0 src0=1 src1=0 src2=0
	ds_load_b128 v[138:141], v19 /*v275*/ offset:224
	ds_load_b128 v[142:145], v20 /*v276*/
	s_wait_dscnt 0x1
	s_set_vgpr_msb 0                        ;  msbs: dst=0 src0=0 src1=0 src2=0
	v_add_f64_e32 v[4:5], v[4:5], v[138:139]
	v_add_f64_e32 v[140:141], v[146:147], v[140:141]
	s_wait_dscnt 0x0
	s_delay_alu instid0(VALU_DEP_2) | instskip(NEXT) | instid1(VALU_DEP_2)
	v_add_f64_e32 v[138:139], v[4:5], v[142:143]
	v_add_f64_e32 v[140:141], v[140:141], v[144:145]
	global_store_b128 v213, v[138:141], s[60:61] scale_offset
.LBB22_161:                             ;   in Loop: Header=BB22_111 Depth=2
	s_wait_xcnt 0x0
	s_or_b32 exec_lo, exec_lo, s63
	v_mul_f64_e32 v[4:5], v[16:17], v[28:29]
	v_mul_f64_e32 v[28:29], v[14:15], v[28:29]
	;; [unrolled: 1-line block ×4, first 2 shown]
	v_add_nc_u64_e32 v[220:221], s[58:59], v[220:221]
	v_add_nc_u64_e32 v[222:223], s[58:59], v[222:223]
	;; [unrolled: 1-line block ×18, first 2 shown]
	s_set_vgpr_msb 0x44                     ;  msbs: dst=1 src0=0 src1=1 src2=0
	v_add_nc_u64_e32 v[0:1] /*v[256:257]*/, s[58:59], v[0:1] /*v[256:257]*/
	v_add_nc_u64_e32 v[2:3] /*v[258:259]*/, s[58:59], v[2:3] /*v[258:259]*/
	s_add_co_i32 s63, s71, 1
	s_add_co_i32 s71, s71, 2
	;; [unrolled: 1-line block ×3, first 2 shown]
	s_cmp_ge_u32 s71, s34
	s_wait_storecnt 0x0
	s_barrier_signal -1
	s_barrier_wait -1
	s_set_vgpr_msb 0                        ;  msbs: dst=0 src0=0 src1=0 src2=0
	v_dual_fma_f64 v[4:5], v[14:15], v[26:27], -v[4:5] :: v_dual_add_nc_u32 v213, 64, v213
	v_fmac_f64_e32 v[28:29], v[16:17], v[26:27]
	v_mul_f64_e32 v[14:15], v[20:21], v[36:37]
	v_mul_f64_e32 v[16:17], v[18:19], v[36:37]
	v_fma_f64 v[10:11], v[10:11], v[38:39], -v[138:139]
	v_fmac_f64_e32 v[40:41], v[12:13], v[38:39]
	v_mul_f64_e32 v[12:13], v[22:23], v[32:33]
	v_add_f64_e32 v[4:5], v[6:7], v[4:5]
	v_add_f64_e32 v[6:7], v[8:9], v[28:29]
	v_mul_f64_e32 v[8:9], v[24:25], v[32:33]
	v_fma_f64 v[14:15], v[18:19], v[34:35], -v[14:15]
	v_fmac_f64_e32 v[16:17], v[20:21], v[34:35]
	v_mul_f64_e32 v[18:19], v[46:47], v[60:61]
	v_fmac_f64_e32 v[12:13], v[24:25], v[30:31]
	v_add_f64_e32 v[4:5], v[4:5], v[10:11]
	v_mul_f64_e32 v[10:11], v[48:49], v[60:61]
	v_add_f64_e32 v[6:7], v[6:7], v[40:41]
	v_fma_f64 v[8:9], v[22:23], v[30:31], -v[8:9]
	v_fmac_f64_e32 v[18:19], v[48:49], v[58:59]
	v_add_f64_e32 v[4:5], v[4:5], v[14:15]
	v_mul_f64_e32 v[14:15], v[44:45], v[76:77]
	v_add_f64_e32 v[6:7], v[6:7], v[16:17]
	v_mul_f64_e32 v[16:17], v[42:43], v[76:77]
	v_fma_f64 v[10:11], v[46:47], v[58:59], -v[10:11]
	v_add_f64_e32 v[4:5], v[4:5], v[8:9]
	v_mul_f64_e32 v[8:9], v[52:53], v[68:69]
	v_add_f64_e32 v[6:7], v[6:7], v[12:13]
	v_mul_f64_e32 v[12:13], v[50:51], v[68:69]
	v_fma_f64 v[14:15], v[42:43], v[74:75], -v[14:15]
	v_fmac_f64_e32 v[16:17], v[44:45], v[74:75]
	v_add_f64_e32 v[4:5], v[4:5], v[10:11]
	v_mul_f64_e32 v[10:11], v[56:57], v[64:65]
	v_add_f64_e32 v[6:7], v[6:7], v[18:19]
	v_mul_f64_e32 v[18:19], v[54:55], v[64:65]
	v_fma_f64 v[8:9], v[50:51], v[66:67], -v[8:9]
	v_fmac_f64_e32 v[12:13], v[52:53], v[66:67]
	v_add_f64_e32 v[4:5], v[4:5], v[14:15]
	v_mul_f64_e32 v[14:15], v[80:81], v[92:93]
	v_add_f64_e32 v[6:7], v[6:7], v[16:17]
	v_mul_f64_e32 v[16:17], v[78:79], v[92:93]
	v_fma_f64 v[10:11], v[54:55], v[62:63], -v[10:11]
	v_fmac_f64_e32 v[18:19], v[56:57], v[62:63]
	v_add_f64_e32 v[4:5], v[4:5], v[8:9]
	v_mul_f64_e32 v[8:9], v[72:73], v[104:105]
	v_add_f64_e32 v[6:7], v[6:7], v[12:13]
	v_mul_f64_e32 v[12:13], v[70:71], v[104:105]
	v_fma_f64 v[14:15], v[78:79], v[90:91], -v[14:15]
	v_fmac_f64_e32 v[16:17], v[80:81], v[90:91]
	v_add_f64_e32 v[4:5], v[4:5], v[10:11]
	v_mul_f64_e32 v[10:11], v[84:85], v[100:101]
	v_add_f64_e32 v[6:7], v[6:7], v[18:19]
	v_mul_f64_e32 v[18:19], v[82:83], v[100:101]
	v_fma_f64 v[8:9], v[70:71], v[102:103], -v[8:9]
	v_fmac_f64_e32 v[12:13], v[72:73], v[102:103]
	v_add_f64_e32 v[4:5], v[4:5], v[14:15]
	v_mul_f64_e32 v[14:15], v[88:89], v[96:97]
	v_add_f64_e32 v[6:7], v[6:7], v[16:17]
	v_mul_f64_e32 v[16:17], v[86:87], v[96:97]
	v_fma_f64 v[10:11], v[82:83], v[98:99], -v[10:11]
	v_fmac_f64_e32 v[18:19], v[84:85], v[98:99]
	v_add_f64_e32 v[4:5], v[4:5], v[8:9]
	v_mul_f64_e32 v[8:9], v[112:113], v[132:133]
	v_add_f64_e32 v[6:7], v[6:7], v[12:13]
	v_mul_f64_e32 v[12:13], v[110:111], v[132:133]
	v_fma_f64 v[14:15], v[86:87], v[94:95], -v[14:15]
	v_fmac_f64_e32 v[16:17], v[88:89], v[94:95]
	v_add_f64_e32 v[4:5], v[4:5], v[10:11]
	v_mul_f64_e32 v[10:11], v[108:109], v[128:129]
	v_add_f64_e32 v[6:7], v[6:7], v[18:19]
	v_mul_f64_e32 v[18:19], v[106:107], v[128:129]
	v_fma_f64 v[8:9], v[110:111], v[130:131], -v[8:9]
	v_fmac_f64_e32 v[12:13], v[112:113], v[130:131]
	v_add_f64_e32 v[4:5], v[4:5], v[14:15]
	v_mul_f64_e32 v[14:15], v[116:117], v[124:125]
	v_add_f64_e32 v[6:7], v[6:7], v[16:17]
	v_mul_f64_e32 v[16:17], v[114:115], v[124:125]
	v_fma_f64 v[10:11], v[106:107], v[126:127], -v[10:11]
	v_fmac_f64_e32 v[18:19], v[108:109], v[126:127]
	v_add_f64_e32 v[4:5], v[4:5], v[8:9]
	v_mul_f64_e32 v[8:9], v[136:137], v[120:121]
	v_add_f64_e32 v[6:7], v[6:7], v[12:13]
	v_mul_f64_e32 v[12:13], v[134:135], v[120:121]
	v_fma_f64 v[14:15], v[114:115], v[122:123], -v[14:15]
	v_fmac_f64_e32 v[16:17], v[116:117], v[122:123]
	v_add_f64_e32 v[4:5], v[4:5], v[10:11]
	v_fma_f64 v[8:9], v[134:135], v[118:119], -v[8:9]
	v_add_f64_e32 v[6:7], v[6:7], v[18:19]
	v_fmac_f64_e32 v[12:13], v[136:137], v[118:119]
	s_delay_alu instid0(VALU_DEP_4) | instskip(NEXT) | instid1(VALU_DEP_3)
	v_add_f64_e32 v[4:5], v[4:5], v[14:15]
	v_add_f64_e32 v[10:11], v[6:7], v[16:17]
	s_delay_alu instid0(VALU_DEP_2) | instskip(NEXT) | instid1(VALU_DEP_2)
	v_add_f64_e32 v[6:7], v[4:5], v[8:9]
	v_add_f64_e32 v[8:9], v[10:11], v[12:13]
	s_cbranch_scc1 .LBB22_163
; %bb.162:                              ;   in Loop: Header=BB22_111 Depth=2
	s_mov_b32 s71, s63
	s_delay_alu instid0(SALU_CYCLE_1)
	s_cmp_eq_u32 s66, s71
	s_cselect_b32 s72, s35, 0
	s_and_saveexec_b32 s73, s0
	s_cbranch_execnz .LBB22_107
	s_branch .LBB22_111
.LBB22_163:                             ;   in Loop: Header=BB22_4 Depth=1
	s_set_vgpr_msb 1                        ;  msbs: dst=0 src0=1 src1=0 src2=0
	ds_store_b128 v21 /*v277*/, v[6:9]
	s_wait_dscnt 0x0
	s_barrier_signal -1
	s_barrier_wait -1
	s_and_saveexec_b32 s62, s68
	s_set_vgpr_msb 0                        ;  msbs: dst=0 src0=0 src1=0 src2=0
	s_cbranch_execz .LBB22_2
; %bb.164:                              ;   in Loop: Header=BB22_4 Depth=1
	s_set_vgpr_msb 1                        ;  msbs: dst=0 src0=1 src1=0 src2=0
	ds_load_b128 v[4:7], v7 /*v263*/ offset:1072
	ds_load_b128 v[8:11], v7 /*v263*/
	s_wait_dscnt 0x0
	s_set_vgpr_msb 0                        ;  msbs: dst=0 src0=0 src1=0 src2=0
	v_add_f64_e32 v[12:13], v[4:5], v[8:9]
	v_add_f64_e32 v[14:15], v[6:7], v[10:11]
	s_set_vgpr_msb 1                        ;  msbs: dst=0 src0=1 src1=0 src2=0
	ds_load_b128 v[4:7], v7 /*v263*/ offset:2144
	ds_load_b128 v[8:11], v7 /*v263*/ offset:3216
	s_wait_dscnt 0x1
	s_set_vgpr_msb 0                        ;  msbs: dst=0 src0=0 src1=0 src2=0
	v_add_f64_e32 v[4:5], v[12:13], v[4:5]
	v_add_f64_e32 v[6:7], v[14:15], v[6:7]
	s_wait_dscnt 0x0
	s_delay_alu instid0(VALU_DEP_2) | instskip(NEXT) | instid1(VALU_DEP_2)
	v_add_f64_e32 v[4:5], v[4:5], v[8:9]
	v_add_f64_e32 v[6:7], v[6:7], v[10:11]
	v_lshl_add_u64 v[8:9], v[170:171], 4, s[60:61]
	global_store_b128 v[8:9], v[4:7], off
	s_branch .LBB22_2
.LBB22_165:                             ;   in Loop: Header=BB22_4 Depth=1
	s_set_vgpr_msb 1                        ;  msbs: dst=0 src0=1 src1=0 src2=0
	ds_load_b128 v[4:7], v25 /*v281*/
	s_mov_b32 s60, exec_lo
	s_wait_dscnt 0x0
	v_xor_b32_e32 v7, 0x80000000, v7
	ds_store_b64 v31 /*v287*/, v[4:5]
	s_or_saveexec_b32 s61, s61
	v_mov_b32_e32 v3, v31 /*v287*/
	s_xor_b32 exec_lo, exec_lo, s61
	s_set_vgpr_msb 0                        ;  msbs: dst=0 src0=0 src1=0 src2=0
	s_cbranch_execz .LBB22_33
.LBB22_166:                             ;   in Loop: Header=BB22_4 Depth=1
	v_mov_b64_e32 v[6:7], 0
	s_set_vgpr_msb 1                        ;  msbs: dst=0 src0=1 src1=0 src2=0
	v_mov_b32_e32 v3, v9 /*v265*/
	s_and_not1_b32 s60, s60, exec_lo
	s_and_b32 s62, s9, exec_lo
	s_delay_alu instid0(SALU_CYCLE_1)
	s_or_b32 s60, s60, s62
	s_or_b32 exec_lo, exec_lo, s61
	s_and_saveexec_b32 s61, s60
	s_set_vgpr_msb 0                        ;  msbs: dst=0 src0=0 src1=0 src2=0
	s_cbranch_execnz .LBB22_34
	s_branch .LBB22_35
.LBB22_167:                             ;   in Loop: Header=BB22_4 Depth=1
	s_set_vgpr_msb 1                        ;  msbs: dst=0 src0=1 src1=0 src2=0
	ds_load_b128 v[10:13], v25 /*v281*/
	s_mov_b32 s60, exec_lo
	s_wait_dscnt 0x0
	v_xor_b32_e32 v13, 0x80000000, v13
	ds_store_b64 v31 /*v287*/, v[10:11]
	s_or_saveexec_b32 s61, s61
	v_mov_b32_e32 v3, v31 /*v287*/
	s_xor_b32 exec_lo, exec_lo, s61
	s_set_vgpr_msb 0                        ;  msbs: dst=0 src0=0 src1=0 src2=0
	s_cbranch_execz .LBB22_71
.LBB22_168:                             ;   in Loop: Header=BB22_4 Depth=1
	v_mov_b64_e32 v[12:13], 0
	s_set_vgpr_msb 1                        ;  msbs: dst=0 src0=1 src1=0 src2=0
	v_mov_b32_e32 v3, v9 /*v265*/
	s_and_not1_b32 s60, s60, exec_lo
	s_and_b32 s62, s9, exec_lo
	s_delay_alu instid0(SALU_CYCLE_1)
	s_or_b32 s60, s60, s62
	s_or_b32 exec_lo, exec_lo, s61
	s_and_saveexec_b32 s61, s60
	s_set_vgpr_msb 0                        ;  msbs: dst=0 src0=0 src1=0 src2=0
	s_cbranch_execnz .LBB22_72
	s_branch .LBB22_73
.LBB22_169:                             ;   in Loop: Header=BB22_4 Depth=1
	global_load_b128 v[10:13], v[8:9], off
	s_wait_loadcnt 0x0
	s_set_vgpr_msb 1                        ;  msbs: dst=0 src0=1 src1=0 src2=0
	ds_store_2addr_b64 v8 /*v264*/, v[10:11], v[12:13] offset1:1
	s_wait_xcnt 0x0
	s_or_b32 exec_lo, exec_lo, s60
	s_and_saveexec_b32 s60, s3
	s_delay_alu instid0(SALU_CYCLE_1)
	s_xor_b32 s60, exec_lo, s60
	s_set_vgpr_msb 0                        ;  msbs: dst=0 src0=0 src1=0 src2=0
	s_cbranch_execz .LBB22_16
.LBB22_170:                             ;   in Loop: Header=BB22_4 Depth=1
	v_dual_mov_b32 v3, v2 :: v_dual_mov_b32 v4, v2
	v_mov_b32_e32 v5, v2
	s_set_vgpr_msb 1                        ;  msbs: dst=0 src0=1 src1=0 src2=0
	ds_store_b128 v28 /*v284*/, v[2:5]
	s_and_not1_saveexec_b32 s60, s60
	s_set_vgpr_msb 0                        ;  msbs: dst=0 src0=0 src1=0 src2=0
	s_cbranch_execz .LBB22_17
.LBB22_171:                             ;   in Loop: Header=BB22_4 Depth=1
	v_lshl_add_u64 v[4:5], s[42:43], 4, v[8:9]
	global_load_b128 v[10:13], v[4:5], off
	s_wait_loadcnt 0x0
	s_set_vgpr_msb 1                        ;  msbs: dst=0 src0=1 src1=0 src2=0
	ds_store_2addr_b64 v28 /*v284*/, v[10:11], v[12:13] offset1:1
	s_wait_xcnt 0x0
	s_or_b32 exec_lo, exec_lo, s60
	s_and_saveexec_b32 s60, s4
	s_delay_alu instid0(SALU_CYCLE_1)
	s_xor_b32 s60, exec_lo, s60
	s_set_vgpr_msb 0                        ;  msbs: dst=0 src0=0 src1=0 src2=0
	s_cbranch_execz .LBB22_18
.LBB22_172:                             ;   in Loop: Header=BB22_4 Depth=1
	v_dual_mov_b32 v3, v2 :: v_dual_mov_b32 v4, v2
	v_mov_b32_e32 v5, v2
	s_set_vgpr_msb 1                        ;  msbs: dst=0 src0=1 src1=0 src2=0
	ds_store_b128 v29 /*v285*/, v[2:5]
	s_and_not1_saveexec_b32 s60, s60
	s_set_vgpr_msb 0                        ;  msbs: dst=0 src0=0 src1=0 src2=0
	s_cbranch_execz .LBB22_19
.LBB22_173:                             ;   in Loop: Header=BB22_4 Depth=1
	v_lshl_add_u64 v[4:5], s[44:45], 4, v[8:9]
	global_load_b128 v[10:13], v[4:5], off
	s_wait_loadcnt 0x0
	s_set_vgpr_msb 1                        ;  msbs: dst=0 src0=1 src1=0 src2=0
	ds_store_2addr_b64 v29 /*v285*/, v[10:11], v[12:13] offset1:1
	s_wait_xcnt 0x0
	s_or_b32 exec_lo, exec_lo, s60
	s_and_saveexec_b32 s60, s5
	s_delay_alu instid0(SALU_CYCLE_1)
	s_xor_b32 s60, exec_lo, s60
	s_set_vgpr_msb 0                        ;  msbs: dst=0 src0=0 src1=0 src2=0
	s_cbranch_execz .LBB22_20
.LBB22_174:                             ;   in Loop: Header=BB22_4 Depth=1
	v_dual_mov_b32 v3, v2 :: v_dual_mov_b32 v4, v2
	v_mov_b32_e32 v5, v2
	s_set_vgpr_msb 1                        ;  msbs: dst=0 src0=1 src1=0 src2=0
	ds_store_b128 v30 /*v286*/, v[2:5]
	s_and_not1_saveexec_b32 s60, s60
	s_set_vgpr_msb 0                        ;  msbs: dst=0 src0=0 src1=0 src2=0
	s_cbranch_execnz .LBB22_21
	s_branch .LBB22_22
.LBB22_175:                             ;   in Loop: Header=BB22_4 Depth=1
	global_load_b128 v[16:19], v[14:15], off
	s_wait_loadcnt 0x0
	s_set_vgpr_msb 1                        ;  msbs: dst=0 src0=1 src1=0 src2=0
	ds_store_2addr_b64 v8 /*v264*/, v[16:17], v[18:19] offset1:1
	s_wait_xcnt 0x0
	s_or_b32 exec_lo, exec_lo, s60
	s_and_saveexec_b32 s60, s17
	s_delay_alu instid0(SALU_CYCLE_1)
	s_xor_b32 s60, exec_lo, s60
	s_set_vgpr_msb 0                        ;  msbs: dst=0 src0=0 src1=0 src2=0
	s_cbranch_execz .LBB22_54
.LBB22_176:                             ;   in Loop: Header=BB22_4 Depth=1
	v_dual_mov_b32 v3, v2 :: v_dual_mov_b32 v4, v2
	v_mov_b32_e32 v5, v2
	s_set_vgpr_msb 1                        ;  msbs: dst=0 src0=1 src1=0 src2=0
	ds_store_b128 v28 /*v284*/, v[2:5]
	s_and_not1_saveexec_b32 s60, s60
	s_set_vgpr_msb 0                        ;  msbs: dst=0 src0=0 src1=0 src2=0
	s_cbranch_execz .LBB22_55
.LBB22_177:                             ;   in Loop: Header=BB22_4 Depth=1
	v_lshl_add_u64 v[4:5], s[42:43], 4, v[14:15]
	global_load_b128 v[16:19], v[4:5], off
	s_wait_loadcnt 0x0
	s_set_vgpr_msb 1                        ;  msbs: dst=0 src0=1 src1=0 src2=0
	ds_store_2addr_b64 v28 /*v284*/, v[16:17], v[18:19] offset1:1
	s_wait_xcnt 0x0
	s_or_b32 exec_lo, exec_lo, s60
	s_and_saveexec_b32 s60, s18
	s_delay_alu instid0(SALU_CYCLE_1)
	s_xor_b32 s60, exec_lo, s60
	s_set_vgpr_msb 0                        ;  msbs: dst=0 src0=0 src1=0 src2=0
	s_cbranch_execz .LBB22_56
.LBB22_178:                             ;   in Loop: Header=BB22_4 Depth=1
	v_dual_mov_b32 v3, v2 :: v_dual_mov_b32 v4, v2
	v_mov_b32_e32 v5, v2
	s_set_vgpr_msb 1                        ;  msbs: dst=0 src0=1 src1=0 src2=0
	ds_store_b128 v29 /*v285*/, v[2:5]
	s_and_not1_saveexec_b32 s60, s60
	s_set_vgpr_msb 0                        ;  msbs: dst=0 src0=0 src1=0 src2=0
	s_cbranch_execz .LBB22_57
.LBB22_179:                             ;   in Loop: Header=BB22_4 Depth=1
	v_lshl_add_u64 v[4:5], s[44:45], 4, v[14:15]
	global_load_b128 v[16:19], v[4:5], off
	s_wait_loadcnt 0x0
	s_set_vgpr_msb 1                        ;  msbs: dst=0 src0=1 src1=0 src2=0
	ds_store_2addr_b64 v29 /*v285*/, v[16:17], v[18:19] offset1:1
	s_wait_xcnt 0x0
	s_or_b32 exec_lo, exec_lo, s60
	s_and_saveexec_b32 s60, s19
	s_delay_alu instid0(SALU_CYCLE_1)
	s_xor_b32 s60, exec_lo, s60
	s_set_vgpr_msb 0                        ;  msbs: dst=0 src0=0 src1=0 src2=0
	s_cbranch_execz .LBB22_58
.LBB22_180:                             ;   in Loop: Header=BB22_4 Depth=1
	v_dual_mov_b32 v3, v2 :: v_dual_mov_b32 v4, v2
	v_mov_b32_e32 v5, v2
	s_set_vgpr_msb 1                        ;  msbs: dst=0 src0=1 src1=0 src2=0
	ds_store_b128 v30 /*v286*/, v[2:5]
	s_and_not1_saveexec_b32 s60, s60
	s_set_vgpr_msb 0                        ;  msbs: dst=0 src0=0 src1=0 src2=0
	s_cbranch_execnz .LBB22_59
	s_branch .LBB22_60
.LBB22_181:                             ;   in Loop: Header=BB22_4 Depth=1
	global_load_b128 v[16:19], v[12:13], off
	s_wait_loadcnt 0x0
	s_set_vgpr_msb 1                        ;  msbs: dst=0 src0=1 src1=0 src2=0
	ds_store_2addr_b64 v8 /*v264*/, v[16:17], v[18:19] offset1:1
	s_wait_xcnt 0x0
	s_or_b32 exec_lo, exec_lo, s60
	s_and_saveexec_b32 s60, s17
	s_delay_alu instid0(SALU_CYCLE_1)
	s_xor_b32 s60, exec_lo, s60
	s_set_vgpr_msb 0                        ;  msbs: dst=0 src0=0 src1=0 src2=0
	s_cbranch_execz .LBB22_92
.LBB22_182:                             ;   in Loop: Header=BB22_4 Depth=1
	v_dual_mov_b32 v3, v2 :: v_dual_mov_b32 v4, v2
	v_mov_b32_e32 v5, v2
	s_set_vgpr_msb 1                        ;  msbs: dst=0 src0=1 src1=0 src2=0
	ds_store_b128 v28 /*v284*/, v[2:5]
	s_and_not1_saveexec_b32 s60, s60
	s_set_vgpr_msb 0                        ;  msbs: dst=0 src0=0 src1=0 src2=0
	s_cbranch_execz .LBB22_93
.LBB22_183:                             ;   in Loop: Header=BB22_4 Depth=1
	v_lshl_add_u64 v[4:5], s[42:43], 4, v[12:13]
	global_load_b128 v[16:19], v[4:5], off
	s_wait_loadcnt 0x0
	s_set_vgpr_msb 1                        ;  msbs: dst=0 src0=1 src1=0 src2=0
	ds_store_2addr_b64 v28 /*v284*/, v[16:17], v[18:19] offset1:1
	s_wait_xcnt 0x0
	s_or_b32 exec_lo, exec_lo, s60
	s_and_saveexec_b32 s60, s18
	s_delay_alu instid0(SALU_CYCLE_1)
	s_xor_b32 s60, exec_lo, s60
	s_set_vgpr_msb 0                        ;  msbs: dst=0 src0=0 src1=0 src2=0
	s_cbranch_execz .LBB22_94
.LBB22_184:                             ;   in Loop: Header=BB22_4 Depth=1
	v_dual_mov_b32 v3, v2 :: v_dual_mov_b32 v4, v2
	v_mov_b32_e32 v5, v2
	s_set_vgpr_msb 1                        ;  msbs: dst=0 src0=1 src1=0 src2=0
	ds_store_b128 v29 /*v285*/, v[2:5]
	s_and_not1_saveexec_b32 s60, s60
	s_set_vgpr_msb 0                        ;  msbs: dst=0 src0=0 src1=0 src2=0
	s_cbranch_execz .LBB22_95
.LBB22_185:                             ;   in Loop: Header=BB22_4 Depth=1
	v_lshl_add_u64 v[4:5], s[44:45], 4, v[12:13]
	global_load_b128 v[16:19], v[4:5], off
	s_wait_loadcnt 0x0
	s_set_vgpr_msb 1                        ;  msbs: dst=0 src0=1 src1=0 src2=0
	ds_store_2addr_b64 v29 /*v285*/, v[16:17], v[18:19] offset1:1
	s_wait_xcnt 0x0
	s_or_b32 exec_lo, exec_lo, s60
	s_and_saveexec_b32 s60, s19
	s_delay_alu instid0(SALU_CYCLE_1)
	s_xor_b32 s60, exec_lo, s60
	s_set_vgpr_msb 0                        ;  msbs: dst=0 src0=0 src1=0 src2=0
	s_cbranch_execz .LBB22_96
.LBB22_186:                             ;   in Loop: Header=BB22_4 Depth=1
	v_dual_mov_b32 v3, v2 :: v_dual_mov_b32 v4, v2
	v_mov_b32_e32 v5, v2
	s_set_vgpr_msb 1                        ;  msbs: dst=0 src0=1 src1=0 src2=0
	ds_store_b128 v30 /*v286*/, v[2:5]
	s_and_not1_saveexec_b32 s60, s60
	s_set_vgpr_msb 0                        ;  msbs: dst=0 src0=0 src1=0 src2=0
	s_cbranch_execnz .LBB22_97
	s_branch .LBB22_98
.LBB22_187:
	s_sendmsg sendmsg(MSG_DEALLOC_VGPRS)
	s_endpgm
	.section	.rodata,"a",@progbits
	.p2align	6, 0x0
	.amdhsa_kernel _ZL26rocblas_hemvn_kernel_upperILb1ELi64ELi4ELi33ELi32ELi16Ei19rocblas_complex_numIdEPKS1_PS1_EviT6_lT7_lT5_lS6_lS7_lS5_lT8_i
		.amdhsa_group_segment_fixed_size 19200
		.amdhsa_private_segment_fixed_size 0
		.amdhsa_kernarg_size 392
		.amdhsa_user_sgpr_count 2
		.amdhsa_user_sgpr_dispatch_ptr 0
		.amdhsa_user_sgpr_queue_ptr 0
		.amdhsa_user_sgpr_kernarg_segment_ptr 1
		.amdhsa_user_sgpr_dispatch_id 0
		.amdhsa_user_sgpr_kernarg_preload_length 0
		.amdhsa_user_sgpr_kernarg_preload_offset 0
		.amdhsa_user_sgpr_private_segment_size 0
		.amdhsa_wavefront_size32 1
		.amdhsa_uses_dynamic_stack 0
		.amdhsa_enable_private_segment 0
		.amdhsa_system_sgpr_workgroup_id_x 1
		.amdhsa_system_sgpr_workgroup_id_y 0
		.amdhsa_system_sgpr_workgroup_id_z 1
		.amdhsa_system_sgpr_workgroup_info 0
		.amdhsa_system_vgpr_workitem_id 1
		.amdhsa_next_free_vgpr 307
		.amdhsa_next_free_sgpr 82
		.amdhsa_named_barrier_count 0
		.amdhsa_reserve_vcc 1
		.amdhsa_float_round_mode_32 0
		.amdhsa_float_round_mode_16_64 0
		.amdhsa_float_denorm_mode_32 3
		.amdhsa_float_denorm_mode_16_64 3
		.amdhsa_fp16_overflow 0
		.amdhsa_memory_ordered 1
		.amdhsa_forward_progress 1
		.amdhsa_inst_pref_size 86
		.amdhsa_round_robin_scheduling 0
		.amdhsa_exception_fp_ieee_invalid_op 0
		.amdhsa_exception_fp_denorm_src 0
		.amdhsa_exception_fp_ieee_div_zero 0
		.amdhsa_exception_fp_ieee_overflow 0
		.amdhsa_exception_fp_ieee_underflow 0
		.amdhsa_exception_fp_ieee_inexact 0
		.amdhsa_exception_int_div_zero 0
	.end_amdhsa_kernel
	.section	.text._ZL26rocblas_hemvn_kernel_upperILb1ELi64ELi4ELi33ELi32ELi16Ei19rocblas_complex_numIdEPKS1_PS1_EviT6_lT7_lT5_lS6_lS7_lS5_lT8_i,"axG",@progbits,_ZL26rocblas_hemvn_kernel_upperILb1ELi64ELi4ELi33ELi32ELi16Ei19rocblas_complex_numIdEPKS1_PS1_EviT6_lT7_lT5_lS6_lS7_lS5_lT8_i,comdat
.Lfunc_end22:
	.size	_ZL26rocblas_hemvn_kernel_upperILb1ELi64ELi4ELi33ELi32ELi16Ei19rocblas_complex_numIdEPKS1_PS1_EviT6_lT7_lT5_lS6_lS7_lS5_lT8_i, .Lfunc_end22-_ZL26rocblas_hemvn_kernel_upperILb1ELi64ELi4ELi33ELi32ELi16Ei19rocblas_complex_numIdEPKS1_PS1_EviT6_lT7_lT5_lS6_lS7_lS5_lT8_i
                                        ; -- End function
	.set _ZL26rocblas_hemvn_kernel_upperILb1ELi64ELi4ELi33ELi32ELi16Ei19rocblas_complex_numIdEPKS1_PS1_EviT6_lT7_lT5_lS6_lS7_lS5_lT8_i.num_vgpr, 307
	.set _ZL26rocblas_hemvn_kernel_upperILb1ELi64ELi4ELi33ELi32ELi16Ei19rocblas_complex_numIdEPKS1_PS1_EviT6_lT7_lT5_lS6_lS7_lS5_lT8_i.num_agpr, 0
	.set _ZL26rocblas_hemvn_kernel_upperILb1ELi64ELi4ELi33ELi32ELi16Ei19rocblas_complex_numIdEPKS1_PS1_EviT6_lT7_lT5_lS6_lS7_lS5_lT8_i.numbered_sgpr, 82
	.set _ZL26rocblas_hemvn_kernel_upperILb1ELi64ELi4ELi33ELi32ELi16Ei19rocblas_complex_numIdEPKS1_PS1_EviT6_lT7_lT5_lS6_lS7_lS5_lT8_i.num_named_barrier, 0
	.set _ZL26rocblas_hemvn_kernel_upperILb1ELi64ELi4ELi33ELi32ELi16Ei19rocblas_complex_numIdEPKS1_PS1_EviT6_lT7_lT5_lS6_lS7_lS5_lT8_i.private_seg_size, 0
	.set _ZL26rocblas_hemvn_kernel_upperILb1ELi64ELi4ELi33ELi32ELi16Ei19rocblas_complex_numIdEPKS1_PS1_EviT6_lT7_lT5_lS6_lS7_lS5_lT8_i.uses_vcc, 1
	.set _ZL26rocblas_hemvn_kernel_upperILb1ELi64ELi4ELi33ELi32ELi16Ei19rocblas_complex_numIdEPKS1_PS1_EviT6_lT7_lT5_lS6_lS7_lS5_lT8_i.uses_flat_scratch, 0
	.set _ZL26rocblas_hemvn_kernel_upperILb1ELi64ELi4ELi33ELi32ELi16Ei19rocblas_complex_numIdEPKS1_PS1_EviT6_lT7_lT5_lS6_lS7_lS5_lT8_i.has_dyn_sized_stack, 0
	.set _ZL26rocblas_hemvn_kernel_upperILb1ELi64ELi4ELi33ELi32ELi16Ei19rocblas_complex_numIdEPKS1_PS1_EviT6_lT7_lT5_lS6_lS7_lS5_lT8_i.has_recursion, 0
	.set _ZL26rocblas_hemvn_kernel_upperILb1ELi64ELi4ELi33ELi32ELi16Ei19rocblas_complex_numIdEPKS1_PS1_EviT6_lT7_lT5_lS6_lS7_lS5_lT8_i.has_indirect_call, 0
	.section	.AMDGPU.csdata,"",@progbits
; Kernel info:
; codeLenInByte = 10960
; TotalNumSgprs: 84
; NumVgprs: 307
; ScratchSize: 0
; MemoryBound: 1
; FloatMode: 240
; IeeeMode: 1
; LDSByteSize: 19200 bytes/workgroup (compile time only)
; SGPRBlocks: 0
; VGPRBlocks: 19
; NumSGPRsForWavesPerEU: 84
; NumVGPRsForWavesPerEU: 307
; NamedBarCnt: 0
; Occupancy: 3
; WaveLimiterHint : 1
; COMPUTE_PGM_RSRC2:SCRATCH_EN: 0
; COMPUTE_PGM_RSRC2:USER_SGPR: 2
; COMPUTE_PGM_RSRC2:TRAP_HANDLER: 0
; COMPUTE_PGM_RSRC2:TGID_X_EN: 1
; COMPUTE_PGM_RSRC2:TGID_Y_EN: 0
; COMPUTE_PGM_RSRC2:TGID_Z_EN: 1
; COMPUTE_PGM_RSRC2:TIDIG_COMP_CNT: 1
	.section	.text._ZL36rocblas_hemvn_kernel_upper_block_sumILi64Ei19rocblas_complex_numIdEPS1_S1_EviT1_lS3_lT2_lT0_lPT3_i,"axG",@progbits,_ZL36rocblas_hemvn_kernel_upper_block_sumILi64Ei19rocblas_complex_numIdEPS1_S1_EviT1_lS3_lT2_lT0_lPT3_i,comdat
	.globl	_ZL36rocblas_hemvn_kernel_upper_block_sumILi64Ei19rocblas_complex_numIdEPS1_S1_EviT1_lS3_lT2_lT0_lPT3_i ; -- Begin function _ZL36rocblas_hemvn_kernel_upper_block_sumILi64Ei19rocblas_complex_numIdEPS1_S1_EviT1_lS3_lT2_lT0_lPT3_i
	.p2align	8
	.type	_ZL36rocblas_hemvn_kernel_upper_block_sumILi64Ei19rocblas_complex_numIdEPS1_S1_EviT1_lS3_lT2_lT0_lPT3_i,@function
_ZL36rocblas_hemvn_kernel_upper_block_sumILi64Ei19rocblas_complex_numIdEPS1_S1_EviT1_lS3_lT2_lT0_lPT3_i: ; @_ZL36rocblas_hemvn_kernel_upper_block_sumILi64Ei19rocblas_complex_numIdEPS1_S1_EviT1_lS3_lT2_lT0_lPT3_i
; %bb.0:
	s_load_b32 s3, s[0:1], 0x60
	s_bfe_u32 s2, ttmp6, 0x40014
	s_lshr_b32 s4, ttmp7, 16
	s_add_co_i32 s2, s2, 1
	s_bfe_u32 s6, ttmp6, 0x40008
	s_mul_i32 s5, s4, s2
	s_getreg_b32 s2, hwreg(HW_REG_IB_STS2, 6, 4)
	s_add_co_i32 s6, s6, s5
	s_cmp_eq_u32 s2, 0
	s_mov_b32 s17, 0
	s_cselect_b32 s16, s4, s6
	s_wait_kmcnt 0x0
	s_cmp_ge_u32 s16, s3
	s_cbranch_scc1 .LBB23_24
; %bb.1:
	s_clause 0x4
	s_load_b128 s[4:7], s[0:1], 0x8
	s_load_b128 s[8:11], s[0:1], 0x20
	;; [unrolled: 1-line block ×3, first 2 shown]
	s_load_b32 s28, s[0:1], 0x0
	s_load_b32 s27, s[0:1], 0x48
	s_bfe_u32 s12, ttmp6, 0x4000c
	s_and_b32 s29, ttmp6, 15
	s_add_co_i32 s12, s12, 1
	s_delay_alu instid0(SALU_CYCLE_1)
	s_mul_i32 s30, ttmp9, s12
	s_load_b128 s[12:15], s[0:1], 0x50
	s_add_co_i32 s29, s29, s30
	s_wait_xcnt 0x0
	s_add_nc_u64 s[0:1], s[0:1], 0x68
	s_wait_kmcnt 0x0
	v_cmp_neq_f64_e64 s18, s[4:5], 0
	v_cmp_neq_f64_e64 s19, s[6:7], 0
	;; [unrolled: 1-line block ×4, first 2 shown]
	v_cmp_neq_f64_e64 s26, s[8:9], 1.0
	s_or_b32 s30, s18, s19
	s_lshl_b64 s[18:19], s[22:23], 4
	s_xor_b32 s22, s30, -1
	s_cmp_eq_u32 s2, 0
	s_add_nc_u64 s[18:19], s[20:21], s[18:19]
	s_cselect_b32 s31, ttmp9, s29
	s_or_b32 s2, s24, s25
	v_lshl_or_b32 v0, s31, 6, v0
	s_ashr_i32 s29, s28, 31
	s_xor_b32 s23, s2, -1
	s_cmp_gt_i32 s31, -1
	v_cndmask_b32_e64 v10, 0, 1, s2
	v_ashrrev_i32_e32 v1, 31, v0
	v_mul_lo_u32 v4, s27, v0
	v_cmp_gt_i32_e64 s2, s28, v0
	s_cselect_b32 s24, -1, 0
	v_lshl_add_u64 v[2:3], v[0:1], 4, s[14:15]
	s_or_b32 s14, s30, s26
	s_add_co_i32 s26, s31, 1
	s_or_b32 s25, s14, s25
	s_lshl_b64 s[14:15], s[28:29], 4
	v_add_nc_u64_e32 v[6:7], 8, v[2:3]
	v_ashrrev_i32_e32 v5, 31, v4
	s_branch .LBB23_4
.LBB23_2:                               ;   in Loop: Header=BB23_4 Depth=1
	s_wait_xcnt 0x0
	s_or_b32 exec_lo, exec_lo, s28
.LBB23_3:                               ;   in Loop: Header=BB23_4 Depth=1
	s_add_co_i32 s16, s16, 0x10000
	s_delay_alu instid0(SALU_CYCLE_1)
	s_cmp_lt_u32 s16, s3
	s_cbranch_scc0 .LBB23_24
.LBB23_4:                               ; =>This Loop Header: Depth=1
                                        ;     Child Loop BB23_15 Depth 2
	s_and_not1_b32 vcc_lo, exec_lo, s25
	s_cbranch_vccnz .LBB23_3
; %bb.5:                                ;   in Loop: Header=BB23_4 Depth=1
	s_mul_u64 s[20:21], s[12:13], s[16:17]
	s_and_not1_b32 vcc_lo, exec_lo, s22
	s_lshl_b64 s[20:21], s[20:21], 4
	s_delay_alu instid0(SALU_CYCLE_1)
	s_add_nc_u64 s[20:21], s[18:19], s[20:21]
	s_cbranch_vccnz .LBB23_10
; %bb.6:                                ;   in Loop: Header=BB23_4 Depth=1
	s_mov_b32 s28, 0
	s_mov_b32 s27, 0
                                        ; implicit-def: $vgpr2_vgpr3
	s_and_saveexec_b32 s29, s2
	s_cbranch_execz .LBB23_11
; %bb.7:                                ;   in Loop: Header=BB23_4 Depth=1
	v_mov_b64_e32 v[2:3], 0
	v_cmp_ne_u32_e32 vcc_lo, 1, v10
	v_mov_b64_e32 v[0:1], 0
	s_cbranch_vccnz .LBB23_9
; %bb.8:                                ;   in Loop: Header=BB23_4 Depth=1
	v_lshl_add_u64 v[0:1], v[4:5], 4, s[20:21]
	global_load_b128 v[12:15], v[0:1], off
	s_wait_loadcnt 0x0
	s_wait_xcnt 0x0
	v_mul_f64_e32 v[0:1], s[10:11], v[14:15]
	v_mul_f64_e32 v[2:3], s[8:9], v[14:15]
	s_delay_alu instid0(VALU_DEP_2) | instskip(NEXT) | instid1(VALU_DEP_2)
	v_fma_f64 v[0:1], s[8:9], v[12:13], -v[0:1]
	v_fmac_f64_e32 v[2:3], s[10:11], v[12:13]
.LBB23_9:                               ;   in Loop: Header=BB23_4 Depth=1
	s_mov_b32 s27, exec_lo
	s_or_b32 exec_lo, exec_lo, s29
	s_delay_alu instid0(SALU_CYCLE_1)
	s_and_b32 vcc_lo, exec_lo, s28
	s_cbranch_vccnz .LBB23_12
	s_branch .LBB23_22
.LBB23_10:                              ;   in Loop: Header=BB23_4 Depth=1
	s_mov_b32 s27, 0
                                        ; implicit-def: $vgpr2_vgpr3
	s_cbranch_execnz .LBB23_12
	s_branch .LBB23_22
.LBB23_11:                              ;   in Loop: Header=BB23_4 Depth=1
	s_or_b32 exec_lo, exec_lo, s29
	s_delay_alu instid0(SALU_CYCLE_1)
	s_and_b32 vcc_lo, exec_lo, s28
	s_cbranch_vccz .LBB23_22
.LBB23_12:                              ;   in Loop: Header=BB23_4 Depth=1
                                        ; implicit-def: $vgpr2_vgpr3
	s_and_saveexec_b32 s28, s2
	s_cbranch_execz .LBB23_21
; %bb.13:                               ;   in Loop: Header=BB23_4 Depth=1
	v_mov_b64_e32 v[0:1], 0
	v_mov_b64_e32 v[8:9], 0
	s_and_not1_b32 vcc_lo, exec_lo, s24
	s_cbranch_vccnz .LBB23_16
; %bb.14:                               ;   in Loop: Header=BB23_4 Depth=1
	s_load_b32 s30, s[0:1], 0x0
	s_mov_b32 s31, s17
	v_mov_b64_e32 v[0:1], 0
	v_mov_b64_e32 v[8:9], 0
	s_mov_b32 s29, s26
	s_wait_kmcnt 0x0
	s_mul_u64 s[30:31], s[14:15], s[30:31]
	s_delay_alu instid0(SALU_CYCLE_1) | instskip(NEXT) | instid1(VALU_DEP_1)
	v_mad_nc_u64_u32 v[2:3], s30, s16, v[6:7]
	v_mad_u32 v3, s31, s16, v3
.LBB23_15:                              ;   Parent Loop BB23_4 Depth=1
                                        ; =>  This Inner Loop Header: Depth=2
	global_load_b128 v[12:15], v[2:3], off offset:-8
	s_wait_xcnt 0x0
	v_add_nc_u64_e32 v[2:3], s[14:15], v[2:3]
	s_add_co_i32 s29, s29, -1
	s_delay_alu instid0(SALU_CYCLE_1)
	s_cmp_eq_u32 s29, 0
	s_wait_loadcnt 0x0
	v_add_f64_e32 v[8:9], v[8:9], v[12:13]
	v_add_f64_e32 v[0:1], v[0:1], v[14:15]
	s_cbranch_scc0 .LBB23_15
.LBB23_16:                              ;   in Loop: Header=BB23_4 Depth=1
	s_delay_alu instid0(VALU_DEP_1) | instskip(SKIP_3) | instid1(VALU_DEP_2)
	v_mul_f64_e32 v[12:13], s[6:7], v[0:1]
	v_mul_f64_e32 v[2:3], s[4:5], v[0:1]
	s_and_b32 vcc_lo, exec_lo, s23
	s_mov_b32 s29, -1
	v_fma_f64 v[0:1], s[4:5], v[8:9], -v[12:13]
	s_delay_alu instid0(VALU_DEP_2)
	v_fmac_f64_e32 v[2:3], s[6:7], v[8:9]
	s_cbranch_vccz .LBB23_18
; %bb.17:                               ;   in Loop: Header=BB23_4 Depth=1
	s_mov_b32 s29, 0
.LBB23_18:                              ;   in Loop: Header=BB23_4 Depth=1
	s_delay_alu instid0(SALU_CYCLE_1)
	s_and_not1_b32 vcc_lo, exec_lo, s29
	s_cbranch_vccnz .LBB23_20
; %bb.19:                               ;   in Loop: Header=BB23_4 Depth=1
	v_lshl_add_u64 v[8:9], v[4:5], 4, s[20:21]
	global_load_b128 v[12:15], v[8:9], off
	s_wait_loadcnt 0x0
	s_wait_xcnt 0x0
	v_mul_f64_e32 v[8:9], s[10:11], v[14:15]
	v_mul_f64_e32 v[14:15], s[8:9], v[14:15]
	s_delay_alu instid0(VALU_DEP_2) | instskip(NEXT) | instid1(VALU_DEP_2)
	v_fma_f64 v[8:9], s[8:9], v[12:13], -v[8:9]
	v_fmac_f64_e32 v[14:15], s[10:11], v[12:13]
	s_delay_alu instid0(VALU_DEP_2) | instskip(NEXT) | instid1(VALU_DEP_2)
	v_add_f64_e32 v[0:1], v[0:1], v[8:9]
	v_add_f64_e32 v[2:3], v[2:3], v[14:15]
.LBB23_20:                              ;   in Loop: Header=BB23_4 Depth=1
	s_or_b32 s27, s27, exec_lo
.LBB23_21:                              ;   in Loop: Header=BB23_4 Depth=1
	s_or_b32 exec_lo, exec_lo, s28
.LBB23_22:                              ;   in Loop: Header=BB23_4 Depth=1
	s_and_saveexec_b32 s28, s27
	s_cbranch_execz .LBB23_2
; %bb.23:                               ;   in Loop: Header=BB23_4 Depth=1
	v_lshl_add_u64 v[8:9], v[4:5], 4, s[20:21]
	global_store_b128 v[8:9], v[0:3], off
	s_branch .LBB23_2
.LBB23_24:
	s_endpgm
	.section	.rodata,"a",@progbits
	.p2align	6, 0x0
	.amdhsa_kernel _ZL36rocblas_hemvn_kernel_upper_block_sumILi64Ei19rocblas_complex_numIdEPS1_S1_EviT1_lS3_lT2_lT0_lPT3_i
		.amdhsa_group_segment_fixed_size 0
		.amdhsa_private_segment_fixed_size 0
		.amdhsa_kernarg_size 360
		.amdhsa_user_sgpr_count 2
		.amdhsa_user_sgpr_dispatch_ptr 0
		.amdhsa_user_sgpr_queue_ptr 0
		.amdhsa_user_sgpr_kernarg_segment_ptr 1
		.amdhsa_user_sgpr_dispatch_id 0
		.amdhsa_user_sgpr_kernarg_preload_length 0
		.amdhsa_user_sgpr_kernarg_preload_offset 0
		.amdhsa_user_sgpr_private_segment_size 0
		.amdhsa_wavefront_size32 1
		.amdhsa_uses_dynamic_stack 0
		.amdhsa_enable_private_segment 0
		.amdhsa_system_sgpr_workgroup_id_x 1
		.amdhsa_system_sgpr_workgroup_id_y 0
		.amdhsa_system_sgpr_workgroup_id_z 1
		.amdhsa_system_sgpr_workgroup_info 0
		.amdhsa_system_vgpr_workitem_id 0
		.amdhsa_next_free_vgpr 16
		.amdhsa_next_free_sgpr 32
		.amdhsa_named_barrier_count 0
		.amdhsa_reserve_vcc 1
		.amdhsa_float_round_mode_32 0
		.amdhsa_float_round_mode_16_64 0
		.amdhsa_float_denorm_mode_32 3
		.amdhsa_float_denorm_mode_16_64 3
		.amdhsa_fp16_overflow 0
		.amdhsa_memory_ordered 1
		.amdhsa_forward_progress 1
		.amdhsa_inst_pref_size 7
		.amdhsa_round_robin_scheduling 0
		.amdhsa_exception_fp_ieee_invalid_op 0
		.amdhsa_exception_fp_denorm_src 0
		.amdhsa_exception_fp_ieee_div_zero 0
		.amdhsa_exception_fp_ieee_overflow 0
		.amdhsa_exception_fp_ieee_underflow 0
		.amdhsa_exception_fp_ieee_inexact 0
		.amdhsa_exception_int_div_zero 0
	.end_amdhsa_kernel
	.section	.text._ZL36rocblas_hemvn_kernel_upper_block_sumILi64Ei19rocblas_complex_numIdEPS1_S1_EviT1_lS3_lT2_lT0_lPT3_i,"axG",@progbits,_ZL36rocblas_hemvn_kernel_upper_block_sumILi64Ei19rocblas_complex_numIdEPS1_S1_EviT1_lS3_lT2_lT0_lPT3_i,comdat
.Lfunc_end23:
	.size	_ZL36rocblas_hemvn_kernel_upper_block_sumILi64Ei19rocblas_complex_numIdEPS1_S1_EviT1_lS3_lT2_lT0_lPT3_i, .Lfunc_end23-_ZL36rocblas_hemvn_kernel_upper_block_sumILi64Ei19rocblas_complex_numIdEPS1_S1_EviT1_lS3_lT2_lT0_lPT3_i
                                        ; -- End function
	.set _ZL36rocblas_hemvn_kernel_upper_block_sumILi64Ei19rocblas_complex_numIdEPS1_S1_EviT1_lS3_lT2_lT0_lPT3_i.num_vgpr, 16
	.set _ZL36rocblas_hemvn_kernel_upper_block_sumILi64Ei19rocblas_complex_numIdEPS1_S1_EviT1_lS3_lT2_lT0_lPT3_i.num_agpr, 0
	.set _ZL36rocblas_hemvn_kernel_upper_block_sumILi64Ei19rocblas_complex_numIdEPS1_S1_EviT1_lS3_lT2_lT0_lPT3_i.numbered_sgpr, 32
	.set _ZL36rocblas_hemvn_kernel_upper_block_sumILi64Ei19rocblas_complex_numIdEPS1_S1_EviT1_lS3_lT2_lT0_lPT3_i.num_named_barrier, 0
	.set _ZL36rocblas_hemvn_kernel_upper_block_sumILi64Ei19rocblas_complex_numIdEPS1_S1_EviT1_lS3_lT2_lT0_lPT3_i.private_seg_size, 0
	.set _ZL36rocblas_hemvn_kernel_upper_block_sumILi64Ei19rocblas_complex_numIdEPS1_S1_EviT1_lS3_lT2_lT0_lPT3_i.uses_vcc, 1
	.set _ZL36rocblas_hemvn_kernel_upper_block_sumILi64Ei19rocblas_complex_numIdEPS1_S1_EviT1_lS3_lT2_lT0_lPT3_i.uses_flat_scratch, 0
	.set _ZL36rocblas_hemvn_kernel_upper_block_sumILi64Ei19rocblas_complex_numIdEPS1_S1_EviT1_lS3_lT2_lT0_lPT3_i.has_dyn_sized_stack, 0
	.set _ZL36rocblas_hemvn_kernel_upper_block_sumILi64Ei19rocblas_complex_numIdEPS1_S1_EviT1_lS3_lT2_lT0_lPT3_i.has_recursion, 0
	.set _ZL36rocblas_hemvn_kernel_upper_block_sumILi64Ei19rocblas_complex_numIdEPS1_S1_EviT1_lS3_lT2_lT0_lPT3_i.has_indirect_call, 0
	.section	.AMDGPU.csdata,"",@progbits
; Kernel info:
; codeLenInByte = 804
; TotalNumSgprs: 34
; NumVgprs: 16
; ScratchSize: 0
; MemoryBound: 0
; FloatMode: 240
; IeeeMode: 1
; LDSByteSize: 0 bytes/workgroup (compile time only)
; SGPRBlocks: 0
; VGPRBlocks: 0
; NumSGPRsForWavesPerEU: 34
; NumVGPRsForWavesPerEU: 16
; NamedBarCnt: 0
; Occupancy: 16
; WaveLimiterHint : 1
; COMPUTE_PGM_RSRC2:SCRATCH_EN: 0
; COMPUTE_PGM_RSRC2:USER_SGPR: 2
; COMPUTE_PGM_RSRC2:TRAP_HANDLER: 0
; COMPUTE_PGM_RSRC2:TGID_X_EN: 1
; COMPUTE_PGM_RSRC2:TGID_Y_EN: 0
; COMPUTE_PGM_RSRC2:TGID_Z_EN: 1
; COMPUTE_PGM_RSRC2:TIDIG_COMP_CNT: 0
	.section	.text._ZL26rocblas_hemvn_kernel_lowerILb1ELi64ELi4ELi33ELi32ELi16ElPK19rocblas_complex_numIdES3_PS1_EviT6_lT7_lT5_lS6_lS7_lS5_lT8_i,"axG",@progbits,_ZL26rocblas_hemvn_kernel_lowerILb1ELi64ELi4ELi33ELi32ELi16ElPK19rocblas_complex_numIdES3_PS1_EviT6_lT7_lT5_lS6_lS7_lS5_lT8_i,comdat
	.globl	_ZL26rocblas_hemvn_kernel_lowerILb1ELi64ELi4ELi33ELi32ELi16ElPK19rocblas_complex_numIdES3_PS1_EviT6_lT7_lT5_lS6_lS7_lS5_lT8_i ; -- Begin function _ZL26rocblas_hemvn_kernel_lowerILb1ELi64ELi4ELi33ELi32ELi16ElPK19rocblas_complex_numIdES3_PS1_EviT6_lT7_lT5_lS6_lS7_lS5_lT8_i
	.p2align	8
	.type	_ZL26rocblas_hemvn_kernel_lowerILb1ELi64ELi4ELi33ELi32ELi16ElPK19rocblas_complex_numIdES3_PS1_EviT6_lT7_lT5_lS6_lS7_lS5_lT8_i,@function
_ZL26rocblas_hemvn_kernel_lowerILb1ELi64ELi4ELi33ELi32ELi16ElPK19rocblas_complex_numIdES3_PS1_EviT6_lT7_lT5_lS6_lS7_lS5_lT8_i: ; @_ZL26rocblas_hemvn_kernel_lowerILb1ELi64ELi4ELi33ELi32ELi16ElPK19rocblas_complex_numIdES3_PS1_EviT6_lT7_lT5_lS6_lS7_lS5_lT8_i
; %bb.0:
	s_clause 0x1
	s_load_b64 s[2:3], s[0:1], 0x84
	s_load_b32 s33, s[0:1], 0x70
	s_bfe_u32 s4, ttmp6, 0x40014
	s_lshr_b32 s5, ttmp7, 16
	s_add_co_i32 s4, s4, 1
	s_bfe_u32 s7, ttmp6, 0x40008
	s_mul_i32 s4, s5, s4
	s_getreg_b32 s6, hwreg(HW_REG_IB_STS2, 6, 4)
	s_add_co_i32 s7, s7, s4
	s_mov_b32 s53, 0
	s_wait_kmcnt 0x0
	s_lshr_b32 s4, s2, 16
	s_and_b32 s2, s2, 0xffff
	s_and_b32 s3, s3, 0xffff
	s_mul_i32 s2, s4, s2
	s_cmp_eq_u32 s6, 0
	s_mul_i32 s2, s2, s3
	s_cselect_b32 s34, s5, s7
	s_cmp_lg_u32 s2, 0x100
	s_cselect_b32 s2, -1, 0
	s_cmp_ge_u32 s34, s33
	s_cselect_b32 s3, -1, 0
	s_delay_alu instid0(SALU_CYCLE_1) | instskip(NEXT) | instid1(SALU_CYCLE_1)
	s_or_b32 s2, s2, s3
	s_and_b32 vcc_lo, exec_lo, s2
	s_cbranch_vccnz .LBB24_138
; %bb.1:
	s_load_b32 s2, s[0:1], 0x0
	v_bfe_u32 v1, v0, 10, 10
	s_add_nc_u64 s[8:9], s[0:1], 0x78
	s_clause 0x2
	s_load_b512 s[36:51], s[0:1], 0x8
	s_load_b64 s[4:5], s[0:1], 0x68
	s_load_b256 s[24:31], s[0:1], 0x48
	s_wait_xcnt 0x0
	s_bfe_u32 s0, ttmp6, 0x4000c
	v_and_b32_e32 v148, 0x3ff, v0
	s_add_co_i32 s0, s0, 1
	v_dual_lshlrev_b32 v8, 6, v1 :: v_dual_bitop2_b32 v150, 31, v0 bitop3:0x40
	s_and_b32 s1, ttmp6, 15
	s_load_b32 s52, s[8:9], 0x0
	s_mul_i32 s3, ttmp9, s0
	s_delay_alu instid0(VALU_DEP_1) | instskip(SKIP_2) | instid1(VALU_DEP_2)
	v_dual_lshlrev_b32 v10, 4, v150 :: v_dual_add_nc_u32 v9, v8, v148
	s_add_co_i32 s1, s1, s3
	v_dual_mov_b32 v151, 0 :: v_dual_lshlrev_b32 v149, 4, v148
	v_lshl_or_b32 v12, v150, 9, v10
	v_mul_u32_u24_e32 v16, 33, v150
	v_cmp_eq_u32_e64 s0, 0, v1
	s_wait_kmcnt 0x0
	s_ashr_i32 s3, s2, 31
	s_cmp_eq_u32 s6, 0
	v_add_nc_u32_e32 v168, 0x4700, v149
	s_cselect_b32 s76, ttmp9, s1
	s_lshl_b64 s[6:7], s[50:51], 4
	s_lshl_b32 s22, s76, 6
	s_delay_alu instid0(SALU_CYCLE_1) | instskip(SKIP_3) | instid1(VALU_DEP_1)
	v_dual_lshrrev_b32 v11, 5, v9 :: v_dual_add_nc_u32 v154, s22, v148
	s_lshl_b64 s[8:9], s[42:43], 4
	s_mul_i32 s10, s2, s76
	s_mul_u64 s[56:57], s[52:53], s[2:3]
	v_mad_nc_u64_u32 v[2:3], s44, v11, v[150:151]
	v_ashrrev_i32_e32 v155, 31, v154
	s_lshr_b32 s3, s3, 26
	s_add_co_i32 s1, s52, -1
	s_add_co_i32 s3, s2, s3
	s_add_nc_u64 s[8:9], s[40:41], s[8:9]
	v_mul_u64_e32 v[4:5], s[24:25], v[154:155]
	s_and_not1_b32 s3, s3, 63
	s_add_nc_u64 s[6:7], s[48:49], s[6:7]
	s_sub_co_i32 s2, s2, s3
	s_cmp_eq_u32 s76, s1
	v_mad_u32 v3, s45, v11, v3
	s_cselect_b32 s40, s2, 0
	v_mad_u32_u24 v169, 0x210, v11, v10
	s_cmp_eq_u32 s40, 0
	v_cmp_le_i32_e32 vcc_lo, s40, v148
	s_cselect_b32 s77, -1, 0
	s_cmp_lg_u32 s40, 0
	v_mul_u32_u24_e32 v15, 0x840, v11
	s_cselect_b32 s12, -1, 0
	s_ashr_i32 s23, s22, 31
	s_ashr_i32 s11, s10, 31
	s_lshl_b64 s[2:3], s[22:23], 4
	s_mul_u64 s[64:65], s[44:45], s[22:23]
	s_add_nc_u64 s[2:3], s[8:9], s[2:3]
	s_lshl_b64 s[8:9], s[10:11], 4
	v_lshl_add_u64 v[6:7], v[2:3], 4, s[2:3]
	v_lshlrev_b32_e32 v13, 6, v11
	s_add_nc_u64 s[50:51], s[4:5], s[8:9]
	s_sub_co_i32 s20, s40, 32
	s_and_b32 s2, s12, vcc_lo
	v_lshl_add_u64 v[156:157], s[64:65], 4, v[6:7]
	v_dual_lshlrev_b32 v7, 2, v11 :: v_dual_add_nc_u32 v174, v12, v13
	v_cmp_le_i32_e64 s3, s40, v11
	v_cmp_le_i32_e64 s17, s20, v11
	s_delay_alu instid0(VALU_DEP_3)
	v_dual_lshlrev_b32 v177, 4, v16 :: v_dual_bitop2_b32 v14, 1, v7 bitop3:0x54
	v_lshl_add_u64 v[158:159], v[4:5], 4, s[6:7]
	v_dual_add_nc_u32 v4, 8, v11 :: v_dual_add_nc_u32 v5, 16, v11
	v_add_nc_u32_e32 v6, 24, v11
	v_cmp_ge_u32_e64 s7, v7, v150
	v_cmp_eq_u32_e64 s8, v7, v150
	v_dual_add_nc_u32 v175, 16, v174 :: v_dual_bitop2_b32 v12, 2, v7 bitop3:0x54
	v_dual_add_nc_u32 v176, 32, v174 :: v_dual_bitop2_b32 v7, 3, v7 bitop3:0x54
	v_cmp_le_i32_e64 s4, s40, v4
	v_cmp_le_i32_e64 s5, s40, v5
	;; [unrolled: 1-line block ×3, first 2 shown]
	s_delay_alu instid0(VALU_DEP_4)
	v_cmp_ge_u32_e64 s13, v7, v150
	v_cmp_eq_u32_e64 s14, v7, v150
	v_dual_lshlrev_b32 v4, 2, v1 :: v_dual_bitop2_b32 v7, 32, v150 bitop3:0x54
	v_cmp_le_i32_e64 s19, s20, v5
	v_mov_b32_e32 v5, v151
	v_cmp_ge_u32_e64 s11, v12, v150
	v_cmp_eq_u32_e64 s12, v12, v150
	v_dual_lshlrev_b32 v12, 4, v11 :: v_dual_add_nc_u32 v178, 48, v174
	s_delay_alu instid0(VALU_DEP_4) | instskip(SKIP_1) | instid1(VALU_DEP_3)
	v_mul_u64_e32 v[160:161], s[44:45], v[4:5]
	v_cmp_gt_i32_e64 s16, s40, v7
	v_dual_lshrrev_b32 v7, 4, v9 :: v_dual_add_nc_u32 v180, v177, v12
	v_cmp_le_i32_e64 s6, s40, v6
	v_cmp_le_i32_e64 s20, s20, v6
	v_cmp_eq_u32_e64 s21, 1, v11
	v_mul_i32_i24_e32 v6, 0xffffffd0, v11
	v_mad_u32_u24 v181, v11, 48, v180
	v_and_b32_e32 v11, 15, v0
	v_sub_nc_u64_e32 v[162:163], 0, v[2:3]
	v_dual_lshlrev_b32 v2, 6, v7 :: v_dual_bitop2_b32 v0, 48, v0 bitop3:0x40
	v_cmp_ge_u32_e64 s9, v14, v150
	v_cmp_eq_u32_e64 s10, v14, v150
	v_mul_u32_u24_e32 v14, 0x210, v14
	v_add_nc_u32_e32 v179, 0x4700, v13
	v_dual_lshlrev_b32 v0, 4, v0 :: v_dual_add_nc_u32 v190, v10, v15
	v_or_b32_e32 v3, 0xf0, v149
	v_mad_u32_u24 v185, 0x430, v11, v2
	v_mul_i32_i24_e32 v2, 0xffffffd0, v7
	v_sub_nc_u64_e32 v[152:153], 0, v[150:151]
	s_mul_u64 s[22:23], s[24:25], s[22:23]
	v_add_nc_u32_e32 v170, 0x1080, v169
	v_add_nc_u32_e32 v171, 0x2100, v169
	;; [unrolled: 1-line block ×3, first 2 shown]
	v_cmp_gt_i32_e64 s1, s40, v150
	s_lshl_b64 s[42:43], s[44:45], 7
	s_lshl_b64 s[48:49], s[44:45], 8
	s_ashr_i32 s41, s40, 31
	v_mad_u32_u24 v173, 0x210, v150, v10
	v_cmp_gt_u32_e64 s15, 32, v9
	s_lshl_b64 s[58:59], s[44:45], 5
	s_xor_b32 s35, s2, -1
	s_sub_nc_u64 s[62:63], 0, s[22:23]
	v_add_nc_u32_e32 v182, 0x4300, v149
	v_add_nc_u32_e32 v183, 0x4300, v8
	v_mad_u32_u24 v184, 0x10c0, v1, v149
	v_cmp_gt_u32_e64 s22, 64, v9
	v_mad_u32_u24 v186, 0x430, v11, v0
	v_mad_u32_u24 v187, 0x430, v11, v3
	;; [unrolled: 1-line block ×3, first 2 shown]
	v_add_nc_u32_e32 v189, 0x4700, v12
	v_add_nc_u32_e32 v191, v10, v14
	;; [unrolled: 1-line block ×4, first 2 shown]
	v_lshlrev_b32_e32 v150, 4, v150
	s_cmp_gt_i32 s76, 0
	s_mul_u64 s[54:55], s[44:45], 0x180
	s_sub_nc_u64 s[60:61], 0, s[58:59]
	s_cselect_b32 s78, -1, 0
	s_sub_nc_u64 s[64:65], 0, s[64:65]
	s_and_b32 s79, s0, s35
	s_mov_b64 s[66:67], 0xfffffffffffffdf0
	s_mov_b64 s[68:69], 0xfffffffffffffe00
	s_sub_nc_u64 s[70:71], 0, s[40:41]
	s_lshl_b64 s[72:73], s[44:45], 4
	s_mul_u64 s[44:45], s[44:45], 0xd0
	s_branch .LBB24_4
.LBB24_2:                               ;   in Loop: Header=BB24_4 Depth=1
	s_wait_xcnt 0x0
	s_or_b32 exec_lo, exec_lo, s23
.LBB24_3:                               ;   in Loop: Header=BB24_4 Depth=1
	s_add_co_i32 s34, s34, 0x10000
	s_delay_alu instid0(SALU_CYCLE_1)
	s_cmp_lt_u32 s34, s33
	s_cbranch_scc0 .LBB24_138
.LBB24_4:                               ; =>This Loop Header: Depth=1
                                        ;     Child Loop BB24_114 Depth 2
	s_mov_b32 s35, s53
	s_wait_xcnt 0x0
	s_mul_u64 s[74:75], s[38:39], s[34:35]
	s_delay_alu instid0(SALU_CYCLE_1) | instskip(NEXT) | instid1(SALU_CYCLE_1)
	s_lshl_b64 s[74:75], s[74:75], 4
	s_add_nc_u64 s[74:75], s[36:37], s[74:75]
	global_load_b128 v[0:3], v151, s[74:75]
	s_wait_loadcnt 0x0
	v_cmp_neq_f64_e32 vcc_lo, 0, v[0:1]
	v_cmp_neq_f64_e64 s23, 0, v[2:3]
	s_or_b32 s52, vcc_lo, s23
	s_mov_b32 s23, -1
	s_and_b32 vcc_lo, exec_lo, s52
	s_cbranch_vccnz .LBB24_6
; %bb.5:                                ;   in Loop: Header=BB24_4 Depth=1
	s_wait_xcnt 0x0
	s_mul_u64 s[74:75], s[30:31], s[34:35]
	s_delay_alu instid0(SALU_CYCLE_1) | instskip(NEXT) | instid1(SALU_CYCLE_1)
	s_lshl_b64 s[74:75], s[74:75], 4
	s_add_nc_u64 s[74:75], s[28:29], s[74:75]
	global_load_b128 v[0:3], v151, s[74:75]
	s_wait_loadcnt 0x0
	v_cmp_neq_f64_e32 vcc_lo, 1.0, v[0:1]
	v_cmp_neq_f64_e64 s23, 0, v[2:3]
	s_or_b32 s23, vcc_lo, s23
.LBB24_6:                               ;   in Loop: Header=BB24_4 Depth=1
	s_delay_alu instid0(SALU_CYCLE_1)
	s_and_not1_b32 vcc_lo, exec_lo, s23
	s_cbranch_vccnz .LBB24_3
; %bb.7:                                ;   in Loop: Header=BB24_4 Depth=1
	s_and_not1_b32 vcc_lo, exec_lo, s52
	s_cbranch_vccnz .LBB24_3
; %bb.8:                                ;   in Loop: Header=BB24_4 Depth=1
	s_wait_xcnt 0x0
	s_mul_u64 s[74:75], s[26:27], s[34:35]
	s_delay_alu instid0(SALU_CYCLE_1)
	v_lshl_add_u64 v[36:37], s[74:75], 4, v[158:159]
	s_and_saveexec_b32 s23, s0
	s_cbranch_execz .LBB24_13
; %bb.9:                                ;   in Loop: Header=BB24_4 Depth=1
	s_and_saveexec_b32 s52, s2
	s_delay_alu instid0(SALU_CYCLE_1)
	s_xor_b32 s52, exec_lo, s52
; %bb.10:                               ;   in Loop: Header=BB24_4 Depth=1
	v_dual_mov_b32 v0, v151 :: v_dual_mov_b32 v1, v151
	v_dual_mov_b32 v2, v151 :: v_dual_mov_b32 v3, v151
	ds_store_b128 v168, v[0:3]
; %bb.11:                               ;   in Loop: Header=BB24_4 Depth=1
	s_and_not1_saveexec_b32 s52, s52
	s_cbranch_execz .LBB24_13
; %bb.12:                               ;   in Loop: Header=BB24_4 Depth=1
	global_load_b128 v[0:3], v[36:37], off
	s_wait_loadcnt 0x0
	ds_store_2addr_b64 v168, v[0:1], v[2:3] offset1:1
.LBB24_13:                              ;   in Loop: Header=BB24_4 Depth=1
	s_wait_xcnt 0x0
	s_or_b32 exec_lo, exec_lo, s23
	s_mul_u64 s[74:75], s[46:47], s[34:35]
	s_and_not1_b32 vcc_lo, exec_lo, s77
	v_lshl_add_u64 v[4:5], s[74:75], 4, v[156:157]
	s_mov_b32 s23, -1
	s_cbranch_vccnz .LBB24_15
; %bb.14:                               ;   in Loop: Header=BB24_4 Depth=1
	global_load_b128 v[0:3], v[4:5], off
	v_add_nc_u64_e32 v[6:7], s[42:43], v[4:5]
	s_mov_b32 s23, 0
	s_wait_loadcnt 0x0
	ds_store_2addr_b64 v169, v[0:1], v[2:3] offset1:1
	global_load_b128 v[0:3], v[6:7], off
	s_wait_xcnt 0x0
	v_add_nc_u64_e32 v[6:7], s[42:43], v[6:7]
	s_wait_loadcnt 0x0
	ds_store_2addr_b64 v170, v[0:1], v[2:3] offset1:1
	global_load_b128 v[0:3], v[6:7], off
	s_wait_loadcnt 0x0
	ds_store_2addr_b64 v171, v[0:1], v[2:3] offset1:1
	v_add_nc_u64_e32 v[0:1], s[42:43], v[6:7]
	global_load_b128 v[0:3], v[0:1], off
	s_wait_loadcnt 0x0
	ds_store_2addr_b64 v172, v[0:1], v[2:3] offset1:1
.LBB24_15:                              ;   in Loop: Header=BB24_4 Depth=1
	s_and_not1_b32 vcc_lo, exec_lo, s23
	s_cbranch_vccnz .LBB24_27
; %bb.16:                               ;   in Loop: Header=BB24_4 Depth=1
	s_wait_xcnt 0x0
	s_and_saveexec_b32 s23, s3
	s_delay_alu instid0(SALU_CYCLE_1)
	s_xor_b32 s23, exec_lo, s23
; %bb.17:                               ;   in Loop: Header=BB24_4 Depth=1
	v_dual_mov_b32 v0, v151 :: v_dual_mov_b32 v1, v151
	v_dual_mov_b32 v2, v151 :: v_dual_mov_b32 v3, v151
	ds_store_b128 v169, v[0:3]
; %bb.18:                               ;   in Loop: Header=BB24_4 Depth=1
	s_or_saveexec_b32 s23, s23
	v_lshl_add_u64 v[0:1], v[152:153], 4, v[4:5]
	s_delay_alu instid0(VALU_DEP_1) | instskip(NEXT) | instid1(VALU_DEP_1)
	v_lshl_add_u64 v[0:1], s[40:41], 4, v[0:1]
	v_add_nc_u64_e32 v[0:1], -16, v[0:1]
	s_delay_alu instid0(VALU_DEP_1)
	v_dual_cndmask_b32 v1, v1, v5, s1 :: v_dual_cndmask_b32 v0, v0, v4, s1
	s_xor_b32 exec_lo, exec_lo, s23
	s_cbranch_execnz .LBB24_120
; %bb.19:                               ;   in Loop: Header=BB24_4 Depth=1
	s_or_b32 exec_lo, exec_lo, s23
	s_and_saveexec_b32 s23, s4
	s_delay_alu instid0(SALU_CYCLE_1)
	s_xor_b32 s23, exec_lo, s23
	s_cbranch_execnz .LBB24_121
.LBB24_20:                              ;   in Loop: Header=BB24_4 Depth=1
	s_and_not1_saveexec_b32 s23, s23
	s_cbranch_execnz .LBB24_122
.LBB24_21:                              ;   in Loop: Header=BB24_4 Depth=1
	s_or_b32 exec_lo, exec_lo, s23
	s_and_saveexec_b32 s23, s5
	s_delay_alu instid0(SALU_CYCLE_1)
	s_xor_b32 s23, exec_lo, s23
	s_cbranch_execnz .LBB24_123
.LBB24_22:                              ;   in Loop: Header=BB24_4 Depth=1
	s_and_not1_saveexec_b32 s23, s23
	s_cbranch_execnz .LBB24_124
.LBB24_23:                              ;   in Loop: Header=BB24_4 Depth=1
	s_or_b32 exec_lo, exec_lo, s23
	s_and_saveexec_b32 s23, s6
	s_delay_alu instid0(SALU_CYCLE_1)
	s_xor_b32 s23, exec_lo, s23
	s_cbranch_execnz .LBB24_125
.LBB24_24:                              ;   in Loop: Header=BB24_4 Depth=1
	s_and_not1_saveexec_b32 s23, s23
	s_cbranch_execz .LBB24_26
.LBB24_25:                              ;   in Loop: Header=BB24_4 Depth=1
	v_add_nc_u64_e32 v[2:3], s[54:55], v[0:1]
	global_load_b128 v[6:9], v[2:3], off
	s_wait_loadcnt 0x0
	ds_store_2addr_b64 v172, v[6:7], v[8:9] offset1:1
.LBB24_26:                              ;   in Loop: Header=BB24_4 Depth=1
	s_wait_xcnt 0x0
	s_or_b32 exec_lo, exec_lo, s23
	v_add_nc_u64_e32 v[0:1], v[0:1], v[150:151]
	s_delay_alu instid0(VALU_DEP_1) | instskip(NEXT) | instid1(VALU_DEP_1)
	v_lshl_add_u64 v[0:1], s[70:71], 4, v[0:1]
	v_add_nc_u64_e32 v[0:1], 16, v[0:1]
	s_delay_alu instid0(VALU_DEP_1)
	v_dual_cndmask_b32 v5, v1, v5, s1 :: v_dual_cndmask_b32 v4, v0, v4, s1
.LBB24_27:                              ;   in Loop: Header=BB24_4 Depth=1
	s_mov_b32 s23, 0
	s_wait_dscnt 0x0
	s_barrier_signal -1
	s_barrier_wait -1
	s_wait_xcnt 0x0
	s_and_saveexec_b32 s52, s7
	s_delay_alu instid0(SALU_CYCLE_1)
	s_xor_b32 s52, exec_lo, s52
; %bb.28:                               ;   in Loop: Header=BB24_4 Depth=1
	s_and_b32 s23, s8, exec_lo
; %bb.29:                               ;   in Loop: Header=BB24_4 Depth=1
	s_or_saveexec_b32 s52, s52
	v_mov_b64_e32 v[2:3], 0
	v_mov_b32_e32 v6, v173
	s_xor_b32 exec_lo, exec_lo, s52
	s_cbranch_execz .LBB24_31
; %bb.30:                               ;   in Loop: Header=BB24_4 Depth=1
	ds_load_b128 v[0:3], v190
	v_mov_b32_e32 v6, v174
	s_or_b32 s23, s23, exec_lo
	s_wait_dscnt 0x0
	v_xor_b32_e32 v3, 0x80000000, v3
	ds_store_b64 v174, v[0:1]
.LBB24_31:                              ;   in Loop: Header=BB24_4 Depth=1
	s_or_b32 exec_lo, exec_lo, s52
	s_and_saveexec_b32 s52, s23
; %bb.32:                               ;   in Loop: Header=BB24_4 Depth=1
	ds_store_b64 v6, v[2:3] offset:8
; %bb.33:                               ;   in Loop: Header=BB24_4 Depth=1
	s_or_b32 exec_lo, exec_lo, s52
	s_mov_b32 s23, 0
	s_and_saveexec_b32 s52, s9
	s_delay_alu instid0(SALU_CYCLE_1)
	s_xor_b32 s52, exec_lo, s52
; %bb.34:                               ;   in Loop: Header=BB24_4 Depth=1
	s_and_b32 s23, s10, exec_lo
; %bb.35:                               ;   in Loop: Header=BB24_4 Depth=1
	s_or_saveexec_b32 s52, s52
	v_mov_b64_e32 v[2:3], 0
	v_mov_b32_e32 v6, v173
	s_xor_b32 exec_lo, exec_lo, s52
	s_cbranch_execz .LBB24_37
; %bb.36:                               ;   in Loop: Header=BB24_4 Depth=1
	ds_load_b128 v[0:3], v191
	v_mov_b32_e32 v6, v175
	s_or_b32 s23, s23, exec_lo
	s_wait_dscnt 0x0
	v_xor_b32_e32 v3, 0x80000000, v3
	ds_store_b64 v175, v[0:1]
.LBB24_37:                              ;   in Loop: Header=BB24_4 Depth=1
	s_or_b32 exec_lo, exec_lo, s52
	s_and_saveexec_b32 s52, s23
; %bb.38:                               ;   in Loop: Header=BB24_4 Depth=1
	ds_store_b64 v6, v[2:3] offset:8
; %bb.39:                               ;   in Loop: Header=BB24_4 Depth=1
	s_or_b32 exec_lo, exec_lo, s52
	s_mov_b32 s23, 0
	s_and_saveexec_b32 s52, s11
	s_delay_alu instid0(SALU_CYCLE_1)
	s_xor_b32 s52, exec_lo, s52
; %bb.40:                               ;   in Loop: Header=BB24_4 Depth=1
	s_and_b32 s23, s12, exec_lo
; %bb.41:                               ;   in Loop: Header=BB24_4 Depth=1
	s_or_saveexec_b32 s52, s52
	v_mov_b64_e32 v[2:3], 0
	v_mov_b32_e32 v6, v173
	s_xor_b32 exec_lo, exec_lo, s52
	s_cbranch_execz .LBB24_43
; %bb.42:                               ;   in Loop: Header=BB24_4 Depth=1
	ds_load_b128 v[0:3], v191 offset:528
	v_mov_b32_e32 v6, v176
	s_or_b32 s23, s23, exec_lo
	s_wait_dscnt 0x0
	v_xor_b32_e32 v3, 0x80000000, v3
	ds_store_b64 v176, v[0:1]
.LBB24_43:                              ;   in Loop: Header=BB24_4 Depth=1
	s_or_b32 exec_lo, exec_lo, s52
	s_and_saveexec_b32 s52, s23
; %bb.44:                               ;   in Loop: Header=BB24_4 Depth=1
	ds_store_b64 v6, v[2:3] offset:8
; %bb.45:                               ;   in Loop: Header=BB24_4 Depth=1
	s_or_b32 exec_lo, exec_lo, s52
	s_mov_b32 s23, 0
	s_and_saveexec_b32 s52, s13
	s_delay_alu instid0(SALU_CYCLE_1)
	s_xor_b32 s52, exec_lo, s52
; %bb.46:                               ;   in Loop: Header=BB24_4 Depth=1
	s_and_b32 s23, s14, exec_lo
; %bb.47:                               ;   in Loop: Header=BB24_4 Depth=1
	s_or_saveexec_b32 s52, s52
	v_mov_b64_e32 v[2:3], 0
	v_mov_b32_e32 v6, v173
	s_xor_b32 exec_lo, exec_lo, s52
	s_cbranch_execz .LBB24_49
; %bb.48:                               ;   in Loop: Header=BB24_4 Depth=1
	ds_load_b128 v[0:3], v191 offset:1056
	v_mov_b32_e32 v6, v178
	s_or_b32 s23, s23, exec_lo
	s_wait_dscnt 0x0
	v_xor_b32_e32 v3, 0x80000000, v3
	ds_store_b64 v178, v[0:1]
.LBB24_49:                              ;   in Loop: Header=BB24_4 Depth=1
	s_or_b32 exec_lo, exec_lo, s52
	s_and_saveexec_b32 s52, s23
; %bb.50:                               ;   in Loop: Header=BB24_4 Depth=1
	ds_store_b64 v6, v[2:3] offset:8
; %bb.51:                               ;   in Loop: Header=BB24_4 Depth=1
	s_or_b32 exec_lo, exec_lo, s52
	s_wait_dscnt 0x0
	s_barrier_signal -1
	s_barrier_wait -1
	ds_load_b128 v[0:3], v179
	ds_load_b128 v[6:9], v179 offset:16
	ds_load_b128 v[10:13], v179 offset:32
	;; [unrolled: 1-line block ×3, first 2 shown]
	ds_load_b128 v[18:21], v190
	s_wait_dscnt 0x0
	v_mul_f64_e32 v[22:23], v[2:3], v[20:21]
	v_mul_f64_e32 v[20:21], v[0:1], v[20:21]
	s_delay_alu instid0(VALU_DEP_2) | instskip(NEXT) | instid1(VALU_DEP_2)
	v_fma_f64 v[22:23], v[0:1], v[18:19], -v[22:23]
	v_fmac_f64_e32 v[20:21], v[2:3], v[18:19]
	v_mov_b64_e32 v[0:1], 0
	s_delay_alu instid0(VALU_DEP_3) | instskip(NEXT) | instid1(VALU_DEP_3)
	v_add_f64_e32 v[2:3], 0, v[22:23]
	v_add_f64_e32 v[22:23], 0, v[20:21]
	ds_load_b128 v[18:21], v191
	s_wait_dscnt 0x0
	v_mul_f64_e32 v[24:25], v[8:9], v[20:21]
	s_delay_alu instid0(VALU_DEP_1) | instskip(SKIP_1) | instid1(VALU_DEP_2)
	v_fma_f64 v[24:25], v[6:7], v[18:19], -v[24:25]
	v_mul_f64_e32 v[6:7], v[6:7], v[20:21]
	v_add_f64_e32 v[2:3], v[2:3], v[24:25]
	s_delay_alu instid0(VALU_DEP_2) | instskip(NEXT) | instid1(VALU_DEP_1)
	v_fmac_f64_e32 v[6:7], v[8:9], v[18:19]
	v_add_f64_e32 v[18:19], v[22:23], v[6:7]
	ds_load_b128 v[6:9], v191 offset:528
	s_wait_dscnt 0x0
	v_mul_f64_e32 v[20:21], v[12:13], v[8:9]
	v_mul_f64_e32 v[8:9], v[10:11], v[8:9]
	s_delay_alu instid0(VALU_DEP_2) | instskip(NEXT) | instid1(VALU_DEP_2)
	v_fma_f64 v[20:21], v[10:11], v[6:7], -v[20:21]
	v_fmac_f64_e32 v[8:9], v[12:13], v[6:7]
	s_delay_alu instid0(VALU_DEP_2) | instskip(NEXT) | instid1(VALU_DEP_2)
	v_add_f64_e32 v[2:3], v[2:3], v[20:21]
	v_add_f64_e32 v[10:11], v[18:19], v[8:9]
	ds_load_b128 v[6:9], v191 offset:1056
	s_wait_dscnt 0x0
	s_barrier_signal -1
	s_barrier_wait -1
	v_mul_f64_e32 v[12:13], v[16:17], v[8:9]
	v_mul_f64_e32 v[8:9], v[14:15], v[8:9]
	s_delay_alu instid0(VALU_DEP_2) | instskip(NEXT) | instid1(VALU_DEP_2)
	v_fma_f64 v[12:13], v[14:15], v[6:7], -v[12:13]
	v_fmac_f64_e32 v[8:9], v[16:17], v[6:7]
	s_delay_alu instid0(VALU_DEP_2) | instskip(NEXT) | instid1(VALU_DEP_2)
	v_add_f64_e32 v[6:7], v[2:3], v[12:13]
	v_add_f64_e32 v[8:9], v[10:11], v[8:9]
	v_mov_b64_e32 v[2:3], 0
	ds_store_b128 v180, v[6:9]
	s_wait_dscnt 0x0
	s_barrier_signal -1
	s_barrier_wait -1
	s_and_saveexec_b32 s23, s15
	s_cbranch_execz .LBB24_53
; %bb.52:                               ;   in Loop: Header=BB24_4 Depth=1
	ds_load_b128 v[0:3], v177
	ds_load_b128 v[6:9], v177 offset:16
	s_wait_dscnt 0x0
	v_add_f64_e32 v[10:11], v[6:7], v[0:1]
	v_add_f64_e32 v[12:13], v[8:9], v[2:3]
	ds_load_b128 v[0:3], v177 offset:32
	ds_load_b128 v[6:9], v177 offset:48
	s_wait_dscnt 0x1
	v_add_f64_e32 v[0:1], v[10:11], v[0:1]
	v_add_f64_e32 v[2:3], v[12:13], v[2:3]
	s_wait_dscnt 0x0
	s_delay_alu instid0(VALU_DEP_2) | instskip(NEXT) | instid1(VALU_DEP_2)
	v_add_f64_e32 v[10:11], v[0:1], v[6:7]
	v_add_f64_e32 v[12:13], v[2:3], v[8:9]
	ds_load_b128 v[0:3], v177 offset:64
	ds_load_b128 v[6:9], v177 offset:80
	s_wait_dscnt 0x1
	v_add_f64_e32 v[0:1], v[10:11], v[0:1]
	v_add_f64_e32 v[2:3], v[12:13], v[2:3]
	s_wait_dscnt 0x0
	s_delay_alu instid0(VALU_DEP_2) | instskip(NEXT) | instid1(VALU_DEP_2)
	;; [unrolled: 9-line block ×3, first 2 shown]
	v_add_f64_e32 v[0:1], v[0:1], v[6:7]
	v_add_f64_e32 v[2:3], v[2:3], v[8:9]
.LBB24_53:                              ;   in Loop: Header=BB24_4 Depth=1
	s_or_b32 exec_lo, exec_lo, s23
	v_lshl_add_u64 v[4:5], s[58:59], 4, v[4:5]
	s_and_not1_b32 vcc_lo, exec_lo, s77
	s_mov_b32 s23, -1
	s_barrier_signal -1
	s_delay_alu instid0(VALU_DEP_1)
	v_add_nc_u64_e32 v[8:9], 0x200, v[4:5]
	s_barrier_wait -1
	s_cbranch_vccnz .LBB24_55
; %bb.54:                               ;   in Loop: Header=BB24_4 Depth=1
	v_add_nc_u64_e32 v[6:7], s[42:43], v[4:5]
	s_mov_b32 s23, 0
	s_delay_alu instid0(VALU_DEP_1) | instskip(NEXT) | instid1(VALU_DEP_1)
	v_add_nc_u64_e32 v[18:19], s[42:43], v[6:7]
	v_add_nc_u64_e32 v[22:23], s[42:43], v[18:19]
	s_clause 0x3
	global_load_b128 v[10:13], v[8:9], off
	global_load_b128 v[14:17], v[6:7], off offset:512
	global_load_b128 v[18:21], v[18:19], off offset:512
	;; [unrolled: 1-line block ×3, first 2 shown]
	s_wait_loadcnt 0x3
	ds_store_2addr_b64 v169, v[10:11], v[12:13] offset1:1
	s_wait_loadcnt 0x2
	ds_store_2addr_b64 v170, v[14:15], v[16:17] offset1:1
	;; [unrolled: 2-line block ×4, first 2 shown]
.LBB24_55:                              ;   in Loop: Header=BB24_4 Depth=1
	s_and_not1_b32 vcc_lo, exec_lo, s23
	s_cbranch_vccnz .LBB24_67
; %bb.56:                               ;   in Loop: Header=BB24_4 Depth=1
	s_wait_xcnt 0x0
	s_and_saveexec_b32 s23, s17
	s_delay_alu instid0(SALU_CYCLE_1)
	s_xor_b32 s23, exec_lo, s23
; %bb.57:                               ;   in Loop: Header=BB24_4 Depth=1
	v_dual_mov_b32 v10, v151 :: v_dual_mov_b32 v11, v151
	v_dual_mov_b32 v12, v151 :: v_dual_mov_b32 v13, v151
	ds_store_b128 v169, v[10:13]
; %bb.58:                               ;   in Loop: Header=BB24_4 Depth=1
	s_or_saveexec_b32 s23, s23
	v_lshl_add_u64 v[4:5], v[152:153], 4, v[4:5]
	s_delay_alu instid0(VALU_DEP_1) | instskip(NEXT) | instid1(VALU_DEP_1)
	v_lshl_add_u64 v[4:5], s[40:41], 4, v[4:5]
	v_add_nc_u64_e32 v[4:5], -16, v[4:5]
	s_delay_alu instid0(VALU_DEP_1)
	v_dual_cndmask_b32 v5, v5, v9, s16 :: v_dual_cndmask_b32 v4, v4, v8, s16
	s_xor_b32 exec_lo, exec_lo, s23
	s_cbranch_execnz .LBB24_126
; %bb.59:                               ;   in Loop: Header=BB24_4 Depth=1
	s_or_b32 exec_lo, exec_lo, s23
	s_and_saveexec_b32 s23, s18
	s_delay_alu instid0(SALU_CYCLE_1)
	s_xor_b32 s23, exec_lo, s23
	s_cbranch_execnz .LBB24_127
.LBB24_60:                              ;   in Loop: Header=BB24_4 Depth=1
	s_and_not1_saveexec_b32 s23, s23
	s_cbranch_execnz .LBB24_128
.LBB24_61:                              ;   in Loop: Header=BB24_4 Depth=1
	s_or_b32 exec_lo, exec_lo, s23
	s_and_saveexec_b32 s23, s19
	s_delay_alu instid0(SALU_CYCLE_1)
	s_xor_b32 s23, exec_lo, s23
	s_cbranch_execnz .LBB24_129
.LBB24_62:                              ;   in Loop: Header=BB24_4 Depth=1
	s_and_not1_saveexec_b32 s23, s23
	s_cbranch_execnz .LBB24_130
.LBB24_63:                              ;   in Loop: Header=BB24_4 Depth=1
	s_or_b32 exec_lo, exec_lo, s23
	s_and_saveexec_b32 s23, s20
	s_delay_alu instid0(SALU_CYCLE_1)
	s_xor_b32 s23, exec_lo, s23
	s_cbranch_execnz .LBB24_131
.LBB24_64:                              ;   in Loop: Header=BB24_4 Depth=1
	s_and_not1_saveexec_b32 s23, s23
	s_cbranch_execz .LBB24_66
.LBB24_65:                              ;   in Loop: Header=BB24_4 Depth=1
	v_add_nc_u64_e32 v[6:7], s[54:55], v[4:5]
	global_load_b128 v[10:13], v[6:7], off
	s_wait_loadcnt 0x0
	ds_store_2addr_b64 v172, v[10:11], v[12:13] offset1:1
.LBB24_66:                              ;   in Loop: Header=BB24_4 Depth=1
	s_wait_xcnt 0x0
	s_or_b32 exec_lo, exec_lo, s23
	v_add_nc_u64_e32 v[4:5], v[4:5], v[150:151]
	s_delay_alu instid0(VALU_DEP_1) | instskip(NEXT) | instid1(VALU_DEP_1)
	v_lshl_add_u64 v[4:5], s[70:71], 4, v[4:5]
	v_add_nc_u64_e32 v[4:5], 0x210, v[4:5]
	s_delay_alu instid0(VALU_DEP_1)
	v_dual_cndmask_b32 v9, v5, v9, s16 :: v_dual_cndmask_b32 v8, v4, v8, s16
.LBB24_67:                              ;   in Loop: Header=BB24_4 Depth=1
	s_mov_b32 s23, 0
	s_wait_dscnt 0x0
	s_barrier_signal -1
	s_barrier_wait -1
	s_wait_xcnt 0x0
	s_and_saveexec_b32 s52, s7
	s_delay_alu instid0(SALU_CYCLE_1)
	s_xor_b32 s52, exec_lo, s52
; %bb.68:                               ;   in Loop: Header=BB24_4 Depth=1
	s_and_b32 s23, s8, exec_lo
; %bb.69:                               ;   in Loop: Header=BB24_4 Depth=1
	s_or_saveexec_b32 s52, s52
	v_mov_b64_e32 v[6:7], 0
	v_mov_b32_e32 v10, v173
	s_xor_b32 exec_lo, exec_lo, s52
	s_cbranch_execz .LBB24_71
; %bb.70:                               ;   in Loop: Header=BB24_4 Depth=1
	ds_load_b128 v[4:7], v190
	v_mov_b32_e32 v10, v174
	s_or_b32 s23, s23, exec_lo
	s_wait_dscnt 0x0
	v_xor_b32_e32 v7, 0x80000000, v7
	ds_store_b64 v174, v[4:5]
.LBB24_71:                              ;   in Loop: Header=BB24_4 Depth=1
	s_or_b32 exec_lo, exec_lo, s52
	s_and_saveexec_b32 s52, s23
; %bb.72:                               ;   in Loop: Header=BB24_4 Depth=1
	ds_store_b64 v10, v[6:7] offset:8
; %bb.73:                               ;   in Loop: Header=BB24_4 Depth=1
	s_or_b32 exec_lo, exec_lo, s52
	s_mov_b32 s23, 0
	s_and_saveexec_b32 s52, s9
	s_delay_alu instid0(SALU_CYCLE_1)
	s_xor_b32 s52, exec_lo, s52
; %bb.74:                               ;   in Loop: Header=BB24_4 Depth=1
	s_and_b32 s23, s10, exec_lo
; %bb.75:                               ;   in Loop: Header=BB24_4 Depth=1
	s_or_saveexec_b32 s52, s52
	v_mov_b64_e32 v[6:7], 0
	v_mov_b32_e32 v10, v173
	s_xor_b32 exec_lo, exec_lo, s52
	s_cbranch_execz .LBB24_77
; %bb.76:                               ;   in Loop: Header=BB24_4 Depth=1
	ds_load_b128 v[4:7], v191
	v_mov_b32_e32 v10, v175
	s_or_b32 s23, s23, exec_lo
	s_wait_dscnt 0x0
	v_xor_b32_e32 v7, 0x80000000, v7
	ds_store_b64 v175, v[4:5]
.LBB24_77:                              ;   in Loop: Header=BB24_4 Depth=1
	s_or_b32 exec_lo, exec_lo, s52
	s_and_saveexec_b32 s52, s23
; %bb.78:                               ;   in Loop: Header=BB24_4 Depth=1
	ds_store_b64 v10, v[6:7] offset:8
; %bb.79:                               ;   in Loop: Header=BB24_4 Depth=1
	s_or_b32 exec_lo, exec_lo, s52
	s_mov_b32 s23, 0
	s_and_saveexec_b32 s52, s11
	s_delay_alu instid0(SALU_CYCLE_1)
	s_xor_b32 s52, exec_lo, s52
; %bb.80:                               ;   in Loop: Header=BB24_4 Depth=1
	s_and_b32 s23, s12, exec_lo
; %bb.81:                               ;   in Loop: Header=BB24_4 Depth=1
	s_or_saveexec_b32 s52, s52
	v_mov_b64_e32 v[6:7], 0
	v_mov_b32_e32 v10, v173
	s_xor_b32 exec_lo, exec_lo, s52
	s_cbranch_execz .LBB24_83
; %bb.82:                               ;   in Loop: Header=BB24_4 Depth=1
	ds_load_b128 v[4:7], v191 offset:528
	v_mov_b32_e32 v10, v176
	s_or_b32 s23, s23, exec_lo
	s_wait_dscnt 0x0
	v_xor_b32_e32 v7, 0x80000000, v7
	ds_store_b64 v176, v[4:5]
.LBB24_83:                              ;   in Loop: Header=BB24_4 Depth=1
	s_or_b32 exec_lo, exec_lo, s52
	s_and_saveexec_b32 s52, s23
; %bb.84:                               ;   in Loop: Header=BB24_4 Depth=1
	ds_store_b64 v10, v[6:7] offset:8
; %bb.85:                               ;   in Loop: Header=BB24_4 Depth=1
	s_or_b32 exec_lo, exec_lo, s52
	s_mov_b32 s23, 0
	s_and_saveexec_b32 s52, s13
	s_delay_alu instid0(SALU_CYCLE_1)
	s_xor_b32 s52, exec_lo, s52
; %bb.86:                               ;   in Loop: Header=BB24_4 Depth=1
	s_and_b32 s23, s14, exec_lo
; %bb.87:                               ;   in Loop: Header=BB24_4 Depth=1
	s_or_saveexec_b32 s52, s52
	v_mov_b64_e32 v[6:7], 0
	v_mov_b32_e32 v10, v173
	s_xor_b32 exec_lo, exec_lo, s52
	s_cbranch_execz .LBB24_89
; %bb.88:                               ;   in Loop: Header=BB24_4 Depth=1
	ds_load_b128 v[4:7], v191 offset:1056
	v_mov_b32_e32 v10, v178
	s_or_b32 s23, s23, exec_lo
	s_wait_dscnt 0x0
	v_xor_b32_e32 v7, 0x80000000, v7
	ds_store_b64 v178, v[4:5]
.LBB24_89:                              ;   in Loop: Header=BB24_4 Depth=1
	s_or_b32 exec_lo, exec_lo, s52
	s_and_saveexec_b32 s52, s23
; %bb.90:                               ;   in Loop: Header=BB24_4 Depth=1
	ds_store_b64 v10, v[6:7] offset:8
; %bb.91:                               ;   in Loop: Header=BB24_4 Depth=1
	s_or_b32 exec_lo, exec_lo, s52
	s_wait_dscnt 0x0
	s_barrier_signal -1
	s_barrier_wait -1
	ds_load_b128 v[4:7], v179 offset:512
	ds_load_b128 v[10:13], v179 offset:528
	;; [unrolled: 1-line block ×4, first 2 shown]
	ds_load_b128 v[22:25], v190
	s_wait_dscnt 0x0
	v_mul_f64_e32 v[26:27], v[6:7], v[24:25]
	s_delay_alu instid0(VALU_DEP_1) | instskip(SKIP_1) | instid1(VALU_DEP_1)
	v_fma_f64 v[26:27], v[4:5], v[22:23], -v[26:27]
	v_mul_f64_e32 v[4:5], v[4:5], v[24:25]
	v_fmac_f64_e32 v[4:5], v[6:7], v[22:23]
	s_delay_alu instid0(VALU_DEP_3) | instskip(NEXT) | instid1(VALU_DEP_2)
	v_add_f64_e32 v[22:23], 0, v[26:27]
	v_add_f64_e32 v[24:25], 0, v[4:5]
	ds_load_b128 v[4:7], v191
	s_wait_dscnt 0x0
	v_mul_f64_e32 v[26:27], v[12:13], v[6:7]
	v_mul_f64_e32 v[6:7], v[10:11], v[6:7]
	s_delay_alu instid0(VALU_DEP_2) | instskip(NEXT) | instid1(VALU_DEP_2)
	v_fma_f64 v[26:27], v[10:11], v[4:5], -v[26:27]
	v_fmac_f64_e32 v[6:7], v[12:13], v[4:5]
	s_delay_alu instid0(VALU_DEP_2) | instskip(NEXT) | instid1(VALU_DEP_2)
	v_add_f64_e32 v[10:11], v[22:23], v[26:27]
	v_add_f64_e32 v[12:13], v[24:25], v[6:7]
	ds_load_b128 v[4:7], v191 offset:528
	s_wait_dscnt 0x0
	v_mul_f64_e32 v[22:23], v[16:17], v[6:7]
	v_mul_f64_e32 v[6:7], v[14:15], v[6:7]
	s_delay_alu instid0(VALU_DEP_2) | instskip(NEXT) | instid1(VALU_DEP_2)
	v_fma_f64 v[22:23], v[14:15], v[4:5], -v[22:23]
	v_fmac_f64_e32 v[6:7], v[16:17], v[4:5]
	s_delay_alu instid0(VALU_DEP_2) | instskip(NEXT) | instid1(VALU_DEP_2)
	v_add_f64_e32 v[10:11], v[10:11], v[22:23]
	v_add_f64_e32 v[12:13], v[12:13], v[6:7]
	ds_load_b128 v[4:7], v191 offset:1056
	s_wait_dscnt 0x0
	s_barrier_signal -1
	s_barrier_wait -1
	v_mul_f64_e32 v[14:15], v[20:21], v[6:7]
	v_mul_f64_e32 v[6:7], v[18:19], v[6:7]
	s_delay_alu instid0(VALU_DEP_2) | instskip(NEXT) | instid1(VALU_DEP_2)
	v_fma_f64 v[14:15], v[18:19], v[4:5], -v[14:15]
	v_fmac_f64_e32 v[6:7], v[20:21], v[4:5]
	s_delay_alu instid0(VALU_DEP_2) | instskip(NEXT) | instid1(VALU_DEP_2)
	v_add_f64_e32 v[4:5], v[10:11], v[14:15]
	v_add_f64_e32 v[6:7], v[12:13], v[6:7]
	ds_store_b128 v180, v[4:7]
	s_wait_dscnt 0x0
	s_barrier_signal -1
	s_barrier_wait -1
	s_and_saveexec_b32 s23, s21
	s_cbranch_execz .LBB24_93
; %bb.92:                               ;   in Loop: Header=BB24_4 Depth=1
	ds_load_b128 v[0:3], v177
	ds_load_b128 v[4:7], v177 offset:16
	s_wait_dscnt 0x0
	v_add_f64_e32 v[10:11], v[4:5], v[0:1]
	v_add_f64_e32 v[12:13], v[6:7], v[2:3]
	ds_load_b128 v[0:3], v177 offset:32
	ds_load_b128 v[4:7], v177 offset:48
	s_wait_dscnt 0x1
	v_add_f64_e32 v[0:1], v[10:11], v[0:1]
	v_add_f64_e32 v[2:3], v[12:13], v[2:3]
	s_wait_dscnt 0x0
	s_delay_alu instid0(VALU_DEP_2) | instskip(NEXT) | instid1(VALU_DEP_2)
	v_add_f64_e32 v[10:11], v[0:1], v[4:5]
	v_add_f64_e32 v[12:13], v[2:3], v[6:7]
	ds_load_b128 v[0:3], v177 offset:64
	ds_load_b128 v[4:7], v177 offset:80
	s_wait_dscnt 0x1
	v_add_f64_e32 v[0:1], v[10:11], v[0:1]
	v_add_f64_e32 v[2:3], v[12:13], v[2:3]
	s_wait_dscnt 0x0
	s_delay_alu instid0(VALU_DEP_2) | instskip(NEXT) | instid1(VALU_DEP_2)
	;; [unrolled: 9-line block ×3, first 2 shown]
	v_add_f64_e32 v[0:1], v[0:1], v[4:5]
	v_add_f64_e32 v[2:3], v[2:3], v[6:7]
.LBB24_93:                              ;   in Loop: Header=BB24_4 Depth=1
	s_or_b32 exec_lo, exec_lo, s23
	v_lshl_add_u64 v[38:39], s[60:61], 4, v[8:9]
	s_and_not1_b32 vcc_lo, exec_lo, s77
	s_mov_b32 s23, -1
	s_barrier_signal -1
	s_barrier_wait -1
	s_cbranch_vccnz .LBB24_95
; %bb.94:                               ;   in Loop: Header=BB24_4 Depth=1
	v_add_nc_u64_e32 v[8:9], s[42:43], v[38:39]
	s_mov_b32 s23, 0
	s_delay_alu instid0(VALU_DEP_1) | instskip(NEXT) | instid1(VALU_DEP_1)
	v_add_nc_u64_e32 v[12:13], s[42:43], v[8:9]
	v_add_nc_u64_e32 v[16:17], s[42:43], v[12:13]
	s_clause 0x3
	global_load_b128 v[4:7], v[38:39], off
	global_load_b128 v[8:11], v[8:9], off
	;; [unrolled: 1-line block ×4, first 2 shown]
	s_wait_loadcnt 0x3
	ds_store_2addr_b64 v169, v[4:5], v[6:7] offset1:1
	s_wait_loadcnt 0x2
	ds_store_2addr_b64 v170, v[8:9], v[10:11] offset1:1
	;; [unrolled: 2-line block ×4, first 2 shown]
.LBB24_95:                              ;   in Loop: Header=BB24_4 Depth=1
	s_and_not1_b32 vcc_lo, exec_lo, s23
	s_cbranch_vccnz .LBB24_107
; %bb.96:                               ;   in Loop: Header=BB24_4 Depth=1
	s_wait_xcnt 0x0
	s_and_saveexec_b32 s23, s3
	s_delay_alu instid0(SALU_CYCLE_1)
	s_xor_b32 s23, exec_lo, s23
; %bb.97:                               ;   in Loop: Header=BB24_4 Depth=1
	v_dual_mov_b32 v4, v151 :: v_dual_mov_b32 v5, v151
	v_dual_mov_b32 v6, v151 :: v_dual_mov_b32 v7, v151
	ds_store_b128 v169, v[4:7]
; %bb.98:                               ;   in Loop: Header=BB24_4 Depth=1
	s_or_saveexec_b32 s23, s23
	v_lshl_add_u64 v[4:5], v[152:153], 4, v[38:39]
	s_delay_alu instid0(VALU_DEP_1) | instskip(NEXT) | instid1(VALU_DEP_1)
	v_lshl_add_u64 v[4:5], s[40:41], 4, v[4:5]
	v_add_nc_u64_e32 v[4:5], s[66:67], v[4:5]
	s_delay_alu instid0(VALU_DEP_1)
	v_dual_cndmask_b32 v5, v5, v39, s16 :: v_dual_cndmask_b32 v4, v4, v38, s16
	s_xor_b32 exec_lo, exec_lo, s23
	s_cbranch_execnz .LBB24_132
; %bb.99:                               ;   in Loop: Header=BB24_4 Depth=1
	s_or_b32 exec_lo, exec_lo, s23
	s_and_saveexec_b32 s23, s4
	s_delay_alu instid0(SALU_CYCLE_1)
	s_xor_b32 s23, exec_lo, s23
	s_cbranch_execnz .LBB24_133
.LBB24_100:                             ;   in Loop: Header=BB24_4 Depth=1
	s_and_not1_saveexec_b32 s23, s23
	s_cbranch_execnz .LBB24_134
.LBB24_101:                             ;   in Loop: Header=BB24_4 Depth=1
	s_or_b32 exec_lo, exec_lo, s23
	s_and_saveexec_b32 s23, s5
	s_delay_alu instid0(SALU_CYCLE_1)
	s_xor_b32 s23, exec_lo, s23
	s_cbranch_execnz .LBB24_135
.LBB24_102:                             ;   in Loop: Header=BB24_4 Depth=1
	s_and_not1_saveexec_b32 s23, s23
	s_cbranch_execnz .LBB24_136
.LBB24_103:                             ;   in Loop: Header=BB24_4 Depth=1
	s_or_b32 exec_lo, exec_lo, s23
	s_and_saveexec_b32 s23, s6
	s_delay_alu instid0(SALU_CYCLE_1)
	s_xor_b32 s23, exec_lo, s23
	s_cbranch_execnz .LBB24_137
.LBB24_104:                             ;   in Loop: Header=BB24_4 Depth=1
	s_and_not1_saveexec_b32 s23, s23
	s_cbranch_execz .LBB24_106
.LBB24_105:                             ;   in Loop: Header=BB24_4 Depth=1
	v_add_nc_u64_e32 v[6:7], s[54:55], v[4:5]
	global_load_b128 v[6:9], v[6:7], off
	s_wait_loadcnt 0x0
	ds_store_2addr_b64 v172, v[6:7], v[8:9] offset1:1
.LBB24_106:                             ;   in Loop: Header=BB24_4 Depth=1
	s_wait_xcnt 0x0
	s_or_b32 exec_lo, exec_lo, s23
	v_add_nc_u64_e32 v[4:5], v[4:5], v[150:151]
	s_delay_alu instid0(VALU_DEP_1) | instskip(NEXT) | instid1(VALU_DEP_1)
	v_lshl_add_u64 v[4:5], s[70:71], 4, v[4:5]
	v_add_nc_u64_e32 v[4:5], 0x210, v[4:5]
	s_delay_alu instid0(VALU_DEP_1)
	v_dual_cndmask_b32 v39, v5, v39, s16 :: v_dual_cndmask_b32 v38, v4, v38, s16
.LBB24_107:                             ;   in Loop: Header=BB24_4 Depth=1
	s_wait_dscnt 0x0
	s_barrier_signal -1
	s_barrier_wait -1
	ds_load_b128 v[4:7], v192
	s_wait_xcnt 0x2
	ds_load_b128 v[8:11], v169
	s_wait_xcnt 0x1
	;; [unrolled: 2-line block ×3, first 2 shown]
	ds_load_b128 v[16:19], v189 offset:384
	ds_load_b128 v[20:23], v189 offset:128
	;; [unrolled: 1-line block ×3, first 2 shown]
	s_wait_dscnt 0x4
	v_mul_f64_e32 v[28:29], v[6:7], v[10:11]
	v_mul_f64_e32 v[30:31], v[4:5], v[10:11]
	s_wait_dscnt 0x1
	v_mul_f64_e32 v[32:33], v[22:23], v[14:15]
	v_mul_f64_e32 v[14:15], v[20:21], v[14:15]
	s_delay_alu instid0(VALU_DEP_4) | instskip(NEXT) | instid1(VALU_DEP_4)
	v_fma_f64 v[28:29], v[4:5], v[8:9], -v[28:29]
	v_fmac_f64_e32 v[30:31], v[6:7], v[8:9]
	ds_load_b128 v[4:7], v171
	ds_load_b128 v[8:11], v172
	v_fma_f64 v[20:21], v[20:21], v[12:13], -v[32:33]
	v_fmac_f64_e32 v[14:15], v[22:23], v[12:13]
	s_wait_dscnt 0x1
	v_mul_f64_e32 v[34:35], v[26:27], v[6:7]
	v_mul_f64_e32 v[6:7], v[24:25], v[6:7]
	v_add_f64_e32 v[12:13], 0, v[28:29]
	v_add_f64_e32 v[22:23], 0, v[30:31]
	s_wait_dscnt 0x0
	v_mul_f64_e32 v[28:29], v[18:19], v[10:11]
	v_mul_f64_e32 v[10:11], v[16:17], v[10:11]
	v_fma_f64 v[24:25], v[24:25], v[4:5], -v[34:35]
	v_fmac_f64_e32 v[6:7], v[26:27], v[4:5]
	v_add_f64_e32 v[4:5], v[12:13], v[20:21]
	v_add_f64_e32 v[12:13], v[22:23], v[14:15]
	v_fma_f64 v[14:15], v[16:17], v[8:9], -v[28:29]
	v_fmac_f64_e32 v[10:11], v[18:19], v[8:9]
	s_delay_alu instid0(VALU_DEP_4) | instskip(NEXT) | instid1(VALU_DEP_4)
	v_add_f64_e32 v[4:5], v[4:5], v[24:25]
	v_add_f64_e32 v[6:7], v[12:13], v[6:7]
	s_delay_alu instid0(VALU_DEP_2) | instskip(NEXT) | instid1(VALU_DEP_2)
	v_add_f64_e32 v[40:41], v[4:5], v[14:15]
	v_add_f64_e32 v[42:43], v[6:7], v[10:11]
	ds_load_b128 v[28:31], v181
	ds_load_b128 v[20:23], v181 offset:16
	ds_load_b128 v[8:11], v181 offset:32
	;; [unrolled: 1-line block ×7, first 2 shown]
	s_wait_dscnt 0x0
	s_barrier_signal -1
	s_barrier_wait -1
	ds_store_b128 v180, v[40:43]
	s_wait_dscnt 0x0
	s_barrier_signal -1
	s_barrier_wait -1
	s_and_saveexec_b32 s23, s21
	s_cbranch_execz .LBB24_109
; %bb.108:                              ;   in Loop: Header=BB24_4 Depth=1
	ds_load_b128 v[40:43], v177
	ds_load_b128 v[44:47], v177 offset:16
	s_wait_dscnt 0x1
	v_add_f64_e32 v[0:1], v[0:1], v[40:41]
	v_add_f64_e32 v[2:3], v[2:3], v[42:43]
	s_wait_dscnt 0x0
	s_delay_alu instid0(VALU_DEP_2) | instskip(NEXT) | instid1(VALU_DEP_2)
	v_add_f64_e32 v[44:45], v[0:1], v[44:45]
	v_add_f64_e32 v[46:47], v[2:3], v[46:47]
	ds_load_b128 v[0:3], v177 offset:32
	ds_load_b128 v[40:43], v177 offset:48
	s_wait_dscnt 0x1
	v_add_f64_e32 v[0:1], v[44:45], v[0:1]
	v_add_f64_e32 v[2:3], v[46:47], v[2:3]
	s_wait_dscnt 0x0
	s_delay_alu instid0(VALU_DEP_2) | instskip(NEXT) | instid1(VALU_DEP_2)
	v_add_f64_e32 v[44:45], v[0:1], v[40:41]
	v_add_f64_e32 v[46:47], v[2:3], v[42:43]
	ds_load_b128 v[0:3], v177 offset:64
	;; [unrolled: 9-line block ×3, first 2 shown]
	ds_load_b128 v[40:43], v177 offset:112
	s_wait_dscnt 0x1
	v_add_f64_e32 v[0:1], v[44:45], v[0:1]
	v_add_f64_e32 v[2:3], v[46:47], v[2:3]
	s_wait_dscnt 0x0
	s_delay_alu instid0(VALU_DEP_2) | instskip(NEXT) | instid1(VALU_DEP_2)
	v_add_f64_e32 v[0:1], v[0:1], v[40:41]
	v_add_f64_e32 v[2:3], v[2:3], v[42:43]
.LBB24_109:                             ;   in Loop: Header=BB24_4 Depth=1
	s_or_b32 exec_lo, exec_lo, s23
	v_mul_f64_e32 v[40:41], v[30:31], v[34:35]
	v_mul_f64_e32 v[30:31], v[30:31], v[32:33]
	;; [unrolled: 1-line block ×4, first 2 shown]
	s_barrier_signal -1
	s_barrier_wait -1
	s_delay_alu instid0(VALU_DEP_4) | instskip(NEXT) | instid1(VALU_DEP_4)
	v_fmac_f64_e32 v[40:41], v[28:29], v[32:33]
	v_fma_f64 v[28:29], v[28:29], v[34:35], -v[30:31]
	v_mul_f64_e32 v[30:31], v[10:11], v[18:19]
	v_mul_f64_e32 v[10:11], v[10:11], v[16:17]
	v_fmac_f64_e32 v[42:43], v[20:21], v[24:25]
	v_fma_f64 v[20:21], v[20:21], v[26:27], -v[22:23]
	v_mul_f64_e32 v[26:27], v[6:7], v[14:15]
	v_mul_f64_e32 v[6:7], v[6:7], v[12:13]
	v_add_f64_e32 v[22:23], 0, v[40:41]
	v_add_f64_e32 v[24:25], 0, v[28:29]
	v_fmac_f64_e32 v[30:31], v[8:9], v[16:17]
	v_fma_f64 v[8:9], v[8:9], v[18:19], -v[10:11]
	v_fmac_f64_e32 v[26:27], v[4:5], v[12:13]
	v_fma_f64 v[6:7], v[4:5], v[14:15], -v[6:7]
	v_add_f64_e32 v[10:11], v[22:23], v[42:43]
	v_add_f64_e32 v[16:17], v[24:25], v[20:21]
	s_delay_alu instid0(VALU_DEP_2) | instskip(NEXT) | instid1(VALU_DEP_2)
	v_add_f64_e32 v[4:5], v[10:11], v[30:31]
	v_add_f64_e32 v[8:9], v[16:17], v[8:9]
	s_delay_alu instid0(VALU_DEP_2) | instskip(NEXT) | instid1(VALU_DEP_2)
	v_add_f64_e32 v[4:5], v[4:5], v[26:27]
	v_add_f64_e32 v[6:7], v[8:9], v[6:7]
	ds_store_b128 v180, v[4:7]
	s_wait_dscnt 0x0
	s_barrier_signal -1
	s_barrier_wait -1
	s_and_saveexec_b32 s23, s15
	s_cbranch_execz .LBB24_111
; %bb.110:                              ;   in Loop: Header=BB24_4 Depth=1
	ds_load_b128 v[4:7], v177
	ds_load_b128 v[8:11], v177 offset:16
	s_wait_dscnt 0x1
	v_add_f64_e32 v[0:1], v[0:1], v[4:5]
	v_add_f64_e32 v[2:3], v[2:3], v[6:7]
	s_wait_dscnt 0x0
	s_delay_alu instid0(VALU_DEP_2) | instskip(NEXT) | instid1(VALU_DEP_2)
	v_add_f64_e32 v[8:9], v[0:1], v[8:9]
	v_add_f64_e32 v[10:11], v[2:3], v[10:11]
	ds_load_b128 v[0:3], v177 offset:32
	ds_load_b128 v[4:7], v177 offset:48
	s_wait_dscnt 0x1
	v_add_f64_e32 v[0:1], v[8:9], v[0:1]
	v_add_f64_e32 v[2:3], v[10:11], v[2:3]
	s_wait_dscnt 0x0
	s_delay_alu instid0(VALU_DEP_2) | instskip(NEXT) | instid1(VALU_DEP_2)
	v_add_f64_e32 v[8:9], v[0:1], v[4:5]
	v_add_f64_e32 v[10:11], v[2:3], v[6:7]
	ds_load_b128 v[0:3], v177 offset:64
	;; [unrolled: 9-line block ×3, first 2 shown]
	ds_load_b128 v[4:7], v177 offset:112
	s_wait_dscnt 0x1
	v_add_f64_e32 v[0:1], v[8:9], v[0:1]
	v_add_f64_e32 v[2:3], v[10:11], v[2:3]
	s_wait_dscnt 0x0
	s_delay_alu instid0(VALU_DEP_2) | instskip(NEXT) | instid1(VALU_DEP_2)
	v_add_f64_e32 v[0:1], v[0:1], v[4:5]
	v_add_f64_e32 v[2:3], v[2:3], v[6:7]
.LBB24_111:                             ;   in Loop: Header=BB24_4 Depth=1
	s_or_b32 exec_lo, exec_lo, s23
	s_mul_u64 s[74:75], s[56:57], s[34:35]
	s_and_not1_b32 vcc_lo, exec_lo, s78
	s_lshl_b64 s[74:75], s[74:75], 4
	s_delay_alu instid0(SALU_CYCLE_1)
	s_add_nc_u64 s[74:75], s[50:51], s[74:75]
	s_barrier_signal -1
	s_barrier_wait -1
	s_cbranch_vccnz .LBB24_118
; %bb.112:                              ;   in Loop: Header=BB24_4 Depth=1
	v_lshl_add_u64 v[4:5], s[64:65], 4, v[38:39]
	v_dual_mov_b32 v7, v151 :: v_dual_lshlrev_b32 v6, 4, v148
	v_lshl_add_u64 v[164:165], s[62:63], 4, v[36:37]
	s_mov_b32 s52, 0
	s_delay_alu instid0(VALU_DEP_3) | instskip(SKIP_1) | instid1(VALU_DEP_1)
	v_lshl_add_u64 v[4:5], v[162:163], 4, v[4:5]
	s_mov_b32 s23, s76
	v_lshl_add_u64 v[4:5], v[160:161], 4, v[4:5]
	s_delay_alu instid0(VALU_DEP_1) | instskip(SKIP_1) | instid1(VALU_DEP_1)
	v_add_nc_u64_e32 v[6:7], v[4:5], v[6:7]
	v_lshl_add_u64 v[4:5], s[40:41], 4, v[4:5]
	v_add_nc_u64_e32 v[4:5], s[66:67], v[4:5]
	s_delay_alu instid0(VALU_DEP_3) | instskip(NEXT) | instid1(VALU_DEP_1)
	v_add_nc_u64_e32 v[6:7], s[68:69], v[6:7]
	v_dual_cndmask_b32 v5, v7, v5, s2 :: v_dual_cndmask_b32 v4, v6, v4, s2
	s_branch .LBB24_114
.LBB24_113:                             ;   in Loop: Header=BB24_114 Depth=2
	s_wait_xcnt 0x0
	s_or_b32 exec_lo, exec_lo, s35
	v_mul_f64_e32 v[84:85], v[18:19], v[38:39]
	v_mul_f64_e32 v[38:39], v[16:17], v[38:39]
	;; [unrolled: 1-line block ×4, first 2 shown]
	s_add_co_i32 s23, s23, -1
	s_add_co_i32 s52, s52, 64
	s_cmp_eq_u32 s23, 0
	s_wait_storecnt 0x0
	s_barrier_signal -1
	s_barrier_wait -1
	s_delay_alu instid0(VALU_DEP_4) | instskip(NEXT) | instid1(VALU_DEP_4)
	v_fma_f64 v[16:17], v[16:17], v[36:37], -v[84:85]
	v_fmac_f64_e32 v[38:39], v[18:19], v[36:37]
	v_mul_f64_e32 v[18:19], v[10:11], v[46:47]
	v_mul_f64_e32 v[36:37], v[8:9], v[46:47]
	v_fma_f64 v[12:13], v[12:13], v[48:49], -v[86:87]
	v_fmac_f64_e32 v[50:51], v[14:15], v[48:49]
	v_mul_f64_e32 v[14:15], v[6:7], v[30:31]
	v_add_f64_e32 v[0:1], v[0:1], v[16:17]
	v_add_f64_e32 v[2:3], v[2:3], v[38:39]
	v_mul_f64_e32 v[16:17], v[4:5], v[30:31]
	v_fma_f64 v[8:9], v[8:9], v[44:45], -v[18:19]
	v_fmac_f64_e32 v[36:37], v[10:11], v[44:45]
	v_mul_f64_e32 v[10:11], v[42:43], v[74:75]
	v_fma_f64 v[4:5], v[4:5], v[28:29], -v[14:15]
	v_mul_f64_e32 v[14:15], v[24:25], v[78:79]
	v_add_f64_e32 v[0:1], v[0:1], v[12:13]
	v_add_f64_e32 v[2:3], v[2:3], v[50:51]
	v_mul_f64_e32 v[12:13], v[40:41], v[74:75]
	v_fmac_f64_e32 v[16:17], v[6:7], v[28:29]
	v_mul_f64_e32 v[6:7], v[34:35], v[82:83]
	v_fma_f64 v[10:11], v[40:41], v[72:73], -v[10:11]
	v_fmac_f64_e32 v[14:15], v[26:27], v[76:77]
	v_add_f64_e32 v[0:1], v[0:1], v[8:9]
	v_add_f64_e32 v[2:3], v[2:3], v[36:37]
	v_mul_f64_e32 v[8:9], v[32:33], v[82:83]
	v_fmac_f64_e32 v[12:13], v[42:43], v[72:73]
	v_fma_f64 v[6:7], v[32:33], v[80:81], -v[6:7]
	v_add_f64_e32 v[0:1], v[0:1], v[4:5]
	v_add_f64_e32 v[2:3], v[2:3], v[16:17]
	v_mul_f64_e32 v[4:5], v[26:27], v[78:79]
	v_fmac_f64_e32 v[8:9], v[34:35], v[80:81]
	s_delay_alu instid0(VALU_DEP_4) | instskip(NEXT) | instid1(VALU_DEP_4)
	v_add_f64_e32 v[0:1], v[0:1], v[10:11]
	v_add_f64_e32 v[2:3], v[2:3], v[12:13]
	v_mul_f64_e32 v[10:11], v[22:23], v[70:71]
	v_mul_f64_e32 v[12:13], v[20:21], v[70:71]
	v_fma_f64 v[4:5], v[24:25], v[76:77], -v[4:5]
	v_add_f64_e32 v[0:1], v[0:1], v[6:7]
	v_add_f64_e32 v[2:3], v[2:3], v[8:9]
	v_mul_f64_e32 v[6:7], v[66:67], v[122:123]
	v_mul_f64_e32 v[8:9], v[64:65], v[122:123]
	v_fma_f64 v[10:11], v[20:21], v[68:69], -v[10:11]
	v_fmac_f64_e32 v[12:13], v[22:23], v[68:69]
	v_add_f64_e32 v[0:1], v[0:1], v[4:5]
	v_add_f64_e32 v[2:3], v[2:3], v[14:15]
	v_mul_f64_e32 v[4:5], v[62:63], v[130:131]
	v_mul_f64_e32 v[14:15], v[60:61], v[130:131]
	v_fma_f64 v[6:7], v[64:65], v[120:121], -v[6:7]
	v_fmac_f64_e32 v[8:9], v[66:67], v[120:121]
	;; [unrolled: 6-line block ×8, first 2 shown]
	v_add_f64_e32 v[0:1], v[0:1], v[10:11]
	v_add_f64_e32 v[2:3], v[2:3], v[12:13]
	v_fma_f64 v[4:5], v[96:97], v[136:137], -v[4:5]
	v_fmac_f64_e32 v[14:15], v[98:99], v[136:137]
	s_delay_alu instid0(VALU_DEP_4) | instskip(NEXT) | instid1(VALU_DEP_4)
	v_add_f64_e32 v[0:1], v[0:1], v[6:7]
	v_add_f64_e32 v[2:3], v[2:3], v[8:9]
	s_delay_alu instid0(VALU_DEP_2) | instskip(NEXT) | instid1(VALU_DEP_2)
	v_add_f64_e32 v[0:1], v[0:1], v[4:5]
	v_add_f64_e32 v[2:3], v[2:3], v[14:15]
	v_add_nc_u64_e32 v[4:5], s[44:45], v[166:167]
	s_cbranch_scc1 .LBB24_118
.LBB24_114:                             ;   Parent Loop BB24_4 Depth=1
                                        ; =>  This Inner Loop Header: Depth=2
	s_and_saveexec_b32 s35, s0
	s_cbranch_execz .LBB24_116
; %bb.115:                              ;   in Loop: Header=BB24_114 Depth=2
	s_mul_u64 s[80:81], s[24:25], s[52:53]
	s_delay_alu instid0(SALU_CYCLE_1)
	v_lshl_add_u64 v[6:7], s[80:81], 4, v[164:165]
	global_load_b128 v[6:9], v[6:7], off
	s_wait_loadcnt 0x0
	ds_store_2addr_b64 v182, v[6:7], v[8:9] offset1:1
.LBB24_116:                             ;   in Loop: Header=BB24_114 Depth=2
	s_wait_xcnt 0x0
	s_or_b32 exec_lo, exec_lo, s35
	s_delay_alu instid0(VALU_DEP_1) | instskip(SKIP_3) | instid1(VALU_DEP_1)
	v_add_nc_u64_e32 v[6:7], s[72:73], v[4:5]
	s_wait_dscnt 0x0
	s_barrier_signal -1
	s_barrier_wait -1
	v_add_nc_u64_e32 v[8:9], s[72:73], v[6:7]
	s_delay_alu instid0(VALU_DEP_1)
	v_add_nc_u64_e32 v[28:29], s[72:73], v[8:9]
	s_clause 0x3
	global_load_b128 v[16:19], v[4:5], off
	global_load_b128 v[12:15], v[6:7], off
	;; [unrolled: 1-line block ×4, first 2 shown]
	ds_load_b128 v[20:23], v168
	ds_load_b128 v[36:39], v183
	s_wait_loadcnt_dscnt 0x301
	v_mul_f64_e32 v[24:25], v[18:19], v[22:23]
	v_mul_f64_e32 v[26:27], v[18:19], v[20:21]
	s_wait_loadcnt 0x2
	v_mul_f64_e32 v[32:33], v[14:15], v[22:23]
	v_mul_f64_e32 v[30:31], v[14:15], v[20:21]
	s_wait_loadcnt 0x1
	v_mul_f64_e32 v[40:41], v[10:11], v[22:23]
	v_mul_f64_e32 v[42:43], v[10:11], v[20:21]
	s_wait_loadcnt 0x0
	v_mul_f64_e32 v[52:53], v[6:7], v[22:23]
	v_mul_f64_e32 v[44:45], v[6:7], v[20:21]
	v_fmac_f64_e32 v[24:25], v[16:17], v[20:21]
	v_fma_f64 v[26:27], v[16:17], v[22:23], -v[26:27]
	v_fmac_f64_e32 v[32:33], v[12:13], v[20:21]
	v_fma_f64 v[34:35], v[12:13], v[22:23], -v[30:31]
	v_fmac_f64_e32 v[40:41], v[8:9], v[20:21]
	v_fma_f64 v[42:43], v[8:9], v[22:23], -v[42:43]
	v_fmac_f64_e32 v[52:53], v[4:5], v[20:21]
	v_fma_f64 v[54:55], v[4:5], v[22:23], -v[44:45]
	v_add_nc_u64_e32 v[20:21], s[44:45], v[28:29]
	ds_load_b128 v[48:51], v183 offset:16
	ds_load_b128 v[44:47], v183 offset:32
	s_wait_xcnt 0x0
	ds_load_b128 v[28:31], v183 offset:48
	ds_store_b128 v184, v[24:27]
	ds_store_b128 v184, v[32:35] offset:1072
	ds_store_b128 v184, v[40:43] offset:2144
	;; [unrolled: 1-line block ×3, first 2 shown]
	v_add_nc_u64_e32 v[22:23], s[72:73], v[20:21]
	s_wait_dscnt 0x0
	s_barrier_signal -1
	s_barrier_wait -1
	ds_load_b128 v[116:119], v185
	ds_load_b128 v[104:107], v185 offset:16
	ds_load_b128 v[92:95], v185 offset:32
	;; [unrolled: 1-line block ×3, first 2 shown]
	s_wait_dscnt 0x0
	v_add_nc_u64_e32 v[56:57], s[72:73], v[22:23]
	s_barrier_signal -1
	s_barrier_wait -1
	s_delay_alu instid0(VALU_DEP_1)
	v_add_nc_u64_e32 v[68:69], s[72:73], v[56:57]
	s_clause 0x3
	global_load_b128 v[40:43], v[20:21], off
	global_load_b128 v[32:35], v[22:23], off
	;; [unrolled: 1-line block ×4, first 2 shown]
	ds_load_b128 v[52:55], v168
	ds_load_b128 v[72:75], v183 offset:256
	s_wait_loadcnt_dscnt 0x301
	v_mul_f64_e32 v[58:59], v[42:43], v[52:53]
	s_wait_xcnt 0x1
	v_mul_f64_e32 v[56:57], v[42:43], v[54:55]
	s_wait_loadcnt 0x2
	v_mul_f64_e32 v[62:63], v[34:35], v[52:53]
	v_mul_f64_e32 v[60:61], v[34:35], v[54:55]
	s_wait_loadcnt 0x1
	v_mul_f64_e32 v[66:67], v[26:27], v[52:53]
	;; [unrolled: 3-line block ×3, first 2 shown]
	v_mul_f64_e32 v[88:89], v[22:23], v[54:55]
	v_fma_f64 v[58:59], v[40:41], v[54:55], -v[58:59]
	v_fmac_f64_e32 v[56:57], v[40:41], v[52:53]
	v_fma_f64 v[62:63], v[32:33], v[54:55], -v[62:63]
	v_fmac_f64_e32 v[60:61], v[32:33], v[52:53]
	;; [unrolled: 2-line block ×4, first 2 shown]
	v_add_nc_u64_e32 v[52:53], s[44:45], v[68:69]
	ds_load_b128 v[80:83], v183 offset:272
	ds_load_b128 v[76:79], v183 offset:288
	s_wait_xcnt 0x0
	ds_load_b128 v[68:71], v183 offset:304
	ds_store_b128 v184, v[56:59]
	ds_store_b128 v184, v[60:63] offset:1072
	ds_store_b128 v184, v[64:67] offset:2144
	;; [unrolled: 1-line block ×3, first 2 shown]
	v_add_nc_u64_e32 v[54:55], s[72:73], v[52:53]
	s_wait_dscnt 0x0
	s_barrier_signal -1
	s_barrier_wait -1
	ds_load_b128 v[194:197], v185
	ds_load_b128 v[198:201], v185 offset:16
	ds_load_b128 v[202:205], v185 offset:32
	;; [unrolled: 1-line block ×3, first 2 shown]
	s_wait_dscnt 0x0
	v_add_nc_u64_e32 v[96:97], s[72:73], v[54:55]
	s_barrier_signal -1
	s_barrier_wait -1
	s_delay_alu instid0(VALU_DEP_1)
	v_add_nc_u64_e32 v[112:113], s[72:73], v[96:97]
	s_clause 0x2
	global_load_b128 v[64:67], v[52:53], off
	global_load_b128 v[60:63], v[54:55], off
	;; [unrolled: 1-line block ×4, first 2 shown]
	ds_load_b128 v[88:91], v168
	ds_load_b128 v[120:123], v183 offset:512
	v_add_f64_e32 v[194:195], 0, v[194:195]
	v_add_f64_e32 v[196:197], 0, v[196:197]
	s_delay_alu instid0(VALU_DEP_2) | instskip(NEXT) | instid1(VALU_DEP_2)
	v_add_f64_e32 v[194:195], v[194:195], v[198:199]
	v_add_f64_e32 v[196:197], v[196:197], v[200:201]
	s_delay_alu instid0(VALU_DEP_2) | instskip(NEXT) | instid1(VALU_DEP_2)
	v_add_f64_e32 v[194:195], v[194:195], v[202:203]
	v_add_f64_e32 v[196:197], v[196:197], v[204:205]
	s_wait_loadcnt_dscnt 0x301
	v_mul_f64_e32 v[98:99], v[66:67], v[88:89]
	s_wait_xcnt 0x1
	v_mul_f64_e32 v[96:97], v[66:67], v[90:91]
	s_wait_loadcnt 0x2
	v_mul_f64_e32 v[102:103], v[62:63], v[88:89]
	v_mul_f64_e32 v[100:101], v[62:63], v[90:91]
	s_wait_loadcnt 0x1
	v_mul_f64_e32 v[110:111], v[58:59], v[88:89]
	;; [unrolled: 3-line block ×3, first 2 shown]
	v_mul_f64_e32 v[132:133], v[54:55], v[90:91]
	v_fma_f64 v[98:99], v[64:65], v[90:91], -v[98:99]
	v_fmac_f64_e32 v[96:97], v[64:65], v[88:89]
	v_fma_f64 v[102:103], v[60:61], v[90:91], -v[102:103]
	v_fmac_f64_e32 v[100:101], v[60:61], v[88:89]
	;; [unrolled: 2-line block ×4, first 2 shown]
	v_add_nc_u64_e32 v[88:89], s[44:45], v[112:113]
	ds_load_b128 v[128:131], v183 offset:528
	ds_load_b128 v[124:127], v183 offset:544
	s_wait_xcnt 0x0
	ds_load_b128 v[112:115], v183 offset:560
	ds_store_b128 v184, v[96:99]
	ds_store_b128 v184, v[100:103] offset:1072
	ds_store_b128 v184, v[108:111] offset:2144
	;; [unrolled: 1-line block ×3, first 2 shown]
	v_add_nc_u64_e32 v[90:91], s[72:73], v[88:89]
	s_wait_dscnt 0x0
	s_barrier_signal -1
	s_barrier_wait -1
	ds_load_b128 v[210:213], v185
	ds_load_b128 v[214:217], v185 offset:16
	ds_load_b128 v[218:221], v185 offset:32
	;; [unrolled: 1-line block ×3, first 2 shown]
	s_wait_dscnt 0x0
	v_add_nc_u64_e32 v[136:137], s[72:73], v[90:91]
	s_barrier_signal -1
	s_barrier_wait -1
	s_delay_alu instid0(VALU_DEP_1)
	v_add_nc_u64_e32 v[166:167], s[72:73], v[136:137]
	global_load_b128 v[108:111], v[88:89], off
	global_load_b128 v[100:103], v[90:91], off
	;; [unrolled: 1-line block ×4, first 2 shown]
	s_wait_xcnt 0x1
	ds_load_b128 v[136:139], v168
	ds_load_b128 v[132:135], v183 offset:768
	v_add_f64_e32 v[210:211], 0, v[210:211]
	v_add_f64_e32 v[212:213], 0, v[212:213]
	s_delay_alu instid0(VALU_DEP_2) | instskip(NEXT) | instid1(VALU_DEP_2)
	v_add_f64_e32 v[198:199], v[210:211], v[214:215]
	v_add_f64_e32 v[200:201], v[212:213], v[216:217]
	s_delay_alu instid0(VALU_DEP_2) | instskip(NEXT) | instid1(VALU_DEP_2)
	v_add_f64_e32 v[198:199], v[198:199], v[218:219]
	v_add_f64_e32 v[200:201], v[200:201], v[220:221]
	s_wait_loadcnt_dscnt 0x301
	v_mul_f64_e32 v[140:141], v[110:111], v[136:137]
	v_mul_f64_e32 v[226:227], v[110:111], v[138:139]
	s_wait_loadcnt 0x2
	v_mul_f64_e32 v[142:143], v[102:103], v[136:137]
	v_mul_f64_e32 v[230:231], v[102:103], v[138:139]
	s_wait_loadcnt 0x1
	;; [unrolled: 3-line block ×3, first 2 shown]
	v_mul_f64_e32 v[146:147], v[98:99], v[136:137]
	v_mul_f64_e32 v[238:239], v[98:99], v[138:139]
	v_fma_f64 v[228:229], v[108:109], v[138:139], -v[140:141]
	v_fmac_f64_e32 v[226:227], v[108:109], v[136:137]
	v_fma_f64 v[232:233], v[100:101], v[138:139], -v[142:143]
	v_fmac_f64_e32 v[230:231], v[100:101], v[136:137]
	;; [unrolled: 2-line block ×4, first 2 shown]
	ds_load_b128 v[144:147], v183 offset:784
	ds_load_b128 v[140:143], v183 offset:800
	;; [unrolled: 1-line block ×3, first 2 shown]
	ds_store_b128 v184, v[226:229]
	ds_store_b128 v184, v[230:233] offset:1072
	ds_store_b128 v184, v[234:237] offset:2144
	;; [unrolled: 1-line block ×3, first 2 shown]
	s_wait_dscnt 0x0
	s_barrier_signal -1
	s_barrier_wait -1
	ds_load_b128 v[226:229], v185
	v_add_f64_e32 v[230:231], 0, v[116:117]
	v_add_f64_e32 v[232:233], 0, v[118:119]
	ds_load_b128 v[116:119], v185 offset:16
	s_wait_dscnt 0x1
	v_add_f64_e32 v[226:227], 0, v[226:227]
	v_add_f64_e32 v[228:229], 0, v[228:229]
	;; [unrolled: 1-line block ×4, first 2 shown]
	ds_load_b128 v[104:107], v185 offset:32
	s_wait_dscnt 0x1
	v_add_f64_e32 v[116:117], v[226:227], v[116:117]
	v_add_f64_e32 v[118:119], v[228:229], v[118:119]
	;; [unrolled: 1-line block ×4, first 2 shown]
	ds_load_b128 v[92:95], v185 offset:48
	s_wait_dscnt 0x0
	s_barrier_signal -1
	s_barrier_wait -1
	v_add_f64_e32 v[202:203], v[116:117], v[104:105]
	v_add_f64_e32 v[204:205], v[118:119], v[106:107]
	;; [unrolled: 1-line block ×10, first 2 shown]
	ds_store_b128 v193, v[84:87]
	ds_store_b128 v193, v[104:107] offset:256
	ds_store_b128 v193, v[116:119] offset:512
	;; [unrolled: 1-line block ×3, first 2 shown]
	s_wait_dscnt 0x0
	s_barrier_signal -1
	s_barrier_wait -1
	s_wait_xcnt 0x0
	s_and_saveexec_b32 s35, s22
	s_cbranch_execz .LBB24_113
; %bb.117:                              ;   in Loop: Header=BB24_114 Depth=2
	ds_load_b128 v[84:87], v186
	ds_load_b128 v[92:95], v186 offset:16
	s_wait_dscnt 0x0
	v_add_f64_e32 v[104:105], v[92:93], v[84:85]
	v_add_f64_e32 v[106:107], v[94:95], v[86:87]
	ds_load_b128 v[84:87], v186 offset:32
	ds_load_b128 v[92:95], v186 offset:48
	s_wait_dscnt 0x1
	v_add_f64_e32 v[84:85], v[104:105], v[84:85]
	v_add_f64_e32 v[86:87], v[106:107], v[86:87]
	s_wait_dscnt 0x0
	s_delay_alu instid0(VALU_DEP_2) | instskip(NEXT) | instid1(VALU_DEP_2)
	v_add_f64_e32 v[104:105], v[84:85], v[92:93]
	v_add_f64_e32 v[106:107], v[86:87], v[94:95]
	ds_load_b128 v[84:87], v186 offset:64
	ds_load_b128 v[92:95], v186 offset:80
	s_wait_dscnt 0x1
	v_add_f64_e32 v[84:85], v[104:105], v[84:85]
	v_add_f64_e32 v[86:87], v[106:107], v[86:87]
	s_wait_dscnt 0x0
	s_delay_alu instid0(VALU_DEP_2) | instskip(NEXT) | instid1(VALU_DEP_2)
	;; [unrolled: 9-line block ×6, first 2 shown]
	v_add_f64_e32 v[104:105], v[84:85], v[92:93]
	v_add_f64_e32 v[106:107], v[86:87], v[94:95]
	ds_load_b128 v[84:87], v186 offset:224
	ds_load_b128 v[92:95], v187
	s_wait_dscnt 0x1
	v_add_f64_e32 v[84:85], v[104:105], v[84:85]
	v_add_f64_e32 v[86:87], v[106:107], v[86:87]
	s_wait_dscnt 0x0
	s_delay_alu instid0(VALU_DEP_2) | instskip(NEXT) | instid1(VALU_DEP_2)
	v_add_f64_e32 v[84:85], v[84:85], v[92:93]
	v_dual_add_f64 v[86:87], v[86:87], v[94:95] :: v_dual_add_nc_u32 v92, s52, v148
	global_store_b128 v92, v[84:87], s[74:75] scale_offset
	s_branch .LBB24_113
.LBB24_118:                             ;   in Loop: Header=BB24_4 Depth=1
	ds_store_b128 v188, v[0:3]
	s_wait_dscnt 0x0
	s_barrier_signal -1
	s_barrier_wait -1
	s_and_saveexec_b32 s23, s79
	s_cbranch_execz .LBB24_2
; %bb.119:                              ;   in Loop: Header=BB24_4 Depth=1
	ds_load_b128 v[0:3], v149 offset:1072
	ds_load_b128 v[4:7], v149
	s_wait_dscnt 0x0
	v_add_f64_e32 v[8:9], v[0:1], v[4:5]
	v_add_f64_e32 v[10:11], v[2:3], v[6:7]
	ds_load_b128 v[0:3], v149 offset:2144
	ds_load_b128 v[4:7], v149 offset:3216
	s_wait_dscnt 0x1
	v_add_f64_e32 v[0:1], v[8:9], v[0:1]
	v_add_f64_e32 v[2:3], v[10:11], v[2:3]
	s_wait_dscnt 0x0
	s_delay_alu instid0(VALU_DEP_2) | instskip(NEXT) | instid1(VALU_DEP_2)
	v_add_f64_e32 v[0:1], v[0:1], v[4:5]
	v_add_f64_e32 v[2:3], v[2:3], v[6:7]
	v_lshl_add_u64 v[4:5], v[154:155], 4, s[74:75]
	global_store_b128 v[4:5], v[0:3], off
	s_branch .LBB24_2
.LBB24_120:                             ;   in Loop: Header=BB24_4 Depth=1
	global_load_b128 v[6:9], v[0:1], off
	s_wait_loadcnt 0x0
	ds_store_2addr_b64 v169, v[6:7], v[8:9] offset1:1
	s_wait_xcnt 0x0
	s_or_b32 exec_lo, exec_lo, s23
	s_and_saveexec_b32 s23, s4
	s_delay_alu instid0(SALU_CYCLE_1)
	s_xor_b32 s23, exec_lo, s23
	s_cbranch_execz .LBB24_20
.LBB24_121:                             ;   in Loop: Header=BB24_4 Depth=1
	v_dual_mov_b32 v6, v151 :: v_dual_mov_b32 v7, v151
	v_dual_mov_b32 v8, v151 :: v_dual_mov_b32 v9, v151
	ds_store_b128 v170, v[6:9]
	s_and_not1_saveexec_b32 s23, s23
	s_cbranch_execz .LBB24_21
.LBB24_122:                             ;   in Loop: Header=BB24_4 Depth=1
	v_add_nc_u64_e32 v[2:3], s[42:43], v[0:1]
	global_load_b128 v[6:9], v[2:3], off
	s_wait_loadcnt 0x0
	ds_store_2addr_b64 v170, v[6:7], v[8:9] offset1:1
	s_wait_xcnt 0x0
	s_or_b32 exec_lo, exec_lo, s23
	s_and_saveexec_b32 s23, s5
	s_delay_alu instid0(SALU_CYCLE_1)
	s_xor_b32 s23, exec_lo, s23
	s_cbranch_execz .LBB24_22
.LBB24_123:                             ;   in Loop: Header=BB24_4 Depth=1
	v_dual_mov_b32 v6, v151 :: v_dual_mov_b32 v7, v151
	v_dual_mov_b32 v8, v151 :: v_dual_mov_b32 v9, v151
	ds_store_b128 v171, v[6:9]
	s_and_not1_saveexec_b32 s23, s23
	s_cbranch_execz .LBB24_23
.LBB24_124:                             ;   in Loop: Header=BB24_4 Depth=1
	v_add_nc_u64_e32 v[2:3], s[48:49], v[0:1]
	global_load_b128 v[6:9], v[2:3], off
	s_wait_loadcnt 0x0
	ds_store_2addr_b64 v171, v[6:7], v[8:9] offset1:1
	s_wait_xcnt 0x0
	s_or_b32 exec_lo, exec_lo, s23
	s_and_saveexec_b32 s23, s6
	s_delay_alu instid0(SALU_CYCLE_1)
	s_xor_b32 s23, exec_lo, s23
	s_cbranch_execz .LBB24_24
.LBB24_125:                             ;   in Loop: Header=BB24_4 Depth=1
	v_dual_mov_b32 v6, v151 :: v_dual_mov_b32 v7, v151
	v_dual_mov_b32 v8, v151 :: v_dual_mov_b32 v9, v151
	ds_store_b128 v172, v[6:9]
	s_and_not1_saveexec_b32 s23, s23
	s_cbranch_execnz .LBB24_25
	s_branch .LBB24_26
.LBB24_126:                             ;   in Loop: Header=BB24_4 Depth=1
	global_load_b128 v[10:13], v[4:5], off
	s_wait_loadcnt 0x0
	ds_store_2addr_b64 v169, v[10:11], v[12:13] offset1:1
	s_wait_xcnt 0x0
	s_or_b32 exec_lo, exec_lo, s23
	s_and_saveexec_b32 s23, s18
	s_delay_alu instid0(SALU_CYCLE_1)
	s_xor_b32 s23, exec_lo, s23
	s_cbranch_execz .LBB24_60
.LBB24_127:                             ;   in Loop: Header=BB24_4 Depth=1
	v_dual_mov_b32 v10, v151 :: v_dual_mov_b32 v11, v151
	v_dual_mov_b32 v12, v151 :: v_dual_mov_b32 v13, v151
	ds_store_b128 v170, v[10:13]
	s_and_not1_saveexec_b32 s23, s23
	s_cbranch_execz .LBB24_61
.LBB24_128:                             ;   in Loop: Header=BB24_4 Depth=1
	v_add_nc_u64_e32 v[6:7], s[42:43], v[4:5]
	global_load_b128 v[10:13], v[6:7], off
	s_wait_loadcnt 0x0
	ds_store_2addr_b64 v170, v[10:11], v[12:13] offset1:1
	s_wait_xcnt 0x0
	s_or_b32 exec_lo, exec_lo, s23
	s_and_saveexec_b32 s23, s19
	s_delay_alu instid0(SALU_CYCLE_1)
	s_xor_b32 s23, exec_lo, s23
	s_cbranch_execz .LBB24_62
.LBB24_129:                             ;   in Loop: Header=BB24_4 Depth=1
	v_dual_mov_b32 v10, v151 :: v_dual_mov_b32 v11, v151
	v_dual_mov_b32 v12, v151 :: v_dual_mov_b32 v13, v151
	ds_store_b128 v171, v[10:13]
	s_and_not1_saveexec_b32 s23, s23
	s_cbranch_execz .LBB24_63
.LBB24_130:                             ;   in Loop: Header=BB24_4 Depth=1
	v_add_nc_u64_e32 v[6:7], s[48:49], v[4:5]
	global_load_b128 v[10:13], v[6:7], off
	s_wait_loadcnt 0x0
	ds_store_2addr_b64 v171, v[10:11], v[12:13] offset1:1
	s_wait_xcnt 0x0
	s_or_b32 exec_lo, exec_lo, s23
	s_and_saveexec_b32 s23, s20
	s_delay_alu instid0(SALU_CYCLE_1)
	s_xor_b32 s23, exec_lo, s23
	s_cbranch_execz .LBB24_64
.LBB24_131:                             ;   in Loop: Header=BB24_4 Depth=1
	v_dual_mov_b32 v10, v151 :: v_dual_mov_b32 v11, v151
	v_dual_mov_b32 v12, v151 :: v_dual_mov_b32 v13, v151
	ds_store_b128 v172, v[10:13]
	s_and_not1_saveexec_b32 s23, s23
	s_cbranch_execnz .LBB24_65
	s_branch .LBB24_66
.LBB24_132:                             ;   in Loop: Header=BB24_4 Depth=1
	global_load_b128 v[6:9], v[4:5], off
	s_wait_loadcnt 0x0
	ds_store_2addr_b64 v169, v[6:7], v[8:9] offset1:1
	s_wait_xcnt 0x0
	s_or_b32 exec_lo, exec_lo, s23
	s_and_saveexec_b32 s23, s4
	s_delay_alu instid0(SALU_CYCLE_1)
	s_xor_b32 s23, exec_lo, s23
	s_cbranch_execz .LBB24_100
.LBB24_133:                             ;   in Loop: Header=BB24_4 Depth=1
	v_dual_mov_b32 v6, v151 :: v_dual_mov_b32 v7, v151
	v_dual_mov_b32 v8, v151 :: v_dual_mov_b32 v9, v151
	ds_store_b128 v170, v[6:9]
	s_and_not1_saveexec_b32 s23, s23
	s_cbranch_execz .LBB24_101
.LBB24_134:                             ;   in Loop: Header=BB24_4 Depth=1
	v_add_nc_u64_e32 v[6:7], s[42:43], v[4:5]
	global_load_b128 v[6:9], v[6:7], off
	s_wait_loadcnt 0x0
	ds_store_2addr_b64 v170, v[6:7], v[8:9] offset1:1
	s_wait_xcnt 0x0
	s_or_b32 exec_lo, exec_lo, s23
	s_and_saveexec_b32 s23, s5
	s_delay_alu instid0(SALU_CYCLE_1)
	s_xor_b32 s23, exec_lo, s23
	s_cbranch_execz .LBB24_102
.LBB24_135:                             ;   in Loop: Header=BB24_4 Depth=1
	v_dual_mov_b32 v6, v151 :: v_dual_mov_b32 v7, v151
	v_dual_mov_b32 v8, v151 :: v_dual_mov_b32 v9, v151
	ds_store_b128 v171, v[6:9]
	s_and_not1_saveexec_b32 s23, s23
	s_cbranch_execz .LBB24_103
.LBB24_136:                             ;   in Loop: Header=BB24_4 Depth=1
	v_add_nc_u64_e32 v[6:7], s[48:49], v[4:5]
	global_load_b128 v[6:9], v[6:7], off
	s_wait_loadcnt 0x0
	ds_store_2addr_b64 v171, v[6:7], v[8:9] offset1:1
	s_wait_xcnt 0x0
	s_or_b32 exec_lo, exec_lo, s23
	s_and_saveexec_b32 s23, s6
	s_delay_alu instid0(SALU_CYCLE_1)
	s_xor_b32 s23, exec_lo, s23
	s_cbranch_execz .LBB24_104
.LBB24_137:                             ;   in Loop: Header=BB24_4 Depth=1
	v_dual_mov_b32 v6, v151 :: v_dual_mov_b32 v7, v151
	v_dual_mov_b32 v8, v151 :: v_dual_mov_b32 v9, v151
	ds_store_b128 v172, v[6:9]
	s_and_not1_saveexec_b32 s23, s23
	s_cbranch_execnz .LBB24_105
	s_branch .LBB24_106
.LBB24_138:
	s_sendmsg sendmsg(MSG_DEALLOC_VGPRS)
	s_endpgm
	.section	.rodata,"a",@progbits
	.p2align	6, 0x0
	.amdhsa_kernel _ZL26rocblas_hemvn_kernel_lowerILb1ELi64ELi4ELi33ELi32ELi16ElPK19rocblas_complex_numIdES3_PS1_EviT6_lT7_lT5_lS6_lS7_lS5_lT8_i
		.amdhsa_group_segment_fixed_size 19200
		.amdhsa_private_segment_fixed_size 0
		.amdhsa_kernarg_size 376
		.amdhsa_user_sgpr_count 2
		.amdhsa_user_sgpr_dispatch_ptr 0
		.amdhsa_user_sgpr_queue_ptr 0
		.amdhsa_user_sgpr_kernarg_segment_ptr 1
		.amdhsa_user_sgpr_dispatch_id 0
		.amdhsa_user_sgpr_kernarg_preload_length 0
		.amdhsa_user_sgpr_kernarg_preload_offset 0
		.amdhsa_user_sgpr_private_segment_size 0
		.amdhsa_wavefront_size32 1
		.amdhsa_uses_dynamic_stack 0
		.amdhsa_enable_private_segment 0
		.amdhsa_system_sgpr_workgroup_id_x 1
		.amdhsa_system_sgpr_workgroup_id_y 0
		.amdhsa_system_sgpr_workgroup_id_z 1
		.amdhsa_system_sgpr_workgroup_info 0
		.amdhsa_system_vgpr_workitem_id 1
		.amdhsa_next_free_vgpr 242
		.amdhsa_next_free_sgpr 82
		.amdhsa_named_barrier_count 0
		.amdhsa_reserve_vcc 1
		.amdhsa_float_round_mode_32 0
		.amdhsa_float_round_mode_16_64 0
		.amdhsa_float_denorm_mode_32 3
		.amdhsa_float_denorm_mode_16_64 3
		.amdhsa_fp16_overflow 0
		.amdhsa_memory_ordered 1
		.amdhsa_forward_progress 1
		.amdhsa_inst_pref_size 67
		.amdhsa_round_robin_scheduling 0
		.amdhsa_exception_fp_ieee_invalid_op 0
		.amdhsa_exception_fp_denorm_src 0
		.amdhsa_exception_fp_ieee_div_zero 0
		.amdhsa_exception_fp_ieee_overflow 0
		.amdhsa_exception_fp_ieee_underflow 0
		.amdhsa_exception_fp_ieee_inexact 0
		.amdhsa_exception_int_div_zero 0
	.end_amdhsa_kernel
	.section	.text._ZL26rocblas_hemvn_kernel_lowerILb1ELi64ELi4ELi33ELi32ELi16ElPK19rocblas_complex_numIdES3_PS1_EviT6_lT7_lT5_lS6_lS7_lS5_lT8_i,"axG",@progbits,_ZL26rocblas_hemvn_kernel_lowerILb1ELi64ELi4ELi33ELi32ELi16ElPK19rocblas_complex_numIdES3_PS1_EviT6_lT7_lT5_lS6_lS7_lS5_lT8_i,comdat
.Lfunc_end24:
	.size	_ZL26rocblas_hemvn_kernel_lowerILb1ELi64ELi4ELi33ELi32ELi16ElPK19rocblas_complex_numIdES3_PS1_EviT6_lT7_lT5_lS6_lS7_lS5_lT8_i, .Lfunc_end24-_ZL26rocblas_hemvn_kernel_lowerILb1ELi64ELi4ELi33ELi32ELi16ElPK19rocblas_complex_numIdES3_PS1_EviT6_lT7_lT5_lS6_lS7_lS5_lT8_i
                                        ; -- End function
	.set _ZL26rocblas_hemvn_kernel_lowerILb1ELi64ELi4ELi33ELi32ELi16ElPK19rocblas_complex_numIdES3_PS1_EviT6_lT7_lT5_lS6_lS7_lS5_lT8_i.num_vgpr, 242
	.set _ZL26rocblas_hemvn_kernel_lowerILb1ELi64ELi4ELi33ELi32ELi16ElPK19rocblas_complex_numIdES3_PS1_EviT6_lT7_lT5_lS6_lS7_lS5_lT8_i.num_agpr, 0
	.set _ZL26rocblas_hemvn_kernel_lowerILb1ELi64ELi4ELi33ELi32ELi16ElPK19rocblas_complex_numIdES3_PS1_EviT6_lT7_lT5_lS6_lS7_lS5_lT8_i.numbered_sgpr, 82
	.set _ZL26rocblas_hemvn_kernel_lowerILb1ELi64ELi4ELi33ELi32ELi16ElPK19rocblas_complex_numIdES3_PS1_EviT6_lT7_lT5_lS6_lS7_lS5_lT8_i.num_named_barrier, 0
	.set _ZL26rocblas_hemvn_kernel_lowerILb1ELi64ELi4ELi33ELi32ELi16ElPK19rocblas_complex_numIdES3_PS1_EviT6_lT7_lT5_lS6_lS7_lS5_lT8_i.private_seg_size, 0
	.set _ZL26rocblas_hemvn_kernel_lowerILb1ELi64ELi4ELi33ELi32ELi16ElPK19rocblas_complex_numIdES3_PS1_EviT6_lT7_lT5_lS6_lS7_lS5_lT8_i.uses_vcc, 1
	.set _ZL26rocblas_hemvn_kernel_lowerILb1ELi64ELi4ELi33ELi32ELi16ElPK19rocblas_complex_numIdES3_PS1_EviT6_lT7_lT5_lS6_lS7_lS5_lT8_i.uses_flat_scratch, 0
	.set _ZL26rocblas_hemvn_kernel_lowerILb1ELi64ELi4ELi33ELi32ELi16ElPK19rocblas_complex_numIdES3_PS1_EviT6_lT7_lT5_lS6_lS7_lS5_lT8_i.has_dyn_sized_stack, 0
	.set _ZL26rocblas_hemvn_kernel_lowerILb1ELi64ELi4ELi33ELi32ELi16ElPK19rocblas_complex_numIdES3_PS1_EviT6_lT7_lT5_lS6_lS7_lS5_lT8_i.has_recursion, 0
	.set _ZL26rocblas_hemvn_kernel_lowerILb1ELi64ELi4ELi33ELi32ELi16ElPK19rocblas_complex_numIdES3_PS1_EviT6_lT7_lT5_lS6_lS7_lS5_lT8_i.has_indirect_call, 0
	.section	.AMDGPU.csdata,"",@progbits
; Kernel info:
; codeLenInByte = 8504
; TotalNumSgprs: 84
; NumVgprs: 242
; ScratchSize: 0
; MemoryBound: 0
; FloatMode: 240
; IeeeMode: 1
; LDSByteSize: 19200 bytes/workgroup (compile time only)
; SGPRBlocks: 0
; VGPRBlocks: 15
; NumSGPRsForWavesPerEU: 84
; NumVGPRsForWavesPerEU: 242
; NamedBarCnt: 0
; Occupancy: 4
; WaveLimiterHint : 0
; COMPUTE_PGM_RSRC2:SCRATCH_EN: 0
; COMPUTE_PGM_RSRC2:USER_SGPR: 2
; COMPUTE_PGM_RSRC2:TRAP_HANDLER: 0
; COMPUTE_PGM_RSRC2:TGID_X_EN: 1
; COMPUTE_PGM_RSRC2:TGID_Y_EN: 0
; COMPUTE_PGM_RSRC2:TGID_Z_EN: 1
; COMPUTE_PGM_RSRC2:TIDIG_COMP_CNT: 1
	.section	.text._ZL36rocblas_hemvn_kernel_lower_block_sumILi64ElPK19rocblas_complex_numIdEPS1_S1_EviT1_lS5_lT2_lT0_lPT3_i,"axG",@progbits,_ZL36rocblas_hemvn_kernel_lower_block_sumILi64ElPK19rocblas_complex_numIdEPS1_S1_EviT1_lS5_lT2_lT0_lPT3_i,comdat
	.globl	_ZL36rocblas_hemvn_kernel_lower_block_sumILi64ElPK19rocblas_complex_numIdEPS1_S1_EviT1_lS5_lT2_lT0_lPT3_i ; -- Begin function _ZL36rocblas_hemvn_kernel_lower_block_sumILi64ElPK19rocblas_complex_numIdEPS1_S1_EviT1_lS5_lT2_lT0_lPT3_i
	.p2align	8
	.type	_ZL36rocblas_hemvn_kernel_lower_block_sumILi64ElPK19rocblas_complex_numIdEPS1_S1_EviT1_lS5_lT2_lT0_lPT3_i,@function
_ZL36rocblas_hemvn_kernel_lower_block_sumILi64ElPK19rocblas_complex_numIdEPS1_S1_EviT1_lS5_lT2_lT0_lPT3_i: ; @_ZL36rocblas_hemvn_kernel_lower_block_sumILi64ElPK19rocblas_complex_numIdEPS1_S1_EviT1_lS5_lT2_lT0_lPT3_i
; %bb.0:
	s_load_b32 s3, s[0:1], 0x50
	s_bfe_u32 s2, ttmp6, 0x40014
	s_lshr_b32 s4, ttmp7, 16
	s_add_co_i32 s2, s2, 1
	s_bfe_u32 s6, ttmp6, 0x40008
	s_mul_i32 s5, s4, s2
	s_getreg_b32 s2, hwreg(HW_REG_IB_STS2, 6, 4)
	s_add_co_i32 s6, s6, s5
	s_cmp_eq_u32 s2, 0
	s_mov_b32 s25, 0
	s_cselect_b32 s24, s4, s6
	s_wait_kmcnt 0x0
	s_cmp_ge_u32 s24, s3
	s_cbranch_scc1 .LBB25_26
; %bb.1:
	s_clause 0x1
	s_load_b256 s[4:11], s[0:1], 0x30
	s_load_b32 s20, s[0:1], 0x0
	s_bfe_u32 s12, ttmp6, 0x4000c
	s_and_b32 s13, ttmp6, 15
	s_add_co_i32 s12, s12, 1
	s_delay_alu instid0(SALU_CYCLE_1) | instskip(NEXT) | instid1(SALU_CYCLE_1)
	s_mul_i32 s12, ttmp9, s12
	s_add_co_i32 s13, s13, s12
	s_wait_kmcnt 0x0
	s_lshl_b64 s[4:5], s[4:5], 4
	s_cmp_eq_u32 s2, 0
	s_cselect_b32 s33, ttmp9, s13
	s_ashr_i32 s21, s20, 31
	v_lshl_or_b32 v0, s33, 6, v0
	s_lshl_b64 s[26:27], s[20:21], 4
	s_delay_alu instid0(VALU_DEP_1) | instskip(SKIP_2) | instid1(VALU_DEP_3)
	v_mad_u32 v2, s20, s33, v0
	v_ashrrev_i32_e32 v1, 31, v0
	v_cmp_gt_i32_e64 s2, s20, v0
	v_ashrrev_i32_e32 v3, 31, v2
	s_delay_alu instid0(VALU_DEP_3)
	v_mul_u64_e32 v[4:5], s[6:7], v[0:1]
	s_clause 0x1
	s_load_b64 s[6:7], s[0:1], 0x28
	s_load_b256 s[12:19], s[0:1], 0x8
	s_wait_xcnt 0x0
	s_add_nc_u64 s[0:1], s[0:1], 0x58
	v_lshl_add_u64 v[2:3], v[2:3], 4, s[10:11]
	s_delay_alu instid0(VALU_DEP_1)
	v_add_nc_u64_e32 v[6:7], 8, v[2:3]
	s_wait_kmcnt 0x0
	s_add_nc_u64 s[10:11], s[6:7], s[4:5]
	s_branch .LBB25_4
.LBB25_2:                               ;   in Loop: Header=BB25_4 Depth=1
	s_wait_xcnt 0x0
	s_or_b32 exec_lo, exec_lo, s4
.LBB25_3:                               ;   in Loop: Header=BB25_4 Depth=1
	s_add_co_i32 s24, s24, 0x10000
	s_delay_alu instid0(SALU_CYCLE_1)
	s_cmp_lt_u32 s24, s3
	s_cbranch_scc0 .LBB25_26
.LBB25_4:                               ; =>This Loop Header: Depth=1
                                        ;     Child Loop BB25_17 Depth 2
	s_mul_u64 s[4:5], s[14:15], s[24:25]
	s_delay_alu instid0(SALU_CYCLE_1) | instskip(NEXT) | instid1(SALU_CYCLE_1)
	s_lshl_b64 s[4:5], s[4:5], 4
	s_add_nc_u64 s[4:5], s[12:13], s[4:5]
	s_load_b128 s[20:23], s[4:5], 0x0
	s_wait_xcnt 0x0
	s_mul_u64 s[4:5], s[18:19], s[24:25]
	s_delay_alu instid0(SALU_CYCLE_1) | instskip(NEXT) | instid1(SALU_CYCLE_1)
	s_lshl_b64 s[4:5], s[4:5], 4
	s_add_nc_u64 s[28:29], s[16:17], s[4:5]
	s_load_b128 s[4:7], s[28:29], 0x0
	s_wait_xcnt 0x0
	s_mov_b32 s29, -1
	s_wait_kmcnt 0x0
	v_cmp_neq_f64_e64 s30, s[20:21], 0
	v_cmp_neq_f64_e64 s31, s[22:23], 0
	s_or_b32 s28, s30, s31
	s_delay_alu instid0(SALU_CYCLE_1)
	s_and_b32 vcc_lo, exec_lo, s28
	s_cbranch_vccz .LBB25_6
; %bb.5:                                ;   in Loop: Header=BB25_4 Depth=1
	s_and_not1_b32 vcc_lo, exec_lo, s29
	s_cbranch_vccnz .LBB25_3
	s_branch .LBB25_7
.LBB25_6:                               ;   in Loop: Header=BB25_4 Depth=1
	v_cmp_neq_f64_e64 s29, s[4:5], 1.0
	v_cmp_neq_f64_e64 s30, s[6:7], 0
	s_or_b32 s29, s29, s30
	s_delay_alu instid0(SALU_CYCLE_1)
	s_and_not1_b32 vcc_lo, exec_lo, s29
	s_cbranch_vccnz .LBB25_3
.LBB25_7:                               ;   in Loop: Header=BB25_4 Depth=1
	s_xor_b32 s30, s28, -1
	s_mul_u64 s[28:29], s[8:9], s[24:25]
	s_and_not1_b32 vcc_lo, exec_lo, s30
	s_lshl_b64 s[28:29], s[28:29], 4
	s_delay_alu instid0(SALU_CYCLE_1)
	s_add_nc_u64 s[28:29], s[10:11], s[28:29]
	s_cbranch_vccnz .LBB25_12
; %bb.8:                                ;   in Loop: Header=BB25_4 Depth=1
	s_mov_b32 s30, 0
	s_mov_b32 s34, 0
                                        ; implicit-def: $vgpr2_vgpr3
	s_and_saveexec_b32 s31, s2
	s_cbranch_execz .LBB25_13
; %bb.9:                                ;   in Loop: Header=BB25_4 Depth=1
	v_cmp_neq_f64_e64 s34, s[4:5], 0
	v_cmp_neq_f64_e64 s35, s[6:7], 0
	v_mov_b64_e32 v[2:3], 0
	v_mov_b64_e32 v[0:1], 0
	s_or_b32 s34, s34, s35
	s_delay_alu instid0(SALU_CYCLE_1)
	s_and_not1_b32 vcc_lo, exec_lo, s34
	s_cbranch_vccnz .LBB25_11
; %bb.10:                               ;   in Loop: Header=BB25_4 Depth=1
	v_lshl_add_u64 v[0:1], v[4:5], 4, s[28:29]
	global_load_b128 v[8:11], v[0:1], off
	s_wait_loadcnt 0x0
	s_wait_xcnt 0x0
	v_mul_f64_e32 v[0:1], s[6:7], v[10:11]
	v_mul_f64_e32 v[2:3], s[4:5], v[10:11]
	s_delay_alu instid0(VALU_DEP_2) | instskip(NEXT) | instid1(VALU_DEP_2)
	v_fma_f64 v[0:1], s[4:5], v[8:9], -v[0:1]
	v_fmac_f64_e32 v[2:3], s[6:7], v[8:9]
.LBB25_11:                              ;   in Loop: Header=BB25_4 Depth=1
	s_mov_b32 s34, exec_lo
	s_or_b32 exec_lo, exec_lo, s31
	s_delay_alu instid0(SALU_CYCLE_1)
	s_and_b32 vcc_lo, exec_lo, s30
	s_cbranch_vccnz .LBB25_14
	s_branch .LBB25_24
.LBB25_12:                              ;   in Loop: Header=BB25_4 Depth=1
	s_mov_b32 s34, 0
                                        ; implicit-def: $vgpr2_vgpr3
	s_cbranch_execnz .LBB25_14
	s_branch .LBB25_24
.LBB25_13:                              ;   in Loop: Header=BB25_4 Depth=1
	s_or_b32 exec_lo, exec_lo, s31
	s_delay_alu instid0(SALU_CYCLE_1)
	s_and_b32 vcc_lo, exec_lo, s30
	s_cbranch_vccz .LBB25_24
.LBB25_14:                              ;   in Loop: Header=BB25_4 Depth=1
                                        ; implicit-def: $vgpr2_vgpr3
	s_and_saveexec_b32 s35, s2
	s_cbranch_execz .LBB25_23
; %bb.15:                               ;   in Loop: Header=BB25_4 Depth=1
	s_load_b32 s30, s[0:1], 0x0
	v_mov_b64_e32 v[0:1], 0
	v_mov_b64_e32 v[8:9], 0
	s_wait_kmcnt 0x0
	s_cmp_ge_i32 s33, s30
	s_cbranch_scc1 .LBB25_18
; %bb.16:                               ;   in Loop: Header=BB25_4 Depth=1
	s_mov_b32 s31, s25
	v_mov_b64_e32 v[0:1], 0
	s_mul_u64 s[36:37], s[26:27], s[30:31]
	v_mov_b64_e32 v[8:9], 0
	v_mad_nc_u64_u32 v[2:3], s36, s24, v[6:7]
	s_mov_b32 s31, s33
	s_delay_alu instid0(VALU_DEP_1)
	v_mad_u32 v3, s37, s24, v3
.LBB25_17:                              ;   Parent Loop BB25_4 Depth=1
                                        ; =>  This Inner Loop Header: Depth=2
	global_load_b128 v[10:13], v[2:3], off offset:-8
	s_wait_xcnt 0x0
	v_add_nc_u64_e32 v[2:3], s[26:27], v[2:3]
	s_add_co_i32 s31, s31, 1
	s_delay_alu instid0(SALU_CYCLE_1)
	s_cmp_ge_i32 s31, s30
	s_wait_loadcnt 0x0
	v_add_f64_e32 v[8:9], v[8:9], v[10:11]
	v_add_f64_e32 v[0:1], v[0:1], v[12:13]
	s_cbranch_scc0 .LBB25_17
.LBB25_18:                              ;   in Loop: Header=BB25_4 Depth=1
	s_delay_alu instid0(VALU_DEP_1) | instskip(SKIP_3) | instid1(VALU_DEP_4)
	v_mul_f64_e32 v[10:11], s[22:23], v[0:1]
	v_mul_f64_e32 v[2:3], s[20:21], v[0:1]
	v_cmp_neq_f64_e64 s30, s[4:5], 0
	v_cmp_neq_f64_e64 s31, s[6:7], 0
	v_fma_f64 v[0:1], s[20:21], v[8:9], -v[10:11]
	s_delay_alu instid0(VALU_DEP_4) | instskip(SKIP_1) | instid1(SALU_CYCLE_1)
	v_fmac_f64_e32 v[2:3], s[22:23], v[8:9]
	s_or_b32 s20, s30, s31
	s_and_not1_b32 vcc_lo, exec_lo, s20
	s_mov_b32 s20, -1
	s_cbranch_vccz .LBB25_20
; %bb.19:                               ;   in Loop: Header=BB25_4 Depth=1
	s_mov_b32 s20, 0
.LBB25_20:                              ;   in Loop: Header=BB25_4 Depth=1
	s_delay_alu instid0(SALU_CYCLE_1)
	s_and_not1_b32 vcc_lo, exec_lo, s20
	s_cbranch_vccnz .LBB25_22
; %bb.21:                               ;   in Loop: Header=BB25_4 Depth=1
	v_lshl_add_u64 v[8:9], v[4:5], 4, s[28:29]
	global_load_b128 v[8:11], v[8:9], off
	s_wait_loadcnt 0x0
	v_mul_f64_e32 v[12:13], s[6:7], v[10:11]
	v_mul_f64_e32 v[10:11], s[4:5], v[10:11]
	s_delay_alu instid0(VALU_DEP_2) | instskip(NEXT) | instid1(VALU_DEP_2)
	v_fma_f64 v[12:13], s[4:5], v[8:9], -v[12:13]
	v_fmac_f64_e32 v[10:11], s[6:7], v[8:9]
	s_delay_alu instid0(VALU_DEP_2) | instskip(NEXT) | instid1(VALU_DEP_2)
	v_add_f64_e32 v[0:1], v[0:1], v[12:13]
	v_add_f64_e32 v[2:3], v[2:3], v[10:11]
.LBB25_22:                              ;   in Loop: Header=BB25_4 Depth=1
	s_or_b32 s34, s34, exec_lo
.LBB25_23:                              ;   in Loop: Header=BB25_4 Depth=1
	s_wait_xcnt 0x0
	s_or_b32 exec_lo, exec_lo, s35
.LBB25_24:                              ;   in Loop: Header=BB25_4 Depth=1
	s_and_saveexec_b32 s4, s34
	s_cbranch_execz .LBB25_2
; %bb.25:                               ;   in Loop: Header=BB25_4 Depth=1
	v_lshl_add_u64 v[8:9], v[4:5], 4, s[28:29]
	global_store_b128 v[8:9], v[0:3], off
	s_branch .LBB25_2
.LBB25_26:
	s_endpgm
	.section	.rodata,"a",@progbits
	.p2align	6, 0x0
	.amdhsa_kernel _ZL36rocblas_hemvn_kernel_lower_block_sumILi64ElPK19rocblas_complex_numIdEPS1_S1_EviT1_lS5_lT2_lT0_lPT3_i
		.amdhsa_group_segment_fixed_size 0
		.amdhsa_private_segment_fixed_size 0
		.amdhsa_kernarg_size 344
		.amdhsa_user_sgpr_count 2
		.amdhsa_user_sgpr_dispatch_ptr 0
		.amdhsa_user_sgpr_queue_ptr 0
		.amdhsa_user_sgpr_kernarg_segment_ptr 1
		.amdhsa_user_sgpr_dispatch_id 0
		.amdhsa_user_sgpr_kernarg_preload_length 0
		.amdhsa_user_sgpr_kernarg_preload_offset 0
		.amdhsa_user_sgpr_private_segment_size 0
		.amdhsa_wavefront_size32 1
		.amdhsa_uses_dynamic_stack 0
		.amdhsa_enable_private_segment 0
		.amdhsa_system_sgpr_workgroup_id_x 1
		.amdhsa_system_sgpr_workgroup_id_y 0
		.amdhsa_system_sgpr_workgroup_id_z 1
		.amdhsa_system_sgpr_workgroup_info 0
		.amdhsa_system_vgpr_workitem_id 0
		.amdhsa_next_free_vgpr 14
		.amdhsa_next_free_sgpr 38
		.amdhsa_named_barrier_count 0
		.amdhsa_reserve_vcc 1
		.amdhsa_float_round_mode_32 0
		.amdhsa_float_round_mode_16_64 0
		.amdhsa_float_denorm_mode_32 3
		.amdhsa_float_denorm_mode_16_64 3
		.amdhsa_fp16_overflow 0
		.amdhsa_memory_ordered 1
		.amdhsa_forward_progress 1
		.amdhsa_inst_pref_size 8
		.amdhsa_round_robin_scheduling 0
		.amdhsa_exception_fp_ieee_invalid_op 0
		.amdhsa_exception_fp_denorm_src 0
		.amdhsa_exception_fp_ieee_div_zero 0
		.amdhsa_exception_fp_ieee_overflow 0
		.amdhsa_exception_fp_ieee_underflow 0
		.amdhsa_exception_fp_ieee_inexact 0
		.amdhsa_exception_int_div_zero 0
	.end_amdhsa_kernel
	.section	.text._ZL36rocblas_hemvn_kernel_lower_block_sumILi64ElPK19rocblas_complex_numIdEPS1_S1_EviT1_lS5_lT2_lT0_lPT3_i,"axG",@progbits,_ZL36rocblas_hemvn_kernel_lower_block_sumILi64ElPK19rocblas_complex_numIdEPS1_S1_EviT1_lS5_lT2_lT0_lPT3_i,comdat
.Lfunc_end25:
	.size	_ZL36rocblas_hemvn_kernel_lower_block_sumILi64ElPK19rocblas_complex_numIdEPS1_S1_EviT1_lS5_lT2_lT0_lPT3_i, .Lfunc_end25-_ZL36rocblas_hemvn_kernel_lower_block_sumILi64ElPK19rocblas_complex_numIdEPS1_S1_EviT1_lS5_lT2_lT0_lPT3_i
                                        ; -- End function
	.set _ZL36rocblas_hemvn_kernel_lower_block_sumILi64ElPK19rocblas_complex_numIdEPS1_S1_EviT1_lS5_lT2_lT0_lPT3_i.num_vgpr, 14
	.set _ZL36rocblas_hemvn_kernel_lower_block_sumILi64ElPK19rocblas_complex_numIdEPS1_S1_EviT1_lS5_lT2_lT0_lPT3_i.num_agpr, 0
	.set _ZL36rocblas_hemvn_kernel_lower_block_sumILi64ElPK19rocblas_complex_numIdEPS1_S1_EviT1_lS5_lT2_lT0_lPT3_i.numbered_sgpr, 38
	.set _ZL36rocblas_hemvn_kernel_lower_block_sumILi64ElPK19rocblas_complex_numIdEPS1_S1_EviT1_lS5_lT2_lT0_lPT3_i.num_named_barrier, 0
	.set _ZL36rocblas_hemvn_kernel_lower_block_sumILi64ElPK19rocblas_complex_numIdEPS1_S1_EviT1_lS5_lT2_lT0_lPT3_i.private_seg_size, 0
	.set _ZL36rocblas_hemvn_kernel_lower_block_sumILi64ElPK19rocblas_complex_numIdEPS1_S1_EviT1_lS5_lT2_lT0_lPT3_i.uses_vcc, 1
	.set _ZL36rocblas_hemvn_kernel_lower_block_sumILi64ElPK19rocblas_complex_numIdEPS1_S1_EviT1_lS5_lT2_lT0_lPT3_i.uses_flat_scratch, 0
	.set _ZL36rocblas_hemvn_kernel_lower_block_sumILi64ElPK19rocblas_complex_numIdEPS1_S1_EviT1_lS5_lT2_lT0_lPT3_i.has_dyn_sized_stack, 0
	.set _ZL36rocblas_hemvn_kernel_lower_block_sumILi64ElPK19rocblas_complex_numIdEPS1_S1_EviT1_lS5_lT2_lT0_lPT3_i.has_recursion, 0
	.set _ZL36rocblas_hemvn_kernel_lower_block_sumILi64ElPK19rocblas_complex_numIdEPS1_S1_EviT1_lS5_lT2_lT0_lPT3_i.has_indirect_call, 0
	.section	.AMDGPU.csdata,"",@progbits
; Kernel info:
; codeLenInByte = 908
; TotalNumSgprs: 40
; NumVgprs: 14
; ScratchSize: 0
; MemoryBound: 0
; FloatMode: 240
; IeeeMode: 1
; LDSByteSize: 0 bytes/workgroup (compile time only)
; SGPRBlocks: 0
; VGPRBlocks: 0
; NumSGPRsForWavesPerEU: 40
; NumVGPRsForWavesPerEU: 14
; NamedBarCnt: 0
; Occupancy: 16
; WaveLimiterHint : 0
; COMPUTE_PGM_RSRC2:SCRATCH_EN: 0
; COMPUTE_PGM_RSRC2:USER_SGPR: 2
; COMPUTE_PGM_RSRC2:TRAP_HANDLER: 0
; COMPUTE_PGM_RSRC2:TGID_X_EN: 1
; COMPUTE_PGM_RSRC2:TGID_Y_EN: 0
; COMPUTE_PGM_RSRC2:TGID_Z_EN: 1
; COMPUTE_PGM_RSRC2:TIDIG_COMP_CNT: 0
	.section	.text._ZL26rocblas_hemvn_kernel_lowerILb1ELi64ELi4ELi33ELi32ELi16EiPK19rocblas_complex_numIdES3_PS1_EviT6_lT7_lT5_lS6_lS7_lS5_lT8_i,"axG",@progbits,_ZL26rocblas_hemvn_kernel_lowerILb1ELi64ELi4ELi33ELi32ELi16EiPK19rocblas_complex_numIdES3_PS1_EviT6_lT7_lT5_lS6_lS7_lS5_lT8_i,comdat
	.globl	_ZL26rocblas_hemvn_kernel_lowerILb1ELi64ELi4ELi33ELi32ELi16EiPK19rocblas_complex_numIdES3_PS1_EviT6_lT7_lT5_lS6_lS7_lS5_lT8_i ; -- Begin function _ZL26rocblas_hemvn_kernel_lowerILb1ELi64ELi4ELi33ELi32ELi16EiPK19rocblas_complex_numIdES3_PS1_EviT6_lT7_lT5_lS6_lS7_lS5_lT8_i
	.p2align	8
	.type	_ZL26rocblas_hemvn_kernel_lowerILb1ELi64ELi4ELi33ELi32ELi16EiPK19rocblas_complex_numIdES3_PS1_EviT6_lT7_lT5_lS6_lS7_lS5_lT8_i,@function
_ZL26rocblas_hemvn_kernel_lowerILb1ELi64ELi4ELi33ELi32ELi16EiPK19rocblas_complex_numIdES3_PS1_EviT6_lT7_lT5_lS6_lS7_lS5_lT8_i: ; @_ZL26rocblas_hemvn_kernel_lowerILb1ELi64ELi4ELi33ELi32ELi16EiPK19rocblas_complex_numIdES3_PS1_EviT6_lT7_lT5_lS6_lS7_lS5_lT8_i
; %bb.0:
	s_clause 0x1
	s_load_b64 s[2:3], s[0:1], 0x84
	s_load_b32 s33, s[0:1], 0x70
	s_bfe_u32 s4, ttmp6, 0x40014
	s_lshr_b32 s5, ttmp7, 16
	s_add_co_i32 s4, s4, 1
	s_bfe_u32 s6, ttmp6, 0x40008
	s_mul_i32 s7, s5, s4
	s_getreg_b32 s4, hwreg(HW_REG_IB_STS2, 6, 4)
	s_add_co_i32 s6, s6, s7
	s_mov_b32 s35, 0
	s_wait_kmcnt 0x0
	s_lshr_b32 s7, s2, 16
	s_and_b32 s2, s2, 0xffff
	s_and_b32 s3, s3, 0xffff
	s_mul_i32 s2, s7, s2
	s_cmp_eq_u32 s4, 0
	s_mul_i32 s2, s2, s3
	s_cselect_b32 s34, s5, s6
	s_cmp_lg_u32 s2, 0x100
	s_cselect_b32 s2, -1, 0
	s_cmp_ge_u32 s34, s33
	s_cselect_b32 s3, -1, 0
	s_delay_alu instid0(SALU_CYCLE_1) | instskip(NEXT) | instid1(SALU_CYCLE_1)
	s_or_b32 s2, s2, s3
	s_and_b32 vcc_lo, exec_lo, s2
	s_cbranch_vccnz .LBB26_138
; %bb.1:
	s_clause 0x5
	s_load_b32 s2, s[0:1], 0x0
	s_load_b32 s70, s[0:1], 0x28
	s_load_b256 s[24:31], s[0:1], 0x8
	s_load_b128 s[44:47], s[0:1], 0x30
	s_load_b96 s[20:22], s[0:1], 0x40
	s_load_b256 s[36:43], s[0:1], 0x50
	s_add_nc_u64 s[6:7], s[0:1], 0x78
	s_wait_xcnt 0x0
	s_bfe_u32 s1, ttmp6, 0x4000c
	v_bfe_u32 v1, v0, 10, 10
	s_add_co_i32 s1, s1, 1
	s_load_b32 s6, s[6:7], 0x0
	s_and_b32 s0, ttmp6, 15
	s_mul_i32 s1, ttmp9, s1
	v_and_b32_e32 v148, 0x3ff, v0
	s_add_co_i32 s1, s0, s1
	v_dual_lshlrev_b32 v6, 6, v1 :: v_dual_bitop2_b32 v150, 31, v0 bitop3:0x40
	s_wait_xcnt 0x0
	s_mov_b32 s7, s35
	v_mov_b32_e32 v151, 0
	v_cmp_eq_u32_e64 s0, 0, v1
	v_add_nc_u32_e32 v185, 0x4300, v6
	v_lshlrev_b32_e32 v9, 4, v150
	v_mul_u32_u24_e32 v16, 33, v150
	s_wait_kmcnt 0x0
	s_ashr_i32 s3, s2, 31
	s_ashr_i32 s71, s70, 31
	s_cmp_eq_u32 s4, 0
	v_lshl_or_b32 v12, v150, 9, v9
	s_cselect_b32 s76, ttmp9, s1
	s_lshr_b32 s1, s3, 26
	s_lshl_b32 s56, s76, 6
	s_delay_alu instid0(SALU_CYCLE_1) | instskip(SKIP_3) | instid1(VALU_DEP_1)
	v_dual_add_nc_u32 v7, v6, v148 :: v_dual_add_nc_u32 v152, s56, v148
	s_add_co_i32 s1, s2, s1
	s_add_co_i32 s10, s6, -1
	s_and_not1_b32 s1, s1, 63
	v_dual_lshrrev_b32 v8, 5, v7 :: v_dual_lshlrev_b32 v170, 4, v148
	v_mul_lo_u32 v2, s22, v152
	s_lshl_b64 s[4:5], s[20:21], 4
	s_lshl_b64 s[8:9], s[30:31], 4
	s_delay_alu instid0(VALU_DEP_2)
	v_mad_u32 v4, s70, v8, v150
	s_sub_co_i32 s1, s2, s1
	s_cmp_eq_u32 s76, s10
	s_add_nc_u64 s[4:5], s[46:47], s[4:5]
	s_cselect_b32 s30, s1, 0
	s_add_nc_u64 s[8:9], s[28:29], s[8:9]
	s_cmp_eq_u32 s30, 0
	s_mul_u64 s[28:29], s[6:7], s[2:3]
	v_ashrrev_i32_e32 v3, 31, v2
	s_cselect_b32 s77, -1, 0
	s_cmp_lg_u32 s30, 0
	v_ashrrev_i32_e32 v5, 31, v4
	s_cselect_b32 s1, -1, 0
	s_ashr_i32 s57, s56, 31
	v_lshl_add_u64 v[154:155], v[2:3], 4, s[4:5]
	s_mul_i32 s4, s2, s76
	s_lshl_b64 s[2:3], s[56:57], 4
	v_dual_add_nc_u32 v10, 24, v8 :: v_dual_lshlrev_b32 v11, 2, v8
	v_lshlrev_b32_e32 v13, 6, v8
	s_add_nc_u64 s[2:3], s[8:9], s[2:3]
	s_mul_i32 s58, s70, s56
	v_lshl_add_u64 v[2:3], v[4:5], 4, s[2:3]
	s_delay_alu instid0(VALU_DEP_2)
	v_dual_add_nc_u32 v177, v12, v13 :: v_dual_bitop2_b32 v14, 1, v11 bitop3:0x54
	v_or_b32_e32 v12, 2, v11
	s_ashr_i32 s59, s58, 31
	s_ashr_i32 s5, s4, 31
	v_lshl_add_u64 v[156:157], s[58:59], 4, v[2:3]
	v_dual_add_nc_u32 v2, 8, v8 :: v_dual_add_nc_u32 v3, 16, v8
	v_cmp_ge_u32_e64 s11, v12, v150
	v_cmp_eq_u32_e64 s12, v12, v150
	v_dual_add_nc_u32 v179, 32, v177 :: v_dual_lshlrev_b32 v12, 4, v8
	v_dual_lshlrev_b32 v180, 4, v16 :: v_dual_add_nc_u32 v181, 48, v177
	s_lshl_b64 s[4:5], s[4:5], 4
	s_sub_co_i32 s20, s30, 32
	s_add_nc_u64 s[42:43], s[42:43], s[4:5]
	v_cmp_le_i32_e64 s4, s30, v2
	v_cmp_le_i32_e64 s18, s20, v2
	v_mul_lo_u32 v2, v1, s70
	v_cmp_ge_u32_e64 s7, v11, v150
	v_cmp_eq_u32_e64 s8, v11, v150
	v_dual_add_nc_u32 v178, 16, v177 :: v_dual_bitop2_b32 v11, 3, v11 bitop3:0x54
	v_add_nc_u32_e32 v183, v180, v12
	v_mad_u32_u24 v172, 0x210, v8, v9
	v_cmp_le_i32_e64 s3, s30, v8
	v_cmp_le_i32_e64 s5, s30, v3
	v_mul_u32_u24_e32 v15, 0x840, v8
	v_cmp_ge_u32_e64 s13, v11, v150
	v_cmp_eq_u32_e64 s14, v11, v150
	v_or_b32_e32 v11, 32, v150
	v_cmp_le_i32_e64 s17, s20, v8
	v_cmp_le_i32_e64 s19, s20, v3
	v_cmp_eq_u32_e64 s21, 1, v8
	v_mul_i32_i24_e32 v3, 0xffffffd0, v8
	v_mad_u32_u24 v184, v8, 48, v183
	v_lshrrev_b32_e32 v8, 4, v7
	v_cmp_le_i32_e32 vcc_lo, s30, v148
	v_cmp_ge_u32_e64 s9, v14, v150
	v_cmp_eq_u32_e64 s10, v14, v150
	v_mul_u32_u24_e32 v14, 0x210, v14
	v_add_nc_u32_e32 v182, 0x4700, v13
	v_lshl_add_u32 v160, v2, 2, v148
	v_and_b32_e32 v2, 15, v0
	v_sub_nc_u64_e32 v[162:163], 0, v[4:5]
	v_dual_add_nc_u32 v193, v9, v14 :: v_dual_bitop2_b32 v0, 48, v0 bitop3:0x40
	v_dual_lshlrev_b32 v4, 6, v8 :: v_dual_add_nc_u32 v194, v182, v3
	v_dual_mov_b32 v149, v151 :: v_dual_add_nc_u32 v174, 0x2100, v172
	s_and_b32 s1, s1, vcc_lo
	s_lshl_b32 s46, s70, 3
	s_lshl_b32 s48, s70, 4
	s_mul_i32 s50, s70, 24
	s_lshl_b32 s52, s70, 5
	s_mul_i32 s56, s22, s56
	v_lshlrev_b32_e32 v0, 4, v0
	v_or_b32_e32 v5, 0xf0, v170
	v_mad_u32_u24 v187, 0x430, v2, v4
	v_mul_i32_i24_e32 v4, 0xffffffd0, v8
	s_ashr_i32 s47, s46, 31
	s_ashr_i32 s49, s48, 31
	;; [unrolled: 1-line block ×5, first 2 shown]
	s_xor_b32 s23, s1, -1
	s_ashr_i32 s57, s56, 31
	v_sub_nc_u64_e32 v[158:159], 0, v[150:151]
	s_cmp_gt_i32 s76, 0
	v_sub_nc_u64_e32 v[164:165], 0, v[148:149]
	v_add_nc_u32_e32 v171, 0x4700, v170
	v_add_nc_u32_e32 v173, 0x1080, v172
	;; [unrolled: 1-line block ×3, first 2 shown]
	v_cmp_gt_i32_e64 s2, s30, v150
	v_cmp_le_i32_e64 s6, s30, v10
	v_mad_u32_u24 v176, 0x210, v150, v9
	v_cmp_gt_u32_e64 s15, 32, v7
	v_cmp_gt_i32_e64 s16, s30, v11
	v_cmp_le_i32_e64 s20, s20, v10
	s_cselect_b32 s78, -1, 0
	v_dual_ashrrev_i32 v161, 31, v160 :: v_dual_add_nc_u32 v192, v9, v15
	s_lshl_b32 s79, s22, 6
	v_add_nc_u32_e32 v149, 0x4300, v170
	v_mad_u32_u24 v186, 0x10c0, v1, v170
	v_cmp_gt_u32_e64 s22, 64, v7
	v_mad_u32_u24 v189, 0x430, v2, v5
	v_mad_u32_u24 v190, 0x430, v1, v170
	v_ashrrev_i32_e32 v153, 31, v152
	v_add_nc_u32_e32 v191, 0x4700, v12
	v_dual_add_nc_u32 v195, v187, v4 :: v_dual_lshlrev_b32 v150, 4, v150
	v_mad_u32_u24 v188, 0x430, v2, v0
	s_sub_nc_u64 s[54:55], 0, s[52:53]
	s_sub_nc_u64 s[56:57], 0, s[56:57]
	;; [unrolled: 1-line block ×3, first 2 shown]
	s_and_b32 s80, s0, s23
	s_lshl_b64 s[60:61], s[70:71], 7
	s_mov_b64 s[62:63], 0xfffffffffffffdf0
	s_mov_b64 s[64:65], 0xfffffffffffffe00
	s_sub_nc_u64 s[66:67], 0, s[30:31]
	s_lshl_b64 s[68:69], s[70:71], 4
	s_mul_u64 s[70:71], s[70:71], 0xd0
	s_branch .LBB26_4
.LBB26_2:                               ;   in Loop: Header=BB26_4 Depth=1
	s_wait_xcnt 0x0
	s_or_b32 exec_lo, exec_lo, s23
.LBB26_3:                               ;   in Loop: Header=BB26_4 Depth=1
	s_add_co_i32 s34, s34, 0x10000
	s_delay_alu instid0(SALU_CYCLE_1)
	s_cmp_lt_u32 s34, s33
	s_cbranch_scc0 .LBB26_138
.LBB26_4:                               ; =>This Loop Header: Depth=1
                                        ;     Child Loop BB26_114 Depth 2
	s_mul_u64 s[72:73], s[26:27], s[34:35]
	s_delay_alu instid0(SALU_CYCLE_1) | instskip(NEXT) | instid1(SALU_CYCLE_1)
	s_lshl_b64 s[72:73], s[72:73], 4
	s_add_nc_u64 s[72:73], s[24:25], s[72:73]
	global_load_b128 v[0:3], v151, s[72:73]
	s_wait_loadcnt 0x0
	v_cmp_neq_f64_e32 vcc_lo, 0, v[0:1]
	v_cmp_neq_f64_e64 s23, 0, v[2:3]
	s_wait_xcnt 0x0
	s_or_b32 s72, vcc_lo, s23
	s_mov_b32 s23, -1
	s_and_b32 vcc_lo, exec_lo, s72
	s_cbranch_vccnz .LBB26_6
; %bb.5:                                ;   in Loop: Header=BB26_4 Depth=1
	s_mul_u64 s[74:75], s[40:41], s[34:35]
	s_delay_alu instid0(SALU_CYCLE_1) | instskip(NEXT) | instid1(SALU_CYCLE_1)
	s_lshl_b64 s[74:75], s[74:75], 4
	s_add_nc_u64 s[74:75], s[38:39], s[74:75]
	global_load_b128 v[0:3], v151, s[74:75]
	s_wait_loadcnt 0x0
	v_cmp_neq_f64_e32 vcc_lo, 1.0, v[0:1]
	v_cmp_neq_f64_e64 s23, 0, v[2:3]
	s_or_b32 s23, vcc_lo, s23
.LBB26_6:                               ;   in Loop: Header=BB26_4 Depth=1
	s_delay_alu instid0(SALU_CYCLE_1)
	s_and_not1_b32 vcc_lo, exec_lo, s23
	s_cbranch_vccnz .LBB26_3
; %bb.7:                                ;   in Loop: Header=BB26_4 Depth=1
	s_and_not1_b32 vcc_lo, exec_lo, s72
	s_cbranch_vccnz .LBB26_3
; %bb.8:                                ;   in Loop: Header=BB26_4 Depth=1
	s_mul_u64 s[72:73], s[36:37], s[34:35]
	s_delay_alu instid0(SALU_CYCLE_1)
	v_lshl_add_u64 v[36:37], s[72:73], 4, v[154:155]
	s_wait_xcnt 0x0
	s_and_saveexec_b32 s23, s0
	s_cbranch_execz .LBB26_13
; %bb.9:                                ;   in Loop: Header=BB26_4 Depth=1
	s_and_saveexec_b32 s72, s1
	s_delay_alu instid0(SALU_CYCLE_1)
	s_xor_b32 s72, exec_lo, s72
; %bb.10:                               ;   in Loop: Header=BB26_4 Depth=1
	v_dual_mov_b32 v0, v151 :: v_dual_mov_b32 v1, v151
	v_dual_mov_b32 v2, v151 :: v_dual_mov_b32 v3, v151
	ds_store_b128 v171, v[0:3]
; %bb.11:                               ;   in Loop: Header=BB26_4 Depth=1
	s_and_not1_saveexec_b32 s72, s72
	s_cbranch_execz .LBB26_13
; %bb.12:                               ;   in Loop: Header=BB26_4 Depth=1
	global_load_b128 v[0:3], v[36:37], off
	s_wait_loadcnt 0x0
	ds_store_2addr_b64 v171, v[0:1], v[2:3] offset1:1
.LBB26_13:                              ;   in Loop: Header=BB26_4 Depth=1
	s_wait_xcnt 0x0
	s_or_b32 exec_lo, exec_lo, s23
	s_mul_u64 s[72:73], s[44:45], s[34:35]
	s_and_not1_b32 vcc_lo, exec_lo, s77
	v_lshl_add_u64 v[4:5], s[72:73], 4, v[156:157]
	s_mov_b32 s23, -1
	s_cbranch_vccnz .LBB26_15
; %bb.14:                               ;   in Loop: Header=BB26_4 Depth=1
	global_load_b128 v[0:3], v[4:5], off
	v_lshl_add_u64 v[6:7], s[46:47], 4, v[4:5]
	s_mov_b32 s23, 0
	s_wait_loadcnt 0x0
	ds_store_2addr_b64 v172, v[0:1], v[2:3] offset1:1
	global_load_b128 v[0:3], v[6:7], off
	s_wait_xcnt 0x0
	v_add_nc_u64_e32 v[6:7], s[60:61], v[6:7]
	s_wait_loadcnt 0x0
	ds_store_2addr_b64 v173, v[0:1], v[2:3] offset1:1
	global_load_b128 v[0:3], v[6:7], off
	s_wait_loadcnt 0x0
	ds_store_2addr_b64 v174, v[0:1], v[2:3] offset1:1
	v_add_nc_u64_e32 v[0:1], s[60:61], v[6:7]
	global_load_b128 v[0:3], v[0:1], off
	s_wait_loadcnt 0x0
	ds_store_2addr_b64 v175, v[0:1], v[2:3] offset1:1
.LBB26_15:                              ;   in Loop: Header=BB26_4 Depth=1
	s_and_not1_b32 vcc_lo, exec_lo, s23
	s_cbranch_vccnz .LBB26_27
; %bb.16:                               ;   in Loop: Header=BB26_4 Depth=1
	s_wait_xcnt 0x0
	s_and_saveexec_b32 s23, s3
	s_delay_alu instid0(SALU_CYCLE_1)
	s_xor_b32 s23, exec_lo, s23
; %bb.17:                               ;   in Loop: Header=BB26_4 Depth=1
	v_dual_mov_b32 v0, v151 :: v_dual_mov_b32 v1, v151
	v_dual_mov_b32 v2, v151 :: v_dual_mov_b32 v3, v151
	ds_store_b128 v172, v[0:3]
; %bb.18:                               ;   in Loop: Header=BB26_4 Depth=1
	s_or_saveexec_b32 s23, s23
	v_lshl_add_u64 v[0:1], v[158:159], 4, v[4:5]
	s_delay_alu instid0(VALU_DEP_1) | instskip(NEXT) | instid1(VALU_DEP_1)
	v_lshl_add_u64 v[0:1], s[30:31], 4, v[0:1]
	v_add_nc_u64_e32 v[0:1], -16, v[0:1]
	s_delay_alu instid0(VALU_DEP_1)
	v_dual_cndmask_b32 v1, v1, v5, s2 :: v_dual_cndmask_b32 v0, v0, v4, s2
	s_xor_b32 exec_lo, exec_lo, s23
	s_cbranch_execnz .LBB26_120
; %bb.19:                               ;   in Loop: Header=BB26_4 Depth=1
	s_or_b32 exec_lo, exec_lo, s23
	s_and_saveexec_b32 s23, s4
	s_delay_alu instid0(SALU_CYCLE_1)
	s_xor_b32 s23, exec_lo, s23
	s_cbranch_execnz .LBB26_121
.LBB26_20:                              ;   in Loop: Header=BB26_4 Depth=1
	s_and_not1_saveexec_b32 s23, s23
	s_cbranch_execnz .LBB26_122
.LBB26_21:                              ;   in Loop: Header=BB26_4 Depth=1
	s_or_b32 exec_lo, exec_lo, s23
	s_and_saveexec_b32 s23, s5
	s_delay_alu instid0(SALU_CYCLE_1)
	s_xor_b32 s23, exec_lo, s23
	s_cbranch_execnz .LBB26_123
.LBB26_22:                              ;   in Loop: Header=BB26_4 Depth=1
	s_and_not1_saveexec_b32 s23, s23
	s_cbranch_execnz .LBB26_124
.LBB26_23:                              ;   in Loop: Header=BB26_4 Depth=1
	s_or_b32 exec_lo, exec_lo, s23
	s_and_saveexec_b32 s23, s6
	s_delay_alu instid0(SALU_CYCLE_1)
	s_xor_b32 s23, exec_lo, s23
	s_cbranch_execnz .LBB26_125
.LBB26_24:                              ;   in Loop: Header=BB26_4 Depth=1
	s_and_not1_saveexec_b32 s23, s23
	s_cbranch_execz .LBB26_26
.LBB26_25:                              ;   in Loop: Header=BB26_4 Depth=1
	v_lshl_add_u64 v[2:3], s[50:51], 4, v[0:1]
	global_load_b128 v[6:9], v[2:3], off
	s_wait_loadcnt 0x0
	ds_store_2addr_b64 v175, v[6:7], v[8:9] offset1:1
.LBB26_26:                              ;   in Loop: Header=BB26_4 Depth=1
	s_wait_xcnt 0x0
	s_or_b32 exec_lo, exec_lo, s23
	v_add_nc_u64_e32 v[0:1], v[0:1], v[150:151]
	s_delay_alu instid0(VALU_DEP_1) | instskip(NEXT) | instid1(VALU_DEP_1)
	v_lshl_add_u64 v[0:1], s[66:67], 4, v[0:1]
	v_add_nc_u64_e32 v[0:1], 16, v[0:1]
	s_delay_alu instid0(VALU_DEP_1)
	v_dual_cndmask_b32 v5, v1, v5, s2 :: v_dual_cndmask_b32 v4, v0, v4, s2
.LBB26_27:                              ;   in Loop: Header=BB26_4 Depth=1
	s_mov_b32 s23, 0
	s_wait_dscnt 0x0
	s_barrier_signal -1
	s_barrier_wait -1
	s_wait_xcnt 0x0
	s_and_saveexec_b32 s72, s7
	s_delay_alu instid0(SALU_CYCLE_1)
	s_xor_b32 s72, exec_lo, s72
; %bb.28:                               ;   in Loop: Header=BB26_4 Depth=1
	s_and_b32 s23, s8, exec_lo
; %bb.29:                               ;   in Loop: Header=BB26_4 Depth=1
	s_or_saveexec_b32 s72, s72
	v_mov_b64_e32 v[2:3], 0
	v_mov_b32_e32 v6, v176
	s_xor_b32 exec_lo, exec_lo, s72
	s_cbranch_execz .LBB26_31
; %bb.30:                               ;   in Loop: Header=BB26_4 Depth=1
	ds_load_b128 v[0:3], v192
	v_mov_b32_e32 v6, v177
	s_or_b32 s23, s23, exec_lo
	s_wait_dscnt 0x0
	v_xor_b32_e32 v3, 0x80000000, v3
	ds_store_b64 v177, v[0:1]
.LBB26_31:                              ;   in Loop: Header=BB26_4 Depth=1
	s_or_b32 exec_lo, exec_lo, s72
	s_and_saveexec_b32 s72, s23
; %bb.32:                               ;   in Loop: Header=BB26_4 Depth=1
	ds_store_b64 v6, v[2:3] offset:8
; %bb.33:                               ;   in Loop: Header=BB26_4 Depth=1
	s_or_b32 exec_lo, exec_lo, s72
	s_mov_b32 s23, 0
	s_and_saveexec_b32 s72, s9
	s_delay_alu instid0(SALU_CYCLE_1)
	s_xor_b32 s72, exec_lo, s72
; %bb.34:                               ;   in Loop: Header=BB26_4 Depth=1
	s_and_b32 s23, s10, exec_lo
; %bb.35:                               ;   in Loop: Header=BB26_4 Depth=1
	s_or_saveexec_b32 s72, s72
	v_mov_b64_e32 v[2:3], 0
	v_mov_b32_e32 v6, v176
	s_xor_b32 exec_lo, exec_lo, s72
	s_cbranch_execz .LBB26_37
; %bb.36:                               ;   in Loop: Header=BB26_4 Depth=1
	ds_load_b128 v[0:3], v193
	v_mov_b32_e32 v6, v178
	s_or_b32 s23, s23, exec_lo
	s_wait_dscnt 0x0
	v_xor_b32_e32 v3, 0x80000000, v3
	ds_store_b64 v178, v[0:1]
.LBB26_37:                              ;   in Loop: Header=BB26_4 Depth=1
	s_or_b32 exec_lo, exec_lo, s72
	s_and_saveexec_b32 s72, s23
; %bb.38:                               ;   in Loop: Header=BB26_4 Depth=1
	ds_store_b64 v6, v[2:3] offset:8
; %bb.39:                               ;   in Loop: Header=BB26_4 Depth=1
	s_or_b32 exec_lo, exec_lo, s72
	s_mov_b32 s23, 0
	s_and_saveexec_b32 s72, s11
	s_delay_alu instid0(SALU_CYCLE_1)
	s_xor_b32 s72, exec_lo, s72
; %bb.40:                               ;   in Loop: Header=BB26_4 Depth=1
	s_and_b32 s23, s12, exec_lo
; %bb.41:                               ;   in Loop: Header=BB26_4 Depth=1
	s_or_saveexec_b32 s72, s72
	v_mov_b64_e32 v[2:3], 0
	v_mov_b32_e32 v6, v176
	s_xor_b32 exec_lo, exec_lo, s72
	s_cbranch_execz .LBB26_43
; %bb.42:                               ;   in Loop: Header=BB26_4 Depth=1
	ds_load_b128 v[0:3], v193 offset:528
	v_mov_b32_e32 v6, v179
	s_or_b32 s23, s23, exec_lo
	s_wait_dscnt 0x0
	v_xor_b32_e32 v3, 0x80000000, v3
	ds_store_b64 v179, v[0:1]
.LBB26_43:                              ;   in Loop: Header=BB26_4 Depth=1
	s_or_b32 exec_lo, exec_lo, s72
	s_and_saveexec_b32 s72, s23
; %bb.44:                               ;   in Loop: Header=BB26_4 Depth=1
	ds_store_b64 v6, v[2:3] offset:8
; %bb.45:                               ;   in Loop: Header=BB26_4 Depth=1
	s_or_b32 exec_lo, exec_lo, s72
	s_mov_b32 s23, 0
	s_and_saveexec_b32 s72, s13
	s_delay_alu instid0(SALU_CYCLE_1)
	s_xor_b32 s72, exec_lo, s72
; %bb.46:                               ;   in Loop: Header=BB26_4 Depth=1
	s_and_b32 s23, s14, exec_lo
; %bb.47:                               ;   in Loop: Header=BB26_4 Depth=1
	s_or_saveexec_b32 s72, s72
	v_mov_b64_e32 v[2:3], 0
	v_mov_b32_e32 v6, v176
	s_xor_b32 exec_lo, exec_lo, s72
	s_cbranch_execz .LBB26_49
; %bb.48:                               ;   in Loop: Header=BB26_4 Depth=1
	ds_load_b128 v[0:3], v193 offset:1056
	v_mov_b32_e32 v6, v181
	s_or_b32 s23, s23, exec_lo
	s_wait_dscnt 0x0
	v_xor_b32_e32 v3, 0x80000000, v3
	ds_store_b64 v181, v[0:1]
.LBB26_49:                              ;   in Loop: Header=BB26_4 Depth=1
	s_or_b32 exec_lo, exec_lo, s72
	s_and_saveexec_b32 s72, s23
; %bb.50:                               ;   in Loop: Header=BB26_4 Depth=1
	ds_store_b64 v6, v[2:3] offset:8
; %bb.51:                               ;   in Loop: Header=BB26_4 Depth=1
	s_or_b32 exec_lo, exec_lo, s72
	s_wait_dscnt 0x0
	s_barrier_signal -1
	s_barrier_wait -1
	ds_load_b128 v[0:3], v182
	ds_load_b128 v[6:9], v182 offset:16
	ds_load_b128 v[10:13], v182 offset:32
	;; [unrolled: 1-line block ×3, first 2 shown]
	ds_load_b128 v[18:21], v192
	s_wait_dscnt 0x0
	v_mul_f64_e32 v[22:23], v[2:3], v[20:21]
	v_mul_f64_e32 v[20:21], v[0:1], v[20:21]
	s_delay_alu instid0(VALU_DEP_2) | instskip(NEXT) | instid1(VALU_DEP_2)
	v_fma_f64 v[22:23], v[0:1], v[18:19], -v[22:23]
	v_fmac_f64_e32 v[20:21], v[2:3], v[18:19]
	v_mov_b64_e32 v[0:1], 0
	s_delay_alu instid0(VALU_DEP_3) | instskip(NEXT) | instid1(VALU_DEP_3)
	v_add_f64_e32 v[2:3], 0, v[22:23]
	v_add_f64_e32 v[22:23], 0, v[20:21]
	ds_load_b128 v[18:21], v193
	s_wait_dscnt 0x0
	v_mul_f64_e32 v[24:25], v[8:9], v[20:21]
	s_delay_alu instid0(VALU_DEP_1) | instskip(SKIP_1) | instid1(VALU_DEP_2)
	v_fma_f64 v[24:25], v[6:7], v[18:19], -v[24:25]
	v_mul_f64_e32 v[6:7], v[6:7], v[20:21]
	v_add_f64_e32 v[2:3], v[2:3], v[24:25]
	s_delay_alu instid0(VALU_DEP_2) | instskip(NEXT) | instid1(VALU_DEP_1)
	v_fmac_f64_e32 v[6:7], v[8:9], v[18:19]
	v_add_f64_e32 v[18:19], v[22:23], v[6:7]
	ds_load_b128 v[6:9], v193 offset:528
	s_wait_dscnt 0x0
	v_mul_f64_e32 v[20:21], v[12:13], v[8:9]
	v_mul_f64_e32 v[8:9], v[10:11], v[8:9]
	s_delay_alu instid0(VALU_DEP_2) | instskip(NEXT) | instid1(VALU_DEP_2)
	v_fma_f64 v[20:21], v[10:11], v[6:7], -v[20:21]
	v_fmac_f64_e32 v[8:9], v[12:13], v[6:7]
	s_delay_alu instid0(VALU_DEP_2) | instskip(NEXT) | instid1(VALU_DEP_2)
	v_add_f64_e32 v[2:3], v[2:3], v[20:21]
	v_add_f64_e32 v[10:11], v[18:19], v[8:9]
	ds_load_b128 v[6:9], v193 offset:1056
	s_wait_dscnt 0x0
	s_barrier_signal -1
	s_barrier_wait -1
	v_mul_f64_e32 v[12:13], v[16:17], v[8:9]
	v_mul_f64_e32 v[8:9], v[14:15], v[8:9]
	s_delay_alu instid0(VALU_DEP_2) | instskip(NEXT) | instid1(VALU_DEP_2)
	v_fma_f64 v[12:13], v[14:15], v[6:7], -v[12:13]
	v_fmac_f64_e32 v[8:9], v[16:17], v[6:7]
	s_delay_alu instid0(VALU_DEP_2) | instskip(NEXT) | instid1(VALU_DEP_2)
	v_add_f64_e32 v[6:7], v[2:3], v[12:13]
	v_add_f64_e32 v[8:9], v[10:11], v[8:9]
	v_mov_b64_e32 v[2:3], 0
	ds_store_b128 v183, v[6:9]
	s_wait_dscnt 0x0
	s_barrier_signal -1
	s_barrier_wait -1
	s_and_saveexec_b32 s23, s15
	s_cbranch_execz .LBB26_53
; %bb.52:                               ;   in Loop: Header=BB26_4 Depth=1
	ds_load_b128 v[0:3], v180
	ds_load_b128 v[6:9], v180 offset:16
	s_wait_dscnt 0x0
	v_add_f64_e32 v[10:11], v[6:7], v[0:1]
	v_add_f64_e32 v[12:13], v[8:9], v[2:3]
	ds_load_b128 v[0:3], v180 offset:32
	ds_load_b128 v[6:9], v180 offset:48
	s_wait_dscnt 0x1
	v_add_f64_e32 v[0:1], v[10:11], v[0:1]
	v_add_f64_e32 v[2:3], v[12:13], v[2:3]
	s_wait_dscnt 0x0
	s_delay_alu instid0(VALU_DEP_2) | instskip(NEXT) | instid1(VALU_DEP_2)
	v_add_f64_e32 v[10:11], v[0:1], v[6:7]
	v_add_f64_e32 v[12:13], v[2:3], v[8:9]
	ds_load_b128 v[0:3], v180 offset:64
	ds_load_b128 v[6:9], v180 offset:80
	s_wait_dscnt 0x1
	v_add_f64_e32 v[0:1], v[10:11], v[0:1]
	v_add_f64_e32 v[2:3], v[12:13], v[2:3]
	s_wait_dscnt 0x0
	s_delay_alu instid0(VALU_DEP_2) | instskip(NEXT) | instid1(VALU_DEP_2)
	;; [unrolled: 9-line block ×3, first 2 shown]
	v_add_f64_e32 v[0:1], v[0:1], v[6:7]
	v_add_f64_e32 v[2:3], v[2:3], v[8:9]
.LBB26_53:                              ;   in Loop: Header=BB26_4 Depth=1
	s_or_b32 exec_lo, exec_lo, s23
	v_lshl_add_u64 v[4:5], s[52:53], 4, v[4:5]
	s_and_not1_b32 vcc_lo, exec_lo, s77
	s_mov_b32 s23, -1
	s_barrier_signal -1
	s_delay_alu instid0(VALU_DEP_1)
	v_add_nc_u64_e32 v[8:9], 0x200, v[4:5]
	s_barrier_wait -1
	s_cbranch_vccnz .LBB26_55
; %bb.54:                               ;   in Loop: Header=BB26_4 Depth=1
	v_lshl_add_u64 v[6:7], s[46:47], 4, v[4:5]
	s_mov_b32 s23, 0
	s_delay_alu instid0(VALU_DEP_1) | instskip(NEXT) | instid1(VALU_DEP_1)
	v_add_nc_u64_e32 v[18:19], s[60:61], v[6:7]
	v_add_nc_u64_e32 v[22:23], s[60:61], v[18:19]
	s_clause 0x3
	global_load_b128 v[10:13], v[8:9], off
	global_load_b128 v[14:17], v[6:7], off offset:512
	global_load_b128 v[18:21], v[18:19], off offset:512
	;; [unrolled: 1-line block ×3, first 2 shown]
	s_wait_loadcnt 0x3
	ds_store_2addr_b64 v172, v[10:11], v[12:13] offset1:1
	s_wait_loadcnt 0x2
	ds_store_2addr_b64 v173, v[14:15], v[16:17] offset1:1
	;; [unrolled: 2-line block ×4, first 2 shown]
.LBB26_55:                              ;   in Loop: Header=BB26_4 Depth=1
	s_and_not1_b32 vcc_lo, exec_lo, s23
	s_cbranch_vccnz .LBB26_67
; %bb.56:                               ;   in Loop: Header=BB26_4 Depth=1
	s_wait_xcnt 0x0
	s_and_saveexec_b32 s23, s17
	s_delay_alu instid0(SALU_CYCLE_1)
	s_xor_b32 s23, exec_lo, s23
; %bb.57:                               ;   in Loop: Header=BB26_4 Depth=1
	v_dual_mov_b32 v10, v151 :: v_dual_mov_b32 v11, v151
	v_dual_mov_b32 v12, v151 :: v_dual_mov_b32 v13, v151
	ds_store_b128 v172, v[10:13]
; %bb.58:                               ;   in Loop: Header=BB26_4 Depth=1
	s_or_saveexec_b32 s23, s23
	v_lshl_add_u64 v[4:5], v[158:159], 4, v[4:5]
	s_delay_alu instid0(VALU_DEP_1) | instskip(NEXT) | instid1(VALU_DEP_1)
	v_lshl_add_u64 v[4:5], s[30:31], 4, v[4:5]
	v_add_nc_u64_e32 v[4:5], -16, v[4:5]
	s_delay_alu instid0(VALU_DEP_1)
	v_dual_cndmask_b32 v5, v5, v9, s16 :: v_dual_cndmask_b32 v4, v4, v8, s16
	s_xor_b32 exec_lo, exec_lo, s23
	s_cbranch_execnz .LBB26_126
; %bb.59:                               ;   in Loop: Header=BB26_4 Depth=1
	s_or_b32 exec_lo, exec_lo, s23
	s_and_saveexec_b32 s23, s18
	s_delay_alu instid0(SALU_CYCLE_1)
	s_xor_b32 s23, exec_lo, s23
	s_cbranch_execnz .LBB26_127
.LBB26_60:                              ;   in Loop: Header=BB26_4 Depth=1
	s_and_not1_saveexec_b32 s23, s23
	s_cbranch_execnz .LBB26_128
.LBB26_61:                              ;   in Loop: Header=BB26_4 Depth=1
	s_or_b32 exec_lo, exec_lo, s23
	s_and_saveexec_b32 s23, s19
	s_delay_alu instid0(SALU_CYCLE_1)
	s_xor_b32 s23, exec_lo, s23
	s_cbranch_execnz .LBB26_129
.LBB26_62:                              ;   in Loop: Header=BB26_4 Depth=1
	s_and_not1_saveexec_b32 s23, s23
	s_cbranch_execnz .LBB26_130
.LBB26_63:                              ;   in Loop: Header=BB26_4 Depth=1
	s_or_b32 exec_lo, exec_lo, s23
	s_and_saveexec_b32 s23, s20
	s_delay_alu instid0(SALU_CYCLE_1)
	s_xor_b32 s23, exec_lo, s23
	s_cbranch_execnz .LBB26_131
.LBB26_64:                              ;   in Loop: Header=BB26_4 Depth=1
	s_and_not1_saveexec_b32 s23, s23
	s_cbranch_execz .LBB26_66
.LBB26_65:                              ;   in Loop: Header=BB26_4 Depth=1
	v_lshl_add_u64 v[6:7], s[50:51], 4, v[4:5]
	global_load_b128 v[10:13], v[6:7], off
	s_wait_loadcnt 0x0
	ds_store_2addr_b64 v175, v[10:11], v[12:13] offset1:1
.LBB26_66:                              ;   in Loop: Header=BB26_4 Depth=1
	s_wait_xcnt 0x0
	s_or_b32 exec_lo, exec_lo, s23
	v_add_nc_u64_e32 v[4:5], v[4:5], v[150:151]
	s_delay_alu instid0(VALU_DEP_1) | instskip(NEXT) | instid1(VALU_DEP_1)
	v_lshl_add_u64 v[4:5], s[66:67], 4, v[4:5]
	v_add_nc_u64_e32 v[4:5], 0x210, v[4:5]
	s_delay_alu instid0(VALU_DEP_1)
	v_dual_cndmask_b32 v9, v5, v9, s16 :: v_dual_cndmask_b32 v8, v4, v8, s16
.LBB26_67:                              ;   in Loop: Header=BB26_4 Depth=1
	s_mov_b32 s23, 0
	s_wait_dscnt 0x0
	s_barrier_signal -1
	s_barrier_wait -1
	s_wait_xcnt 0x0
	s_and_saveexec_b32 s72, s7
	s_delay_alu instid0(SALU_CYCLE_1)
	s_xor_b32 s72, exec_lo, s72
; %bb.68:                               ;   in Loop: Header=BB26_4 Depth=1
	s_and_b32 s23, s8, exec_lo
; %bb.69:                               ;   in Loop: Header=BB26_4 Depth=1
	s_or_saveexec_b32 s72, s72
	v_mov_b64_e32 v[6:7], 0
	v_mov_b32_e32 v10, v176
	s_xor_b32 exec_lo, exec_lo, s72
	s_cbranch_execz .LBB26_71
; %bb.70:                               ;   in Loop: Header=BB26_4 Depth=1
	ds_load_b128 v[4:7], v192
	v_mov_b32_e32 v10, v177
	s_or_b32 s23, s23, exec_lo
	s_wait_dscnt 0x0
	v_xor_b32_e32 v7, 0x80000000, v7
	ds_store_b64 v177, v[4:5]
.LBB26_71:                              ;   in Loop: Header=BB26_4 Depth=1
	s_or_b32 exec_lo, exec_lo, s72
	s_and_saveexec_b32 s72, s23
; %bb.72:                               ;   in Loop: Header=BB26_4 Depth=1
	ds_store_b64 v10, v[6:7] offset:8
; %bb.73:                               ;   in Loop: Header=BB26_4 Depth=1
	s_or_b32 exec_lo, exec_lo, s72
	s_mov_b32 s23, 0
	s_and_saveexec_b32 s72, s9
	s_delay_alu instid0(SALU_CYCLE_1)
	s_xor_b32 s72, exec_lo, s72
; %bb.74:                               ;   in Loop: Header=BB26_4 Depth=1
	s_and_b32 s23, s10, exec_lo
; %bb.75:                               ;   in Loop: Header=BB26_4 Depth=1
	s_or_saveexec_b32 s72, s72
	v_mov_b64_e32 v[6:7], 0
	v_mov_b32_e32 v10, v176
	s_xor_b32 exec_lo, exec_lo, s72
	s_cbranch_execz .LBB26_77
; %bb.76:                               ;   in Loop: Header=BB26_4 Depth=1
	ds_load_b128 v[4:7], v193
	v_mov_b32_e32 v10, v178
	s_or_b32 s23, s23, exec_lo
	s_wait_dscnt 0x0
	v_xor_b32_e32 v7, 0x80000000, v7
	ds_store_b64 v178, v[4:5]
.LBB26_77:                              ;   in Loop: Header=BB26_4 Depth=1
	s_or_b32 exec_lo, exec_lo, s72
	s_and_saveexec_b32 s72, s23
; %bb.78:                               ;   in Loop: Header=BB26_4 Depth=1
	ds_store_b64 v10, v[6:7] offset:8
; %bb.79:                               ;   in Loop: Header=BB26_4 Depth=1
	s_or_b32 exec_lo, exec_lo, s72
	s_mov_b32 s23, 0
	s_and_saveexec_b32 s72, s11
	s_delay_alu instid0(SALU_CYCLE_1)
	s_xor_b32 s72, exec_lo, s72
; %bb.80:                               ;   in Loop: Header=BB26_4 Depth=1
	s_and_b32 s23, s12, exec_lo
; %bb.81:                               ;   in Loop: Header=BB26_4 Depth=1
	s_or_saveexec_b32 s72, s72
	v_mov_b64_e32 v[6:7], 0
	v_mov_b32_e32 v10, v176
	s_xor_b32 exec_lo, exec_lo, s72
	s_cbranch_execz .LBB26_83
; %bb.82:                               ;   in Loop: Header=BB26_4 Depth=1
	ds_load_b128 v[4:7], v193 offset:528
	v_mov_b32_e32 v10, v179
	s_or_b32 s23, s23, exec_lo
	s_wait_dscnt 0x0
	v_xor_b32_e32 v7, 0x80000000, v7
	ds_store_b64 v179, v[4:5]
.LBB26_83:                              ;   in Loop: Header=BB26_4 Depth=1
	s_or_b32 exec_lo, exec_lo, s72
	s_and_saveexec_b32 s72, s23
; %bb.84:                               ;   in Loop: Header=BB26_4 Depth=1
	ds_store_b64 v10, v[6:7] offset:8
; %bb.85:                               ;   in Loop: Header=BB26_4 Depth=1
	s_or_b32 exec_lo, exec_lo, s72
	s_mov_b32 s23, 0
	s_and_saveexec_b32 s72, s13
	s_delay_alu instid0(SALU_CYCLE_1)
	s_xor_b32 s72, exec_lo, s72
; %bb.86:                               ;   in Loop: Header=BB26_4 Depth=1
	s_and_b32 s23, s14, exec_lo
; %bb.87:                               ;   in Loop: Header=BB26_4 Depth=1
	s_or_saveexec_b32 s72, s72
	v_mov_b64_e32 v[6:7], 0
	v_mov_b32_e32 v10, v176
	s_xor_b32 exec_lo, exec_lo, s72
	s_cbranch_execz .LBB26_89
; %bb.88:                               ;   in Loop: Header=BB26_4 Depth=1
	ds_load_b128 v[4:7], v193 offset:1056
	v_mov_b32_e32 v10, v181
	s_or_b32 s23, s23, exec_lo
	s_wait_dscnt 0x0
	v_xor_b32_e32 v7, 0x80000000, v7
	ds_store_b64 v181, v[4:5]
.LBB26_89:                              ;   in Loop: Header=BB26_4 Depth=1
	s_or_b32 exec_lo, exec_lo, s72
	s_and_saveexec_b32 s72, s23
; %bb.90:                               ;   in Loop: Header=BB26_4 Depth=1
	ds_store_b64 v10, v[6:7] offset:8
; %bb.91:                               ;   in Loop: Header=BB26_4 Depth=1
	s_or_b32 exec_lo, exec_lo, s72
	s_wait_dscnt 0x0
	s_barrier_signal -1
	s_barrier_wait -1
	ds_load_b128 v[4:7], v182 offset:512
	ds_load_b128 v[10:13], v182 offset:528
	ds_load_b128 v[14:17], v182 offset:544
	ds_load_b128 v[18:21], v182 offset:560
	ds_load_b128 v[22:25], v192
	s_wait_dscnt 0x0
	v_mul_f64_e32 v[26:27], v[6:7], v[24:25]
	s_delay_alu instid0(VALU_DEP_1) | instskip(SKIP_1) | instid1(VALU_DEP_1)
	v_fma_f64 v[26:27], v[4:5], v[22:23], -v[26:27]
	v_mul_f64_e32 v[4:5], v[4:5], v[24:25]
	v_fmac_f64_e32 v[4:5], v[6:7], v[22:23]
	s_delay_alu instid0(VALU_DEP_3) | instskip(NEXT) | instid1(VALU_DEP_2)
	v_add_f64_e32 v[22:23], 0, v[26:27]
	v_add_f64_e32 v[24:25], 0, v[4:5]
	ds_load_b128 v[4:7], v193
	s_wait_dscnt 0x0
	v_mul_f64_e32 v[26:27], v[12:13], v[6:7]
	v_mul_f64_e32 v[6:7], v[10:11], v[6:7]
	s_delay_alu instid0(VALU_DEP_2) | instskip(NEXT) | instid1(VALU_DEP_2)
	v_fma_f64 v[26:27], v[10:11], v[4:5], -v[26:27]
	v_fmac_f64_e32 v[6:7], v[12:13], v[4:5]
	s_delay_alu instid0(VALU_DEP_2) | instskip(NEXT) | instid1(VALU_DEP_2)
	v_add_f64_e32 v[10:11], v[22:23], v[26:27]
	v_add_f64_e32 v[12:13], v[24:25], v[6:7]
	ds_load_b128 v[4:7], v193 offset:528
	s_wait_dscnt 0x0
	v_mul_f64_e32 v[22:23], v[16:17], v[6:7]
	v_mul_f64_e32 v[6:7], v[14:15], v[6:7]
	s_delay_alu instid0(VALU_DEP_2) | instskip(NEXT) | instid1(VALU_DEP_2)
	v_fma_f64 v[22:23], v[14:15], v[4:5], -v[22:23]
	v_fmac_f64_e32 v[6:7], v[16:17], v[4:5]
	s_delay_alu instid0(VALU_DEP_2) | instskip(NEXT) | instid1(VALU_DEP_2)
	v_add_f64_e32 v[10:11], v[10:11], v[22:23]
	v_add_f64_e32 v[12:13], v[12:13], v[6:7]
	ds_load_b128 v[4:7], v193 offset:1056
	s_wait_dscnt 0x0
	s_barrier_signal -1
	s_barrier_wait -1
	v_mul_f64_e32 v[14:15], v[20:21], v[6:7]
	v_mul_f64_e32 v[6:7], v[18:19], v[6:7]
	s_delay_alu instid0(VALU_DEP_2) | instskip(NEXT) | instid1(VALU_DEP_2)
	v_fma_f64 v[14:15], v[18:19], v[4:5], -v[14:15]
	v_fmac_f64_e32 v[6:7], v[20:21], v[4:5]
	s_delay_alu instid0(VALU_DEP_2) | instskip(NEXT) | instid1(VALU_DEP_2)
	v_add_f64_e32 v[4:5], v[10:11], v[14:15]
	v_add_f64_e32 v[6:7], v[12:13], v[6:7]
	ds_store_b128 v183, v[4:7]
	s_wait_dscnt 0x0
	s_barrier_signal -1
	s_barrier_wait -1
	s_and_saveexec_b32 s23, s21
	s_cbranch_execz .LBB26_93
; %bb.92:                               ;   in Loop: Header=BB26_4 Depth=1
	ds_load_b128 v[0:3], v180
	ds_load_b128 v[4:7], v180 offset:16
	s_wait_dscnt 0x0
	v_add_f64_e32 v[10:11], v[4:5], v[0:1]
	v_add_f64_e32 v[12:13], v[6:7], v[2:3]
	ds_load_b128 v[0:3], v180 offset:32
	ds_load_b128 v[4:7], v180 offset:48
	s_wait_dscnt 0x1
	v_add_f64_e32 v[0:1], v[10:11], v[0:1]
	v_add_f64_e32 v[2:3], v[12:13], v[2:3]
	s_wait_dscnt 0x0
	s_delay_alu instid0(VALU_DEP_2) | instskip(NEXT) | instid1(VALU_DEP_2)
	v_add_f64_e32 v[10:11], v[0:1], v[4:5]
	v_add_f64_e32 v[12:13], v[2:3], v[6:7]
	ds_load_b128 v[0:3], v180 offset:64
	ds_load_b128 v[4:7], v180 offset:80
	s_wait_dscnt 0x1
	v_add_f64_e32 v[0:1], v[10:11], v[0:1]
	v_add_f64_e32 v[2:3], v[12:13], v[2:3]
	s_wait_dscnt 0x0
	s_delay_alu instid0(VALU_DEP_2) | instskip(NEXT) | instid1(VALU_DEP_2)
	;; [unrolled: 9-line block ×3, first 2 shown]
	v_add_f64_e32 v[0:1], v[0:1], v[4:5]
	v_add_f64_e32 v[2:3], v[2:3], v[6:7]
.LBB26_93:                              ;   in Loop: Header=BB26_4 Depth=1
	s_or_b32 exec_lo, exec_lo, s23
	v_lshl_add_u64 v[38:39], s[54:55], 4, v[8:9]
	s_and_not1_b32 vcc_lo, exec_lo, s77
	s_mov_b32 s23, -1
	s_barrier_signal -1
	s_barrier_wait -1
	s_cbranch_vccnz .LBB26_95
; %bb.94:                               ;   in Loop: Header=BB26_4 Depth=1
	v_lshl_add_u64 v[8:9], s[46:47], 4, v[38:39]
	s_mov_b32 s23, 0
	s_delay_alu instid0(VALU_DEP_1) | instskip(NEXT) | instid1(VALU_DEP_1)
	v_add_nc_u64_e32 v[12:13], s[60:61], v[8:9]
	v_add_nc_u64_e32 v[16:17], s[60:61], v[12:13]
	s_clause 0x3
	global_load_b128 v[4:7], v[38:39], off
	global_load_b128 v[8:11], v[8:9], off
	;; [unrolled: 1-line block ×4, first 2 shown]
	s_wait_loadcnt 0x3
	ds_store_2addr_b64 v172, v[4:5], v[6:7] offset1:1
	s_wait_loadcnt 0x2
	ds_store_2addr_b64 v173, v[8:9], v[10:11] offset1:1
	;; [unrolled: 2-line block ×4, first 2 shown]
.LBB26_95:                              ;   in Loop: Header=BB26_4 Depth=1
	s_and_not1_b32 vcc_lo, exec_lo, s23
	s_cbranch_vccnz .LBB26_107
; %bb.96:                               ;   in Loop: Header=BB26_4 Depth=1
	s_wait_xcnt 0x0
	s_and_saveexec_b32 s23, s3
	s_delay_alu instid0(SALU_CYCLE_1)
	s_xor_b32 s23, exec_lo, s23
; %bb.97:                               ;   in Loop: Header=BB26_4 Depth=1
	v_dual_mov_b32 v4, v151 :: v_dual_mov_b32 v5, v151
	v_dual_mov_b32 v6, v151 :: v_dual_mov_b32 v7, v151
	ds_store_b128 v172, v[4:7]
; %bb.98:                               ;   in Loop: Header=BB26_4 Depth=1
	s_or_saveexec_b32 s23, s23
	v_lshl_add_u64 v[4:5], v[158:159], 4, v[38:39]
	s_delay_alu instid0(VALU_DEP_1) | instskip(NEXT) | instid1(VALU_DEP_1)
	v_lshl_add_u64 v[4:5], s[30:31], 4, v[4:5]
	v_add_nc_u64_e32 v[4:5], s[62:63], v[4:5]
	s_delay_alu instid0(VALU_DEP_1)
	v_dual_cndmask_b32 v5, v5, v39, s16 :: v_dual_cndmask_b32 v4, v4, v38, s16
	s_xor_b32 exec_lo, exec_lo, s23
	s_cbranch_execnz .LBB26_132
; %bb.99:                               ;   in Loop: Header=BB26_4 Depth=1
	s_or_b32 exec_lo, exec_lo, s23
	s_and_saveexec_b32 s23, s4
	s_delay_alu instid0(SALU_CYCLE_1)
	s_xor_b32 s23, exec_lo, s23
	s_cbranch_execnz .LBB26_133
.LBB26_100:                             ;   in Loop: Header=BB26_4 Depth=1
	s_and_not1_saveexec_b32 s23, s23
	s_cbranch_execnz .LBB26_134
.LBB26_101:                             ;   in Loop: Header=BB26_4 Depth=1
	s_or_b32 exec_lo, exec_lo, s23
	s_and_saveexec_b32 s23, s5
	s_delay_alu instid0(SALU_CYCLE_1)
	s_xor_b32 s23, exec_lo, s23
	s_cbranch_execnz .LBB26_135
.LBB26_102:                             ;   in Loop: Header=BB26_4 Depth=1
	s_and_not1_saveexec_b32 s23, s23
	s_cbranch_execnz .LBB26_136
.LBB26_103:                             ;   in Loop: Header=BB26_4 Depth=1
	s_or_b32 exec_lo, exec_lo, s23
	s_and_saveexec_b32 s23, s6
	s_delay_alu instid0(SALU_CYCLE_1)
	s_xor_b32 s23, exec_lo, s23
	s_cbranch_execnz .LBB26_137
.LBB26_104:                             ;   in Loop: Header=BB26_4 Depth=1
	s_and_not1_saveexec_b32 s23, s23
	s_cbranch_execz .LBB26_106
.LBB26_105:                             ;   in Loop: Header=BB26_4 Depth=1
	v_lshl_add_u64 v[6:7], s[50:51], 4, v[4:5]
	global_load_b128 v[6:9], v[6:7], off
	s_wait_loadcnt 0x0
	ds_store_2addr_b64 v175, v[6:7], v[8:9] offset1:1
.LBB26_106:                             ;   in Loop: Header=BB26_4 Depth=1
	s_wait_xcnt 0x0
	s_or_b32 exec_lo, exec_lo, s23
	v_add_nc_u64_e32 v[4:5], v[4:5], v[150:151]
	s_delay_alu instid0(VALU_DEP_1) | instskip(NEXT) | instid1(VALU_DEP_1)
	v_lshl_add_u64 v[4:5], s[66:67], 4, v[4:5]
	v_add_nc_u64_e32 v[4:5], 0x210, v[4:5]
	s_delay_alu instid0(VALU_DEP_1)
	v_dual_cndmask_b32 v39, v5, v39, s16 :: v_dual_cndmask_b32 v38, v4, v38, s16
.LBB26_107:                             ;   in Loop: Header=BB26_4 Depth=1
	s_wait_dscnt 0x0
	s_barrier_signal -1
	s_barrier_wait -1
	ds_load_b128 v[4:7], v194
	s_wait_xcnt 0x2
	ds_load_b128 v[8:11], v172
	s_wait_xcnt 0x1
	;; [unrolled: 2-line block ×3, first 2 shown]
	ds_load_b128 v[16:19], v191 offset:384
	ds_load_b128 v[20:23], v191 offset:128
	;; [unrolled: 1-line block ×3, first 2 shown]
	s_wait_dscnt 0x4
	v_mul_f64_e32 v[28:29], v[6:7], v[10:11]
	v_mul_f64_e32 v[30:31], v[4:5], v[10:11]
	s_wait_dscnt 0x1
	v_mul_f64_e32 v[32:33], v[22:23], v[14:15]
	v_mul_f64_e32 v[14:15], v[20:21], v[14:15]
	s_delay_alu instid0(VALU_DEP_4) | instskip(NEXT) | instid1(VALU_DEP_4)
	v_fma_f64 v[28:29], v[4:5], v[8:9], -v[28:29]
	v_fmac_f64_e32 v[30:31], v[6:7], v[8:9]
	ds_load_b128 v[4:7], v174
	ds_load_b128 v[8:11], v175
	v_fma_f64 v[20:21], v[20:21], v[12:13], -v[32:33]
	v_fmac_f64_e32 v[14:15], v[22:23], v[12:13]
	s_wait_dscnt 0x1
	v_mul_f64_e32 v[34:35], v[26:27], v[6:7]
	v_mul_f64_e32 v[6:7], v[24:25], v[6:7]
	v_add_f64_e32 v[12:13], 0, v[28:29]
	v_add_f64_e32 v[22:23], 0, v[30:31]
	s_wait_dscnt 0x0
	v_mul_f64_e32 v[28:29], v[18:19], v[10:11]
	v_mul_f64_e32 v[10:11], v[16:17], v[10:11]
	v_fma_f64 v[24:25], v[24:25], v[4:5], -v[34:35]
	v_fmac_f64_e32 v[6:7], v[26:27], v[4:5]
	v_add_f64_e32 v[4:5], v[12:13], v[20:21]
	v_add_f64_e32 v[12:13], v[22:23], v[14:15]
	v_fma_f64 v[14:15], v[16:17], v[8:9], -v[28:29]
	v_fmac_f64_e32 v[10:11], v[18:19], v[8:9]
	s_delay_alu instid0(VALU_DEP_4) | instskip(NEXT) | instid1(VALU_DEP_4)
	v_add_f64_e32 v[4:5], v[4:5], v[24:25]
	v_add_f64_e32 v[6:7], v[12:13], v[6:7]
	s_delay_alu instid0(VALU_DEP_2) | instskip(NEXT) | instid1(VALU_DEP_2)
	v_add_f64_e32 v[40:41], v[4:5], v[14:15]
	v_add_f64_e32 v[42:43], v[6:7], v[10:11]
	ds_load_b128 v[28:31], v184
	ds_load_b128 v[20:23], v184 offset:16
	ds_load_b128 v[8:11], v184 offset:32
	;; [unrolled: 1-line block ×7, first 2 shown]
	s_wait_dscnt 0x0
	s_barrier_signal -1
	s_barrier_wait -1
	ds_store_b128 v183, v[40:43]
	s_wait_dscnt 0x0
	s_barrier_signal -1
	s_barrier_wait -1
	s_and_saveexec_b32 s23, s21
	s_cbranch_execz .LBB26_109
; %bb.108:                              ;   in Loop: Header=BB26_4 Depth=1
	ds_load_b128 v[40:43], v180
	ds_load_b128 v[44:47], v180 offset:16
	s_wait_dscnt 0x1
	v_add_f64_e32 v[0:1], v[0:1], v[40:41]
	v_add_f64_e32 v[2:3], v[2:3], v[42:43]
	s_wait_dscnt 0x0
	s_delay_alu instid0(VALU_DEP_2) | instskip(NEXT) | instid1(VALU_DEP_2)
	v_add_f64_e32 v[44:45], v[0:1], v[44:45]
	v_add_f64_e32 v[46:47], v[2:3], v[46:47]
	ds_load_b128 v[0:3], v180 offset:32
	ds_load_b128 v[40:43], v180 offset:48
	s_wait_dscnt 0x1
	v_add_f64_e32 v[0:1], v[44:45], v[0:1]
	v_add_f64_e32 v[2:3], v[46:47], v[2:3]
	s_wait_dscnt 0x0
	s_delay_alu instid0(VALU_DEP_2) | instskip(NEXT) | instid1(VALU_DEP_2)
	v_add_f64_e32 v[44:45], v[0:1], v[40:41]
	v_add_f64_e32 v[46:47], v[2:3], v[42:43]
	ds_load_b128 v[0:3], v180 offset:64
	ds_load_b128 v[40:43], v180 offset:80
	s_wait_dscnt 0x1
	v_add_f64_e32 v[0:1], v[44:45], v[0:1]
	v_add_f64_e32 v[2:3], v[46:47], v[2:3]
	s_wait_dscnt 0x0
	s_delay_alu instid0(VALU_DEP_2) | instskip(NEXT) | instid1(VALU_DEP_2)
	v_add_f64_e32 v[44:45], v[0:1], v[40:41]
	v_add_f64_e32 v[46:47], v[2:3], v[42:43]
	ds_load_b128 v[0:3], v180 offset:96
	ds_load_b128 v[40:43], v180 offset:112
	s_wait_dscnt 0x1
	v_add_f64_e32 v[0:1], v[44:45], v[0:1]
	v_add_f64_e32 v[2:3], v[46:47], v[2:3]
	s_wait_dscnt 0x0
	s_delay_alu instid0(VALU_DEP_2) | instskip(NEXT) | instid1(VALU_DEP_2)
	v_add_f64_e32 v[0:1], v[0:1], v[40:41]
	v_add_f64_e32 v[2:3], v[2:3], v[42:43]
.LBB26_109:                             ;   in Loop: Header=BB26_4 Depth=1
	s_or_b32 exec_lo, exec_lo, s23
	v_mul_f64_e32 v[40:41], v[30:31], v[34:35]
	v_mul_f64_e32 v[30:31], v[30:31], v[32:33]
	;; [unrolled: 1-line block ×4, first 2 shown]
	s_barrier_signal -1
	s_barrier_wait -1
	s_delay_alu instid0(VALU_DEP_4) | instskip(NEXT) | instid1(VALU_DEP_4)
	v_fmac_f64_e32 v[40:41], v[28:29], v[32:33]
	v_fma_f64 v[28:29], v[28:29], v[34:35], -v[30:31]
	v_mul_f64_e32 v[30:31], v[10:11], v[18:19]
	v_mul_f64_e32 v[10:11], v[10:11], v[16:17]
	v_fmac_f64_e32 v[42:43], v[20:21], v[24:25]
	v_fma_f64 v[20:21], v[20:21], v[26:27], -v[22:23]
	v_mul_f64_e32 v[26:27], v[6:7], v[14:15]
	v_mul_f64_e32 v[6:7], v[6:7], v[12:13]
	v_add_f64_e32 v[22:23], 0, v[40:41]
	v_add_f64_e32 v[24:25], 0, v[28:29]
	v_fmac_f64_e32 v[30:31], v[8:9], v[16:17]
	v_fma_f64 v[8:9], v[8:9], v[18:19], -v[10:11]
	v_fmac_f64_e32 v[26:27], v[4:5], v[12:13]
	v_fma_f64 v[6:7], v[4:5], v[14:15], -v[6:7]
	v_add_f64_e32 v[10:11], v[22:23], v[42:43]
	v_add_f64_e32 v[16:17], v[24:25], v[20:21]
	s_delay_alu instid0(VALU_DEP_2) | instskip(NEXT) | instid1(VALU_DEP_2)
	v_add_f64_e32 v[4:5], v[10:11], v[30:31]
	v_add_f64_e32 v[8:9], v[16:17], v[8:9]
	s_delay_alu instid0(VALU_DEP_2) | instskip(NEXT) | instid1(VALU_DEP_2)
	v_add_f64_e32 v[4:5], v[4:5], v[26:27]
	v_add_f64_e32 v[6:7], v[8:9], v[6:7]
	ds_store_b128 v183, v[4:7]
	s_wait_dscnt 0x0
	s_barrier_signal -1
	s_barrier_wait -1
	s_and_saveexec_b32 s23, s15
	s_cbranch_execz .LBB26_111
; %bb.110:                              ;   in Loop: Header=BB26_4 Depth=1
	ds_load_b128 v[4:7], v180
	ds_load_b128 v[8:11], v180 offset:16
	s_wait_dscnt 0x1
	v_add_f64_e32 v[0:1], v[0:1], v[4:5]
	v_add_f64_e32 v[2:3], v[2:3], v[6:7]
	s_wait_dscnt 0x0
	s_delay_alu instid0(VALU_DEP_2) | instskip(NEXT) | instid1(VALU_DEP_2)
	v_add_f64_e32 v[8:9], v[0:1], v[8:9]
	v_add_f64_e32 v[10:11], v[2:3], v[10:11]
	ds_load_b128 v[0:3], v180 offset:32
	ds_load_b128 v[4:7], v180 offset:48
	s_wait_dscnt 0x1
	v_add_f64_e32 v[0:1], v[8:9], v[0:1]
	v_add_f64_e32 v[2:3], v[10:11], v[2:3]
	s_wait_dscnt 0x0
	s_delay_alu instid0(VALU_DEP_2) | instskip(NEXT) | instid1(VALU_DEP_2)
	v_add_f64_e32 v[8:9], v[0:1], v[4:5]
	v_add_f64_e32 v[10:11], v[2:3], v[6:7]
	ds_load_b128 v[0:3], v180 offset:64
	;; [unrolled: 9-line block ×3, first 2 shown]
	ds_load_b128 v[4:7], v180 offset:112
	s_wait_dscnt 0x1
	v_add_f64_e32 v[0:1], v[8:9], v[0:1]
	v_add_f64_e32 v[2:3], v[10:11], v[2:3]
	s_wait_dscnt 0x0
	s_delay_alu instid0(VALU_DEP_2) | instskip(NEXT) | instid1(VALU_DEP_2)
	v_add_f64_e32 v[0:1], v[0:1], v[4:5]
	v_add_f64_e32 v[2:3], v[2:3], v[6:7]
.LBB26_111:                             ;   in Loop: Header=BB26_4 Depth=1
	s_or_b32 exec_lo, exec_lo, s23
	s_mul_u64 s[72:73], s[28:29], s[34:35]
	s_and_not1_b32 vcc_lo, exec_lo, s78
	s_lshl_b64 s[72:73], s[72:73], 4
	s_delay_alu instid0(SALU_CYCLE_1)
	s_add_nc_u64 s[72:73], s[42:43], s[72:73]
	s_barrier_signal -1
	s_barrier_wait -1
	s_cbranch_vccnz .LBB26_118
; %bb.112:                              ;   in Loop: Header=BB26_4 Depth=1
	v_lshl_add_u64 v[4:5], s[58:59], 4, v[38:39]
	v_lshl_add_u64 v[166:167], s[56:57], 4, v[36:37]
	v_mov_b32_e32 v196, v148
	s_mov_b32 s74, 0
	s_mov_b32 s23, s76
	v_lshl_add_u64 v[4:5], v[162:163], 4, v[4:5]
	s_delay_alu instid0(VALU_DEP_1) | instskip(NEXT) | instid1(VALU_DEP_1)
	v_lshl_add_u64 v[4:5], v[160:161], 4, v[4:5]
	v_lshl_add_u64 v[6:7], v[164:165], 4, v[4:5]
	v_add_nc_u64_e32 v[4:5], s[64:65], v[4:5]
	s_delay_alu instid0(VALU_DEP_2) | instskip(NEXT) | instid1(VALU_DEP_1)
	v_lshl_add_u64 v[6:7], s[30:31], 4, v[6:7]
	v_add_nc_u64_e32 v[6:7], s[62:63], v[6:7]
	s_delay_alu instid0(VALU_DEP_1)
	v_dual_cndmask_b32 v5, v5, v7, s1 :: v_dual_cndmask_b32 v4, v4, v6, s1
	s_branch .LBB26_114
.LBB26_113:                             ;   in Loop: Header=BB26_114 Depth=2
	s_wait_xcnt 0x0
	s_or_b32 exec_lo, exec_lo, s75
	v_dual_mul_f64 v[84:85], v[18:19], v[38:39] :: v_dual_add_nc_u32 v196, 64, v196
	v_mul_f64_e32 v[38:39], v[16:17], v[38:39]
	v_mul_f64_e32 v[86:87], v[14:15], v[50:51]
	;; [unrolled: 1-line block ×3, first 2 shown]
	s_add_co_i32 s23, s23, -1
	s_add_co_i32 s74, s74, s79
	s_cmp_eq_u32 s23, 0
	s_wait_storecnt 0x0
	s_barrier_signal -1
	s_barrier_wait -1
	s_delay_alu instid0(VALU_DEP_4) | instskip(NEXT) | instid1(VALU_DEP_4)
	v_fma_f64 v[16:17], v[16:17], v[36:37], -v[84:85]
	v_fmac_f64_e32 v[38:39], v[18:19], v[36:37]
	v_mul_f64_e32 v[18:19], v[10:11], v[46:47]
	v_mul_f64_e32 v[36:37], v[8:9], v[46:47]
	v_fma_f64 v[12:13], v[12:13], v[48:49], -v[86:87]
	v_fmac_f64_e32 v[50:51], v[14:15], v[48:49]
	v_mul_f64_e32 v[14:15], v[6:7], v[30:31]
	v_add_f64_e32 v[0:1], v[0:1], v[16:17]
	v_mul_f64_e32 v[16:17], v[4:5], v[30:31]
	v_add_f64_e32 v[2:3], v[2:3], v[38:39]
	v_fma_f64 v[8:9], v[8:9], v[44:45], -v[18:19]
	v_fmac_f64_e32 v[36:37], v[10:11], v[44:45]
	v_mul_f64_e32 v[10:11], v[42:43], v[74:75]
	v_fma_f64 v[4:5], v[4:5], v[28:29], -v[14:15]
	v_mul_f64_e32 v[14:15], v[24:25], v[78:79]
	v_add_f64_e32 v[0:1], v[0:1], v[12:13]
	v_mul_f64_e32 v[12:13], v[40:41], v[74:75]
	v_add_f64_e32 v[2:3], v[2:3], v[50:51]
	v_fmac_f64_e32 v[16:17], v[6:7], v[28:29]
	v_mul_f64_e32 v[6:7], v[34:35], v[82:83]
	v_fma_f64 v[10:11], v[40:41], v[72:73], -v[10:11]
	v_fmac_f64_e32 v[14:15], v[26:27], v[76:77]
	v_add_f64_e32 v[0:1], v[0:1], v[8:9]
	v_mul_f64_e32 v[8:9], v[32:33], v[82:83]
	v_add_f64_e32 v[2:3], v[2:3], v[36:37]
	v_fmac_f64_e32 v[12:13], v[42:43], v[72:73]
	v_fma_f64 v[6:7], v[32:33], v[80:81], -v[6:7]
	v_add_f64_e32 v[0:1], v[0:1], v[4:5]
	v_mul_f64_e32 v[4:5], v[26:27], v[78:79]
	v_add_f64_e32 v[2:3], v[2:3], v[16:17]
	v_fmac_f64_e32 v[8:9], v[34:35], v[80:81]
	s_delay_alu instid0(VALU_DEP_4) | instskip(SKIP_1) | instid1(VALU_DEP_4)
	v_add_f64_e32 v[0:1], v[0:1], v[10:11]
	v_mul_f64_e32 v[10:11], v[22:23], v[70:71]
	v_add_f64_e32 v[2:3], v[2:3], v[12:13]
	v_mul_f64_e32 v[12:13], v[20:21], v[70:71]
	v_fma_f64 v[4:5], v[24:25], v[76:77], -v[4:5]
	v_add_f64_e32 v[0:1], v[0:1], v[6:7]
	v_mul_f64_e32 v[6:7], v[66:67], v[122:123]
	v_add_f64_e32 v[2:3], v[2:3], v[8:9]
	v_mul_f64_e32 v[8:9], v[64:65], v[122:123]
	v_fma_f64 v[10:11], v[20:21], v[68:69], -v[10:11]
	v_fmac_f64_e32 v[12:13], v[22:23], v[68:69]
	v_add_f64_e32 v[0:1], v[0:1], v[4:5]
	v_mul_f64_e32 v[4:5], v[62:63], v[130:131]
	v_add_f64_e32 v[2:3], v[2:3], v[14:15]
	v_mul_f64_e32 v[14:15], v[60:61], v[130:131]
	v_fma_f64 v[6:7], v[64:65], v[120:121], -v[6:7]
	v_fmac_f64_e32 v[8:9], v[66:67], v[120:121]
	;; [unrolled: 6-line block ×8, first 2 shown]
	v_add_f64_e32 v[0:1], v[0:1], v[10:11]
	v_fma_f64 v[4:5], v[96:97], v[136:137], -v[4:5]
	v_add_f64_e32 v[2:3], v[2:3], v[12:13]
	v_fmac_f64_e32 v[14:15], v[98:99], v[136:137]
	s_delay_alu instid0(VALU_DEP_4) | instskip(NEXT) | instid1(VALU_DEP_3)
	v_add_f64_e32 v[0:1], v[0:1], v[6:7]
	v_add_f64_e32 v[2:3], v[2:3], v[8:9]
	s_delay_alu instid0(VALU_DEP_2) | instskip(SKIP_1) | instid1(VALU_DEP_3)
	v_add_f64_e32 v[0:1], v[0:1], v[4:5]
	v_add_nc_u64_e32 v[4:5], s[70:71], v[168:169]
	v_add_f64_e32 v[2:3], v[2:3], v[14:15]
	s_cbranch_scc1 .LBB26_118
.LBB26_114:                             ;   Parent Loop BB26_4 Depth=1
                                        ; =>  This Inner Loop Header: Depth=2
	s_and_saveexec_b32 s81, s0
	s_cbranch_execz .LBB26_116
; %bb.115:                              ;   in Loop: Header=BB26_114 Depth=2
	s_ashr_i32 s75, s74, 31
	s_delay_alu instid0(SALU_CYCLE_1)
	v_lshl_add_u64 v[6:7], s[74:75], 4, v[166:167]
	global_load_b128 v[6:9], v[6:7], off
	s_wait_loadcnt 0x0
	ds_store_2addr_b64 v149, v[6:7], v[8:9] offset1:1
.LBB26_116:                             ;   in Loop: Header=BB26_114 Depth=2
	s_wait_xcnt 0x0
	s_or_b32 exec_lo, exec_lo, s81
	v_add_nc_u64_e32 v[6:7], s[68:69], v[4:5]
	s_wait_dscnt 0x0
	s_barrier_signal -1
	s_barrier_wait -1
	s_delay_alu instid0(VALU_DEP_1) | instskip(NEXT) | instid1(VALU_DEP_1)
	v_add_nc_u64_e32 v[8:9], s[68:69], v[6:7]
	v_add_nc_u64_e32 v[28:29], s[68:69], v[8:9]
	s_clause 0x3
	global_load_b128 v[16:19], v[4:5], off
	global_load_b128 v[12:15], v[6:7], off
	;; [unrolled: 1-line block ×4, first 2 shown]
	ds_load_b128 v[20:23], v171
	ds_load_b128 v[36:39], v185
	s_wait_loadcnt_dscnt 0x301
	v_mul_f64_e32 v[24:25], v[18:19], v[22:23]
	v_mul_f64_e32 v[26:27], v[18:19], v[20:21]
	s_wait_loadcnt 0x2
	v_mul_f64_e32 v[32:33], v[14:15], v[22:23]
	v_mul_f64_e32 v[30:31], v[14:15], v[20:21]
	s_wait_loadcnt 0x1
	;; [unrolled: 3-line block ×3, first 2 shown]
	v_mul_f64_e32 v[52:53], v[6:7], v[22:23]
	v_mul_f64_e32 v[44:45], v[6:7], v[20:21]
	v_fmac_f64_e32 v[24:25], v[16:17], v[20:21]
	v_fma_f64 v[26:27], v[16:17], v[22:23], -v[26:27]
	v_fmac_f64_e32 v[32:33], v[12:13], v[20:21]
	v_fma_f64 v[34:35], v[12:13], v[22:23], -v[30:31]
	;; [unrolled: 2-line block ×4, first 2 shown]
	v_add_nc_u64_e32 v[20:21], s[70:71], v[28:29]
	ds_load_b128 v[48:51], v185 offset:16
	ds_load_b128 v[44:47], v185 offset:32
	s_wait_xcnt 0x0
	ds_load_b128 v[28:31], v185 offset:48
	ds_store_b128 v186, v[24:27]
	ds_store_b128 v186, v[32:35] offset:1072
	ds_store_b128 v186, v[40:43] offset:2144
	ds_store_b128 v186, v[52:55] offset:3216
	v_add_nc_u64_e32 v[22:23], s[68:69], v[20:21]
	s_wait_dscnt 0x0
	s_barrier_signal -1
	s_barrier_wait -1
	ds_load_b128 v[116:119], v187
	ds_load_b128 v[104:107], v187 offset:16
	ds_load_b128 v[92:95], v187 offset:32
	;; [unrolled: 1-line block ×3, first 2 shown]
	s_wait_dscnt 0x0
	v_add_nc_u64_e32 v[56:57], s[68:69], v[22:23]
	s_barrier_signal -1
	s_barrier_wait -1
	s_delay_alu instid0(VALU_DEP_1)
	v_add_nc_u64_e32 v[68:69], s[68:69], v[56:57]
	s_clause 0x3
	global_load_b128 v[40:43], v[20:21], off
	global_load_b128 v[32:35], v[22:23], off
	;; [unrolled: 1-line block ×4, first 2 shown]
	ds_load_b128 v[52:55], v171
	ds_load_b128 v[72:75], v185 offset:256
	s_wait_loadcnt_dscnt 0x301
	v_mul_f64_e32 v[58:59], v[42:43], v[52:53]
	s_wait_xcnt 0x1
	v_mul_f64_e32 v[56:57], v[42:43], v[54:55]
	s_wait_loadcnt 0x2
	v_mul_f64_e32 v[62:63], v[34:35], v[52:53]
	v_mul_f64_e32 v[60:61], v[34:35], v[54:55]
	s_wait_loadcnt 0x1
	v_mul_f64_e32 v[66:67], v[26:27], v[52:53]
	;; [unrolled: 3-line block ×3, first 2 shown]
	v_mul_f64_e32 v[88:89], v[22:23], v[54:55]
	v_fma_f64 v[58:59], v[40:41], v[54:55], -v[58:59]
	v_fmac_f64_e32 v[56:57], v[40:41], v[52:53]
	v_fma_f64 v[62:63], v[32:33], v[54:55], -v[62:63]
	v_fmac_f64_e32 v[60:61], v[32:33], v[52:53]
	;; [unrolled: 2-line block ×4, first 2 shown]
	v_add_nc_u64_e32 v[52:53], s[70:71], v[68:69]
	ds_load_b128 v[80:83], v185 offset:272
	ds_load_b128 v[76:79], v185 offset:288
	s_wait_xcnt 0x0
	ds_load_b128 v[68:71], v185 offset:304
	ds_store_b128 v186, v[56:59]
	ds_store_b128 v186, v[60:63] offset:1072
	ds_store_b128 v186, v[64:67] offset:2144
	;; [unrolled: 1-line block ×3, first 2 shown]
	v_add_nc_u64_e32 v[54:55], s[68:69], v[52:53]
	s_wait_dscnt 0x0
	s_barrier_signal -1
	s_barrier_wait -1
	ds_load_b128 v[198:201], v187
	ds_load_b128 v[202:205], v187 offset:16
	ds_load_b128 v[206:209], v187 offset:32
	;; [unrolled: 1-line block ×3, first 2 shown]
	s_wait_dscnt 0x0
	v_add_nc_u64_e32 v[96:97], s[68:69], v[54:55]
	s_barrier_signal -1
	s_barrier_wait -1
	s_delay_alu instid0(VALU_DEP_1)
	v_add_nc_u64_e32 v[112:113], s[68:69], v[96:97]
	s_clause 0x2
	global_load_b128 v[64:67], v[52:53], off
	global_load_b128 v[60:63], v[54:55], off
	global_load_b128 v[56:59], v[96:97], off
	global_load_b128 v[52:55], v[112:113], off
	ds_load_b128 v[88:91], v171
	ds_load_b128 v[120:123], v185 offset:512
	v_add_f64_e32 v[198:199], 0, v[198:199]
	v_add_f64_e32 v[200:201], 0, v[200:201]
	s_delay_alu instid0(VALU_DEP_2) | instskip(NEXT) | instid1(VALU_DEP_2)
	v_add_f64_e32 v[198:199], v[198:199], v[202:203]
	v_add_f64_e32 v[200:201], v[200:201], v[204:205]
	s_delay_alu instid0(VALU_DEP_2) | instskip(NEXT) | instid1(VALU_DEP_2)
	v_add_f64_e32 v[198:199], v[198:199], v[206:207]
	v_add_f64_e32 v[200:201], v[200:201], v[208:209]
	s_wait_loadcnt_dscnt 0x301
	v_mul_f64_e32 v[98:99], v[66:67], v[88:89]
	s_wait_xcnt 0x1
	v_mul_f64_e32 v[96:97], v[66:67], v[90:91]
	s_wait_loadcnt 0x2
	v_mul_f64_e32 v[102:103], v[62:63], v[88:89]
	v_mul_f64_e32 v[100:101], v[62:63], v[90:91]
	s_wait_loadcnt 0x1
	v_mul_f64_e32 v[110:111], v[58:59], v[88:89]
	;; [unrolled: 3-line block ×3, first 2 shown]
	v_mul_f64_e32 v[132:133], v[54:55], v[90:91]
	v_fma_f64 v[98:99], v[64:65], v[90:91], -v[98:99]
	v_fmac_f64_e32 v[96:97], v[64:65], v[88:89]
	v_fma_f64 v[102:103], v[60:61], v[90:91], -v[102:103]
	v_fmac_f64_e32 v[100:101], v[60:61], v[88:89]
	;; [unrolled: 2-line block ×4, first 2 shown]
	v_add_nc_u64_e32 v[88:89], s[70:71], v[112:113]
	ds_load_b128 v[128:131], v185 offset:528
	ds_load_b128 v[124:127], v185 offset:544
	s_wait_xcnt 0x0
	ds_load_b128 v[112:115], v185 offset:560
	ds_store_b128 v186, v[96:99]
	ds_store_b128 v186, v[100:103] offset:1072
	ds_store_b128 v186, v[108:111] offset:2144
	;; [unrolled: 1-line block ×3, first 2 shown]
	v_add_nc_u64_e32 v[90:91], s[68:69], v[88:89]
	s_wait_dscnt 0x0
	s_barrier_signal -1
	s_barrier_wait -1
	ds_load_b128 v[214:217], v187
	ds_load_b128 v[218:221], v187 offset:16
	ds_load_b128 v[222:225], v187 offset:32
	;; [unrolled: 1-line block ×3, first 2 shown]
	s_wait_dscnt 0x0
	v_add_nc_u64_e32 v[136:137], s[68:69], v[90:91]
	s_barrier_signal -1
	s_barrier_wait -1
	s_delay_alu instid0(VALU_DEP_1)
	v_add_nc_u64_e32 v[168:169], s[68:69], v[136:137]
	global_load_b128 v[108:111], v[88:89], off
	global_load_b128 v[100:103], v[90:91], off
	;; [unrolled: 1-line block ×4, first 2 shown]
	s_wait_xcnt 0x1
	ds_load_b128 v[136:139], v171
	ds_load_b128 v[132:135], v185 offset:768
	v_add_f64_e32 v[214:215], 0, v[214:215]
	v_add_f64_e32 v[216:217], 0, v[216:217]
	s_delay_alu instid0(VALU_DEP_2) | instskip(NEXT) | instid1(VALU_DEP_2)
	v_add_f64_e32 v[202:203], v[214:215], v[218:219]
	v_add_f64_e32 v[204:205], v[216:217], v[220:221]
	s_delay_alu instid0(VALU_DEP_2) | instskip(NEXT) | instid1(VALU_DEP_2)
	v_add_f64_e32 v[202:203], v[202:203], v[222:223]
	v_add_f64_e32 v[204:205], v[204:205], v[224:225]
	s_wait_loadcnt_dscnt 0x301
	v_mul_f64_e32 v[140:141], v[110:111], v[136:137]
	v_mul_f64_e32 v[230:231], v[110:111], v[138:139]
	s_wait_loadcnt 0x2
	v_mul_f64_e32 v[142:143], v[102:103], v[136:137]
	v_mul_f64_e32 v[234:235], v[102:103], v[138:139]
	s_wait_loadcnt 0x1
	;; [unrolled: 3-line block ×3, first 2 shown]
	v_mul_f64_e32 v[146:147], v[98:99], v[136:137]
	v_mul_f64_e32 v[242:243], v[98:99], v[138:139]
	v_fma_f64 v[232:233], v[108:109], v[138:139], -v[140:141]
	v_fmac_f64_e32 v[230:231], v[108:109], v[136:137]
	v_fma_f64 v[236:237], v[100:101], v[138:139], -v[142:143]
	v_fmac_f64_e32 v[234:235], v[100:101], v[136:137]
	;; [unrolled: 2-line block ×4, first 2 shown]
	ds_load_b128 v[144:147], v185 offset:784
	ds_load_b128 v[140:143], v185 offset:800
	;; [unrolled: 1-line block ×3, first 2 shown]
	ds_store_b128 v186, v[230:233]
	ds_store_b128 v186, v[234:237] offset:1072
	ds_store_b128 v186, v[238:241] offset:2144
	ds_store_b128 v186, v[242:245] offset:3216
	s_wait_dscnt 0x0
	s_barrier_signal -1
	s_barrier_wait -1
	ds_load_b128 v[230:233], v187
	v_add_f64_e32 v[234:235], 0, v[116:117]
	v_add_f64_e32 v[236:237], 0, v[118:119]
	ds_load_b128 v[116:119], v187 offset:16
	s_wait_dscnt 0x1
	v_add_f64_e32 v[230:231], 0, v[230:231]
	v_add_f64_e32 v[232:233], 0, v[232:233]
	v_add_f64_e32 v[234:235], v[234:235], v[104:105]
	v_add_f64_e32 v[236:237], v[236:237], v[106:107]
	ds_load_b128 v[104:107], v187 offset:32
	s_wait_dscnt 0x1
	v_add_f64_e32 v[116:117], v[230:231], v[116:117]
	v_add_f64_e32 v[118:119], v[232:233], v[118:119]
	;; [unrolled: 1-line block ×4, first 2 shown]
	ds_load_b128 v[92:95], v187 offset:48
	s_wait_dscnt 0x0
	s_barrier_signal -1
	s_barrier_wait -1
	v_add_f64_e32 v[206:207], v[116:117], v[104:105]
	v_add_f64_e32 v[208:209], v[118:119], v[106:107]
	;; [unrolled: 1-line block ×10, first 2 shown]
	ds_store_b128 v195, v[84:87]
	ds_store_b128 v195, v[104:107] offset:256
	ds_store_b128 v195, v[116:119] offset:512
	;; [unrolled: 1-line block ×3, first 2 shown]
	s_wait_dscnt 0x0
	s_barrier_signal -1
	s_barrier_wait -1
	s_wait_xcnt 0x0
	s_and_saveexec_b32 s75, s22
	s_cbranch_execz .LBB26_113
; %bb.117:                              ;   in Loop: Header=BB26_114 Depth=2
	ds_load_b128 v[84:87], v188
	ds_load_b128 v[92:95], v188 offset:16
	s_wait_dscnt 0x0
	v_add_f64_e32 v[104:105], v[92:93], v[84:85]
	v_add_f64_e32 v[106:107], v[94:95], v[86:87]
	ds_load_b128 v[84:87], v188 offset:32
	ds_load_b128 v[92:95], v188 offset:48
	s_wait_dscnt 0x1
	v_add_f64_e32 v[84:85], v[104:105], v[84:85]
	v_add_f64_e32 v[86:87], v[106:107], v[86:87]
	s_wait_dscnt 0x0
	s_delay_alu instid0(VALU_DEP_2) | instskip(NEXT) | instid1(VALU_DEP_2)
	v_add_f64_e32 v[104:105], v[84:85], v[92:93]
	v_add_f64_e32 v[106:107], v[86:87], v[94:95]
	ds_load_b128 v[84:87], v188 offset:64
	ds_load_b128 v[92:95], v188 offset:80
	s_wait_dscnt 0x1
	v_add_f64_e32 v[84:85], v[104:105], v[84:85]
	v_add_f64_e32 v[86:87], v[106:107], v[86:87]
	s_wait_dscnt 0x0
	s_delay_alu instid0(VALU_DEP_2) | instskip(NEXT) | instid1(VALU_DEP_2)
	;; [unrolled: 9-line block ×6, first 2 shown]
	v_add_f64_e32 v[104:105], v[84:85], v[92:93]
	v_add_f64_e32 v[106:107], v[86:87], v[94:95]
	ds_load_b128 v[84:87], v188 offset:224
	ds_load_b128 v[92:95], v189
	s_wait_dscnt 0x1
	v_add_f64_e32 v[84:85], v[104:105], v[84:85]
	v_add_f64_e32 v[86:87], v[106:107], v[86:87]
	s_wait_dscnt 0x0
	s_delay_alu instid0(VALU_DEP_2) | instskip(NEXT) | instid1(VALU_DEP_2)
	v_add_f64_e32 v[84:85], v[84:85], v[92:93]
	v_add_f64_e32 v[86:87], v[86:87], v[94:95]
	global_store_b128 v196, v[84:87], s[72:73] scale_offset
	s_branch .LBB26_113
.LBB26_118:                             ;   in Loop: Header=BB26_4 Depth=1
	ds_store_b128 v190, v[0:3]
	s_wait_dscnt 0x0
	s_barrier_signal -1
	s_barrier_wait -1
	s_and_saveexec_b32 s23, s80
	s_cbranch_execz .LBB26_2
; %bb.119:                              ;   in Loop: Header=BB26_4 Depth=1
	ds_load_b128 v[0:3], v170 offset:1072
	ds_load_b128 v[4:7], v170
	s_wait_dscnt 0x0
	v_add_f64_e32 v[8:9], v[0:1], v[4:5]
	v_add_f64_e32 v[10:11], v[2:3], v[6:7]
	ds_load_b128 v[0:3], v170 offset:2144
	ds_load_b128 v[4:7], v170 offset:3216
	s_wait_dscnt 0x1
	v_add_f64_e32 v[0:1], v[8:9], v[0:1]
	v_add_f64_e32 v[2:3], v[10:11], v[2:3]
	s_wait_dscnt 0x0
	s_delay_alu instid0(VALU_DEP_2) | instskip(NEXT) | instid1(VALU_DEP_2)
	v_add_f64_e32 v[0:1], v[0:1], v[4:5]
	v_add_f64_e32 v[2:3], v[2:3], v[6:7]
	v_lshl_add_u64 v[4:5], v[152:153], 4, s[72:73]
	global_store_b128 v[4:5], v[0:3], off
	s_branch .LBB26_2
.LBB26_120:                             ;   in Loop: Header=BB26_4 Depth=1
	global_load_b128 v[6:9], v[0:1], off
	s_wait_loadcnt 0x0
	ds_store_2addr_b64 v172, v[6:7], v[8:9] offset1:1
	s_wait_xcnt 0x0
	s_or_b32 exec_lo, exec_lo, s23
	s_and_saveexec_b32 s23, s4
	s_delay_alu instid0(SALU_CYCLE_1)
	s_xor_b32 s23, exec_lo, s23
	s_cbranch_execz .LBB26_20
.LBB26_121:                             ;   in Loop: Header=BB26_4 Depth=1
	v_dual_mov_b32 v6, v151 :: v_dual_mov_b32 v7, v151
	v_dual_mov_b32 v8, v151 :: v_dual_mov_b32 v9, v151
	ds_store_b128 v173, v[6:9]
	s_and_not1_saveexec_b32 s23, s23
	s_cbranch_execz .LBB26_21
.LBB26_122:                             ;   in Loop: Header=BB26_4 Depth=1
	v_lshl_add_u64 v[2:3], s[46:47], 4, v[0:1]
	global_load_b128 v[6:9], v[2:3], off
	s_wait_loadcnt 0x0
	ds_store_2addr_b64 v173, v[6:7], v[8:9] offset1:1
	s_wait_xcnt 0x0
	s_or_b32 exec_lo, exec_lo, s23
	s_and_saveexec_b32 s23, s5
	s_delay_alu instid0(SALU_CYCLE_1)
	s_xor_b32 s23, exec_lo, s23
	s_cbranch_execz .LBB26_22
.LBB26_123:                             ;   in Loop: Header=BB26_4 Depth=1
	v_dual_mov_b32 v6, v151 :: v_dual_mov_b32 v7, v151
	v_dual_mov_b32 v8, v151 :: v_dual_mov_b32 v9, v151
	ds_store_b128 v174, v[6:9]
	s_and_not1_saveexec_b32 s23, s23
	s_cbranch_execz .LBB26_23
.LBB26_124:                             ;   in Loop: Header=BB26_4 Depth=1
	v_lshl_add_u64 v[2:3], s[48:49], 4, v[0:1]
	global_load_b128 v[6:9], v[2:3], off
	s_wait_loadcnt 0x0
	ds_store_2addr_b64 v174, v[6:7], v[8:9] offset1:1
	s_wait_xcnt 0x0
	s_or_b32 exec_lo, exec_lo, s23
	s_and_saveexec_b32 s23, s6
	s_delay_alu instid0(SALU_CYCLE_1)
	s_xor_b32 s23, exec_lo, s23
	s_cbranch_execz .LBB26_24
.LBB26_125:                             ;   in Loop: Header=BB26_4 Depth=1
	v_dual_mov_b32 v6, v151 :: v_dual_mov_b32 v7, v151
	v_dual_mov_b32 v8, v151 :: v_dual_mov_b32 v9, v151
	ds_store_b128 v175, v[6:9]
	s_and_not1_saveexec_b32 s23, s23
	s_cbranch_execnz .LBB26_25
	s_branch .LBB26_26
.LBB26_126:                             ;   in Loop: Header=BB26_4 Depth=1
	global_load_b128 v[10:13], v[4:5], off
	s_wait_loadcnt 0x0
	ds_store_2addr_b64 v172, v[10:11], v[12:13] offset1:1
	s_wait_xcnt 0x0
	s_or_b32 exec_lo, exec_lo, s23
	s_and_saveexec_b32 s23, s18
	s_delay_alu instid0(SALU_CYCLE_1)
	s_xor_b32 s23, exec_lo, s23
	s_cbranch_execz .LBB26_60
.LBB26_127:                             ;   in Loop: Header=BB26_4 Depth=1
	v_dual_mov_b32 v10, v151 :: v_dual_mov_b32 v11, v151
	v_dual_mov_b32 v12, v151 :: v_dual_mov_b32 v13, v151
	ds_store_b128 v173, v[10:13]
	s_and_not1_saveexec_b32 s23, s23
	s_cbranch_execz .LBB26_61
.LBB26_128:                             ;   in Loop: Header=BB26_4 Depth=1
	v_lshl_add_u64 v[6:7], s[46:47], 4, v[4:5]
	global_load_b128 v[10:13], v[6:7], off
	s_wait_loadcnt 0x0
	ds_store_2addr_b64 v173, v[10:11], v[12:13] offset1:1
	s_wait_xcnt 0x0
	s_or_b32 exec_lo, exec_lo, s23
	s_and_saveexec_b32 s23, s19
	s_delay_alu instid0(SALU_CYCLE_1)
	s_xor_b32 s23, exec_lo, s23
	s_cbranch_execz .LBB26_62
.LBB26_129:                             ;   in Loop: Header=BB26_4 Depth=1
	v_dual_mov_b32 v10, v151 :: v_dual_mov_b32 v11, v151
	v_dual_mov_b32 v12, v151 :: v_dual_mov_b32 v13, v151
	ds_store_b128 v174, v[10:13]
	s_and_not1_saveexec_b32 s23, s23
	s_cbranch_execz .LBB26_63
.LBB26_130:                             ;   in Loop: Header=BB26_4 Depth=1
	v_lshl_add_u64 v[6:7], s[48:49], 4, v[4:5]
	global_load_b128 v[10:13], v[6:7], off
	s_wait_loadcnt 0x0
	ds_store_2addr_b64 v174, v[10:11], v[12:13] offset1:1
	s_wait_xcnt 0x0
	s_or_b32 exec_lo, exec_lo, s23
	s_and_saveexec_b32 s23, s20
	s_delay_alu instid0(SALU_CYCLE_1)
	s_xor_b32 s23, exec_lo, s23
	s_cbranch_execz .LBB26_64
.LBB26_131:                             ;   in Loop: Header=BB26_4 Depth=1
	v_dual_mov_b32 v10, v151 :: v_dual_mov_b32 v11, v151
	v_dual_mov_b32 v12, v151 :: v_dual_mov_b32 v13, v151
	ds_store_b128 v175, v[10:13]
	s_and_not1_saveexec_b32 s23, s23
	s_cbranch_execnz .LBB26_65
	s_branch .LBB26_66
.LBB26_132:                             ;   in Loop: Header=BB26_4 Depth=1
	global_load_b128 v[6:9], v[4:5], off
	s_wait_loadcnt 0x0
	ds_store_2addr_b64 v172, v[6:7], v[8:9] offset1:1
	s_wait_xcnt 0x0
	s_or_b32 exec_lo, exec_lo, s23
	s_and_saveexec_b32 s23, s4
	s_delay_alu instid0(SALU_CYCLE_1)
	s_xor_b32 s23, exec_lo, s23
	s_cbranch_execz .LBB26_100
.LBB26_133:                             ;   in Loop: Header=BB26_4 Depth=1
	v_dual_mov_b32 v6, v151 :: v_dual_mov_b32 v7, v151
	v_dual_mov_b32 v8, v151 :: v_dual_mov_b32 v9, v151
	ds_store_b128 v173, v[6:9]
	s_and_not1_saveexec_b32 s23, s23
	s_cbranch_execz .LBB26_101
.LBB26_134:                             ;   in Loop: Header=BB26_4 Depth=1
	v_lshl_add_u64 v[6:7], s[46:47], 4, v[4:5]
	global_load_b128 v[6:9], v[6:7], off
	s_wait_loadcnt 0x0
	ds_store_2addr_b64 v173, v[6:7], v[8:9] offset1:1
	s_wait_xcnt 0x0
	s_or_b32 exec_lo, exec_lo, s23
	s_and_saveexec_b32 s23, s5
	s_delay_alu instid0(SALU_CYCLE_1)
	s_xor_b32 s23, exec_lo, s23
	s_cbranch_execz .LBB26_102
.LBB26_135:                             ;   in Loop: Header=BB26_4 Depth=1
	v_dual_mov_b32 v6, v151 :: v_dual_mov_b32 v7, v151
	v_dual_mov_b32 v8, v151 :: v_dual_mov_b32 v9, v151
	ds_store_b128 v174, v[6:9]
	s_and_not1_saveexec_b32 s23, s23
	s_cbranch_execz .LBB26_103
.LBB26_136:                             ;   in Loop: Header=BB26_4 Depth=1
	v_lshl_add_u64 v[6:7], s[48:49], 4, v[4:5]
	global_load_b128 v[6:9], v[6:7], off
	s_wait_loadcnt 0x0
	ds_store_2addr_b64 v174, v[6:7], v[8:9] offset1:1
	s_wait_xcnt 0x0
	s_or_b32 exec_lo, exec_lo, s23
	s_and_saveexec_b32 s23, s6
	s_delay_alu instid0(SALU_CYCLE_1)
	s_xor_b32 s23, exec_lo, s23
	s_cbranch_execz .LBB26_104
.LBB26_137:                             ;   in Loop: Header=BB26_4 Depth=1
	v_dual_mov_b32 v6, v151 :: v_dual_mov_b32 v7, v151
	v_dual_mov_b32 v8, v151 :: v_dual_mov_b32 v9, v151
	ds_store_b128 v175, v[6:9]
	s_and_not1_saveexec_b32 s23, s23
	s_cbranch_execnz .LBB26_105
	s_branch .LBB26_106
.LBB26_138:
	s_sendmsg sendmsg(MSG_DEALLOC_VGPRS)
	s_endpgm
	.section	.rodata,"a",@progbits
	.p2align	6, 0x0
	.amdhsa_kernel _ZL26rocblas_hemvn_kernel_lowerILb1ELi64ELi4ELi33ELi32ELi16EiPK19rocblas_complex_numIdES3_PS1_EviT6_lT7_lT5_lS6_lS7_lS5_lT8_i
		.amdhsa_group_segment_fixed_size 19200
		.amdhsa_private_segment_fixed_size 0
		.amdhsa_kernarg_size 376
		.amdhsa_user_sgpr_count 2
		.amdhsa_user_sgpr_dispatch_ptr 0
		.amdhsa_user_sgpr_queue_ptr 0
		.amdhsa_user_sgpr_kernarg_segment_ptr 1
		.amdhsa_user_sgpr_dispatch_id 0
		.amdhsa_user_sgpr_kernarg_preload_length 0
		.amdhsa_user_sgpr_kernarg_preload_offset 0
		.amdhsa_user_sgpr_private_segment_size 0
		.amdhsa_wavefront_size32 1
		.amdhsa_uses_dynamic_stack 0
		.amdhsa_enable_private_segment 0
		.amdhsa_system_sgpr_workgroup_id_x 1
		.amdhsa_system_sgpr_workgroup_id_y 0
		.amdhsa_system_sgpr_workgroup_id_z 1
		.amdhsa_system_sgpr_workgroup_info 0
		.amdhsa_system_vgpr_workitem_id 1
		.amdhsa_next_free_vgpr 246
		.amdhsa_next_free_sgpr 82
		.amdhsa_named_barrier_count 0
		.amdhsa_reserve_vcc 1
		.amdhsa_float_round_mode_32 0
		.amdhsa_float_round_mode_16_64 0
		.amdhsa_float_denorm_mode_32 3
		.amdhsa_float_denorm_mode_16_64 3
		.amdhsa_fp16_overflow 0
		.amdhsa_memory_ordered 1
		.amdhsa_forward_progress 1
		.amdhsa_inst_pref_size 68
		.amdhsa_round_robin_scheduling 0
		.amdhsa_exception_fp_ieee_invalid_op 0
		.amdhsa_exception_fp_denorm_src 0
		.amdhsa_exception_fp_ieee_div_zero 0
		.amdhsa_exception_fp_ieee_overflow 0
		.amdhsa_exception_fp_ieee_underflow 0
		.amdhsa_exception_fp_ieee_inexact 0
		.amdhsa_exception_int_div_zero 0
	.end_amdhsa_kernel
	.section	.text._ZL26rocblas_hemvn_kernel_lowerILb1ELi64ELi4ELi33ELi32ELi16EiPK19rocblas_complex_numIdES3_PS1_EviT6_lT7_lT5_lS6_lS7_lS5_lT8_i,"axG",@progbits,_ZL26rocblas_hemvn_kernel_lowerILb1ELi64ELi4ELi33ELi32ELi16EiPK19rocblas_complex_numIdES3_PS1_EviT6_lT7_lT5_lS6_lS7_lS5_lT8_i,comdat
.Lfunc_end26:
	.size	_ZL26rocblas_hemvn_kernel_lowerILb1ELi64ELi4ELi33ELi32ELi16EiPK19rocblas_complex_numIdES3_PS1_EviT6_lT7_lT5_lS6_lS7_lS5_lT8_i, .Lfunc_end26-_ZL26rocblas_hemvn_kernel_lowerILb1ELi64ELi4ELi33ELi32ELi16EiPK19rocblas_complex_numIdES3_PS1_EviT6_lT7_lT5_lS6_lS7_lS5_lT8_i
                                        ; -- End function
	.set _ZL26rocblas_hemvn_kernel_lowerILb1ELi64ELi4ELi33ELi32ELi16EiPK19rocblas_complex_numIdES3_PS1_EviT6_lT7_lT5_lS6_lS7_lS5_lT8_i.num_vgpr, 246
	.set _ZL26rocblas_hemvn_kernel_lowerILb1ELi64ELi4ELi33ELi32ELi16EiPK19rocblas_complex_numIdES3_PS1_EviT6_lT7_lT5_lS6_lS7_lS5_lT8_i.num_agpr, 0
	.set _ZL26rocblas_hemvn_kernel_lowerILb1ELi64ELi4ELi33ELi32ELi16EiPK19rocblas_complex_numIdES3_PS1_EviT6_lT7_lT5_lS6_lS7_lS5_lT8_i.numbered_sgpr, 82
	.set _ZL26rocblas_hemvn_kernel_lowerILb1ELi64ELi4ELi33ELi32ELi16EiPK19rocblas_complex_numIdES3_PS1_EviT6_lT7_lT5_lS6_lS7_lS5_lT8_i.num_named_barrier, 0
	.set _ZL26rocblas_hemvn_kernel_lowerILb1ELi64ELi4ELi33ELi32ELi16EiPK19rocblas_complex_numIdES3_PS1_EviT6_lT7_lT5_lS6_lS7_lS5_lT8_i.private_seg_size, 0
	.set _ZL26rocblas_hemvn_kernel_lowerILb1ELi64ELi4ELi33ELi32ELi16EiPK19rocblas_complex_numIdES3_PS1_EviT6_lT7_lT5_lS6_lS7_lS5_lT8_i.uses_vcc, 1
	.set _ZL26rocblas_hemvn_kernel_lowerILb1ELi64ELi4ELi33ELi32ELi16EiPK19rocblas_complex_numIdES3_PS1_EviT6_lT7_lT5_lS6_lS7_lS5_lT8_i.uses_flat_scratch, 0
	.set _ZL26rocblas_hemvn_kernel_lowerILb1ELi64ELi4ELi33ELi32ELi16EiPK19rocblas_complex_numIdES3_PS1_EviT6_lT7_lT5_lS6_lS7_lS5_lT8_i.has_dyn_sized_stack, 0
	.set _ZL26rocblas_hemvn_kernel_lowerILb1ELi64ELi4ELi33ELi32ELi16EiPK19rocblas_complex_numIdES3_PS1_EviT6_lT7_lT5_lS6_lS7_lS5_lT8_i.has_recursion, 0
	.set _ZL26rocblas_hemvn_kernel_lowerILb1ELi64ELi4ELi33ELi32ELi16EiPK19rocblas_complex_numIdES3_PS1_EviT6_lT7_lT5_lS6_lS7_lS5_lT8_i.has_indirect_call, 0
	.section	.AMDGPU.csdata,"",@progbits
; Kernel info:
; codeLenInByte = 8604
; TotalNumSgprs: 84
; NumVgprs: 246
; ScratchSize: 0
; MemoryBound: 0
; FloatMode: 240
; IeeeMode: 1
; LDSByteSize: 19200 bytes/workgroup (compile time only)
; SGPRBlocks: 0
; VGPRBlocks: 15
; NumSGPRsForWavesPerEU: 84
; NumVGPRsForWavesPerEU: 246
; NamedBarCnt: 0
; Occupancy: 4
; WaveLimiterHint : 0
; COMPUTE_PGM_RSRC2:SCRATCH_EN: 0
; COMPUTE_PGM_RSRC2:USER_SGPR: 2
; COMPUTE_PGM_RSRC2:TRAP_HANDLER: 0
; COMPUTE_PGM_RSRC2:TGID_X_EN: 1
; COMPUTE_PGM_RSRC2:TGID_Y_EN: 0
; COMPUTE_PGM_RSRC2:TGID_Z_EN: 1
; COMPUTE_PGM_RSRC2:TIDIG_COMP_CNT: 1
	.section	.text._ZL36rocblas_hemvn_kernel_lower_block_sumILi64EiPK19rocblas_complex_numIdEPS1_S1_EviT1_lS5_lT2_lT0_lPT3_i,"axG",@progbits,_ZL36rocblas_hemvn_kernel_lower_block_sumILi64EiPK19rocblas_complex_numIdEPS1_S1_EviT1_lS5_lT2_lT0_lPT3_i,comdat
	.globl	_ZL36rocblas_hemvn_kernel_lower_block_sumILi64EiPK19rocblas_complex_numIdEPS1_S1_EviT1_lS5_lT2_lT0_lPT3_i ; -- Begin function _ZL36rocblas_hemvn_kernel_lower_block_sumILi64EiPK19rocblas_complex_numIdEPS1_S1_EviT1_lS5_lT2_lT0_lPT3_i
	.p2align	8
	.type	_ZL36rocblas_hemvn_kernel_lower_block_sumILi64EiPK19rocblas_complex_numIdEPS1_S1_EviT1_lS5_lT2_lT0_lPT3_i,@function
_ZL36rocblas_hemvn_kernel_lower_block_sumILi64EiPK19rocblas_complex_numIdEPS1_S1_EviT1_lS5_lT2_lT0_lPT3_i: ; @_ZL36rocblas_hemvn_kernel_lower_block_sumILi64EiPK19rocblas_complex_numIdEPS1_S1_EviT1_lS5_lT2_lT0_lPT3_i
; %bb.0:
	s_load_b32 s3, s[0:1], 0x50
	s_bfe_u32 s2, ttmp6, 0x40014
	s_lshr_b32 s4, ttmp7, 16
	s_add_co_i32 s2, s2, 1
	s_bfe_u32 s6, ttmp6, 0x40008
	s_mul_i32 s5, s4, s2
	s_getreg_b32 s2, hwreg(HW_REG_IB_STS2, 6, 4)
	s_add_co_i32 s6, s6, s5
	s_cmp_eq_u32 s2, 0
	s_mov_b32 s25, 0
	s_cselect_b32 s24, s4, s6
	s_wait_kmcnt 0x0
	s_cmp_ge_u32 s24, s3
	s_cbranch_scc1 .LBB27_26
; %bb.1:
	s_clause 0x1
	s_load_b128 s[16:19], s[0:1], 0x28
	s_load_b32 s20, s[0:1], 0x0
	s_bfe_u32 s4, ttmp6, 0x4000c
	s_and_b32 s5, ttmp6, 15
	s_add_co_i32 s4, s4, 1
	s_clause 0x1
	s_load_b32 s21, s[0:1], 0x38
	s_load_b128 s[12:15], s[0:1], 0x40
	s_mul_i32 s4, ttmp9, s4
	s_delay_alu instid0(SALU_CYCLE_1)
	s_add_co_i32 s5, s5, s4
	s_wait_kmcnt 0x0
	s_lshl_b64 s[18:19], s[18:19], 4
	s_cmp_eq_u32 s2, 0
	s_cselect_b32 s33, ttmp9, s5
	s_load_b256 s[4:11], s[0:1], 0x8
	v_lshl_or_b32 v2, s33, 6, v0
	s_wait_xcnt 0x0
	s_add_nc_u64 s[0:1], s[0:1], 0x58
	s_delay_alu instid0(VALU_DEP_1) | instskip(SKIP_3) | instid1(SALU_CYCLE_1)
	v_mad_u32 v0, s20, s33, v2
	v_mul_lo_u32 v4, s21, v2
	v_cmp_gt_i32_e64 s2, s20, v2
	s_ashr_i32 s21, s20, 31
	s_lshl_b64 s[26:27], s[20:21], 4
	v_ashrrev_i32_e32 v1, 31, v0
	v_ashrrev_i32_e32 v5, 31, v4
	s_delay_alu instid0(VALU_DEP_2) | instskip(SKIP_1) | instid1(VALU_DEP_1)
	v_lshl_add_u64 v[0:1], v[0:1], 4, s[14:15]
	s_add_nc_u64 s[14:15], s[16:17], s[18:19]
	v_add_nc_u64_e32 v[6:7], 8, v[0:1]
	s_branch .LBB27_4
.LBB27_2:                               ;   in Loop: Header=BB27_4 Depth=1
	s_wait_xcnt 0x0
	s_or_b32 exec_lo, exec_lo, s16
.LBB27_3:                               ;   in Loop: Header=BB27_4 Depth=1
	s_add_co_i32 s24, s24, 0x10000
	s_delay_alu instid0(SALU_CYCLE_1)
	s_cmp_lt_u32 s24, s3
	s_cbranch_scc0 .LBB27_26
.LBB27_4:                               ; =>This Loop Header: Depth=1
                                        ;     Child Loop BB27_17 Depth 2
	s_wait_kmcnt 0x0
	s_mul_u64 s[16:17], s[6:7], s[24:25]
	s_delay_alu instid0(SALU_CYCLE_1) | instskip(NEXT) | instid1(SALU_CYCLE_1)
	s_lshl_b64 s[16:17], s[16:17], 4
	s_add_nc_u64 s[16:17], s[4:5], s[16:17]
	s_load_b128 s[20:23], s[16:17], 0x0
	s_wait_xcnt 0x0
	s_mul_u64 s[16:17], s[10:11], s[24:25]
	s_delay_alu instid0(SALU_CYCLE_1) | instskip(NEXT) | instid1(SALU_CYCLE_1)
	s_lshl_b64 s[16:17], s[16:17], 4
	s_add_nc_u64 s[28:29], s[8:9], s[16:17]
	s_load_b128 s[16:19], s[28:29], 0x0
	s_wait_xcnt 0x0
	s_mov_b32 s29, -1
	s_wait_kmcnt 0x0
	v_cmp_neq_f64_e64 s30, s[20:21], 0
	v_cmp_neq_f64_e64 s31, s[22:23], 0
	s_or_b32 s28, s30, s31
	s_delay_alu instid0(SALU_CYCLE_1)
	s_and_b32 vcc_lo, exec_lo, s28
	s_cbranch_vccz .LBB27_6
; %bb.5:                                ;   in Loop: Header=BB27_4 Depth=1
	s_and_not1_b32 vcc_lo, exec_lo, s29
	s_cbranch_vccnz .LBB27_3
	s_branch .LBB27_7
.LBB27_6:                               ;   in Loop: Header=BB27_4 Depth=1
	v_cmp_neq_f64_e64 s29, s[16:17], 1.0
	v_cmp_neq_f64_e64 s30, s[18:19], 0
	s_or_b32 s29, s29, s30
	s_delay_alu instid0(SALU_CYCLE_1)
	s_and_not1_b32 vcc_lo, exec_lo, s29
	s_cbranch_vccnz .LBB27_3
.LBB27_7:                               ;   in Loop: Header=BB27_4 Depth=1
	s_xor_b32 s30, s28, -1
	s_mul_u64 s[28:29], s[12:13], s[24:25]
	s_and_not1_b32 vcc_lo, exec_lo, s30
	s_lshl_b64 s[28:29], s[28:29], 4
	s_delay_alu instid0(SALU_CYCLE_1)
	s_add_nc_u64 s[28:29], s[14:15], s[28:29]
	s_cbranch_vccnz .LBB27_12
; %bb.8:                                ;   in Loop: Header=BB27_4 Depth=1
	s_mov_b32 s30, 0
	s_mov_b32 s34, 0
                                        ; implicit-def: $vgpr2_vgpr3
	s_and_saveexec_b32 s31, s2
	s_cbranch_execz .LBB27_13
; %bb.9:                                ;   in Loop: Header=BB27_4 Depth=1
	v_cmp_neq_f64_e64 s34, s[16:17], 0
	v_cmp_neq_f64_e64 s35, s[18:19], 0
	v_mov_b64_e32 v[2:3], 0
	v_mov_b64_e32 v[0:1], 0
	s_or_b32 s34, s34, s35
	s_delay_alu instid0(SALU_CYCLE_1)
	s_and_not1_b32 vcc_lo, exec_lo, s34
	s_cbranch_vccnz .LBB27_11
; %bb.10:                               ;   in Loop: Header=BB27_4 Depth=1
	v_lshl_add_u64 v[0:1], v[4:5], 4, s[28:29]
	global_load_b128 v[8:11], v[0:1], off
	s_wait_loadcnt 0x0
	s_wait_xcnt 0x0
	v_mul_f64_e32 v[0:1], s[18:19], v[10:11]
	v_mul_f64_e32 v[2:3], s[16:17], v[10:11]
	s_delay_alu instid0(VALU_DEP_2) | instskip(NEXT) | instid1(VALU_DEP_2)
	v_fma_f64 v[0:1], s[16:17], v[8:9], -v[0:1]
	v_fmac_f64_e32 v[2:3], s[18:19], v[8:9]
.LBB27_11:                              ;   in Loop: Header=BB27_4 Depth=1
	s_mov_b32 s34, exec_lo
	s_or_b32 exec_lo, exec_lo, s31
	s_delay_alu instid0(SALU_CYCLE_1)
	s_and_b32 vcc_lo, exec_lo, s30
	s_cbranch_vccnz .LBB27_14
	s_branch .LBB27_24
.LBB27_12:                              ;   in Loop: Header=BB27_4 Depth=1
	s_mov_b32 s34, 0
                                        ; implicit-def: $vgpr2_vgpr3
	s_cbranch_execnz .LBB27_14
	s_branch .LBB27_24
.LBB27_13:                              ;   in Loop: Header=BB27_4 Depth=1
	s_or_b32 exec_lo, exec_lo, s31
	s_delay_alu instid0(SALU_CYCLE_1)
	s_and_b32 vcc_lo, exec_lo, s30
	s_cbranch_vccz .LBB27_24
.LBB27_14:                              ;   in Loop: Header=BB27_4 Depth=1
                                        ; implicit-def: $vgpr2_vgpr3
	s_and_saveexec_b32 s35, s2
	s_cbranch_execz .LBB27_23
; %bb.15:                               ;   in Loop: Header=BB27_4 Depth=1
	s_load_b32 s30, s[0:1], 0x0
	v_mov_b64_e32 v[0:1], 0
	v_mov_b64_e32 v[8:9], 0
	s_wait_kmcnt 0x0
	s_cmp_ge_i32 s33, s30
	s_cbranch_scc1 .LBB27_18
; %bb.16:                               ;   in Loop: Header=BB27_4 Depth=1
	s_mov_b32 s31, s25
	v_mov_b64_e32 v[0:1], 0
	s_mul_u64 s[36:37], s[26:27], s[30:31]
	v_mov_b64_e32 v[8:9], 0
	v_mad_nc_u64_u32 v[2:3], s36, s24, v[6:7]
	s_mov_b32 s31, s33
	s_delay_alu instid0(VALU_DEP_1)
	v_mad_u32 v3, s37, s24, v3
.LBB27_17:                              ;   Parent Loop BB27_4 Depth=1
                                        ; =>  This Inner Loop Header: Depth=2
	global_load_b128 v[10:13], v[2:3], off offset:-8
	s_wait_xcnt 0x0
	v_add_nc_u64_e32 v[2:3], s[26:27], v[2:3]
	s_add_co_i32 s31, s31, 1
	s_delay_alu instid0(SALU_CYCLE_1)
	s_cmp_ge_i32 s31, s30
	s_wait_loadcnt 0x0
	v_add_f64_e32 v[8:9], v[8:9], v[10:11]
	v_add_f64_e32 v[0:1], v[0:1], v[12:13]
	s_cbranch_scc0 .LBB27_17
.LBB27_18:                              ;   in Loop: Header=BB27_4 Depth=1
	s_delay_alu instid0(VALU_DEP_1) | instskip(SKIP_3) | instid1(VALU_DEP_4)
	v_mul_f64_e32 v[10:11], s[22:23], v[0:1]
	v_mul_f64_e32 v[2:3], s[20:21], v[0:1]
	v_cmp_neq_f64_e64 s30, s[16:17], 0
	v_cmp_neq_f64_e64 s31, s[18:19], 0
	v_fma_f64 v[0:1], s[20:21], v[8:9], -v[10:11]
	s_delay_alu instid0(VALU_DEP_4) | instskip(SKIP_1) | instid1(SALU_CYCLE_1)
	v_fmac_f64_e32 v[2:3], s[22:23], v[8:9]
	s_or_b32 s20, s30, s31
	s_and_not1_b32 vcc_lo, exec_lo, s20
	s_mov_b32 s20, -1
	s_cbranch_vccz .LBB27_20
; %bb.19:                               ;   in Loop: Header=BB27_4 Depth=1
	s_mov_b32 s20, 0
.LBB27_20:                              ;   in Loop: Header=BB27_4 Depth=1
	s_delay_alu instid0(SALU_CYCLE_1)
	s_and_not1_b32 vcc_lo, exec_lo, s20
	s_cbranch_vccnz .LBB27_22
; %bb.21:                               ;   in Loop: Header=BB27_4 Depth=1
	v_lshl_add_u64 v[8:9], v[4:5], 4, s[28:29]
	global_load_b128 v[8:11], v[8:9], off
	s_wait_loadcnt 0x0
	v_mul_f64_e32 v[12:13], s[18:19], v[10:11]
	v_mul_f64_e32 v[10:11], s[16:17], v[10:11]
	s_delay_alu instid0(VALU_DEP_2) | instskip(NEXT) | instid1(VALU_DEP_2)
	v_fma_f64 v[12:13], s[16:17], v[8:9], -v[12:13]
	v_fmac_f64_e32 v[10:11], s[18:19], v[8:9]
	s_delay_alu instid0(VALU_DEP_2) | instskip(NEXT) | instid1(VALU_DEP_2)
	v_add_f64_e32 v[0:1], v[0:1], v[12:13]
	v_add_f64_e32 v[2:3], v[2:3], v[10:11]
.LBB27_22:                              ;   in Loop: Header=BB27_4 Depth=1
	s_or_b32 s34, s34, exec_lo
.LBB27_23:                              ;   in Loop: Header=BB27_4 Depth=1
	s_wait_xcnt 0x0
	s_or_b32 exec_lo, exec_lo, s35
.LBB27_24:                              ;   in Loop: Header=BB27_4 Depth=1
	s_and_saveexec_b32 s16, s34
	s_cbranch_execz .LBB27_2
; %bb.25:                               ;   in Loop: Header=BB27_4 Depth=1
	v_lshl_add_u64 v[8:9], v[4:5], 4, s[28:29]
	global_store_b128 v[8:9], v[0:3], off
	s_branch .LBB27_2
.LBB27_26:
	s_endpgm
	.section	.rodata,"a",@progbits
	.p2align	6, 0x0
	.amdhsa_kernel _ZL36rocblas_hemvn_kernel_lower_block_sumILi64EiPK19rocblas_complex_numIdEPS1_S1_EviT1_lS5_lT2_lT0_lPT3_i
		.amdhsa_group_segment_fixed_size 0
		.amdhsa_private_segment_fixed_size 0
		.amdhsa_kernarg_size 344
		.amdhsa_user_sgpr_count 2
		.amdhsa_user_sgpr_dispatch_ptr 0
		.amdhsa_user_sgpr_queue_ptr 0
		.amdhsa_user_sgpr_kernarg_segment_ptr 1
		.amdhsa_user_sgpr_dispatch_id 0
		.amdhsa_user_sgpr_kernarg_preload_length 0
		.amdhsa_user_sgpr_kernarg_preload_offset 0
		.amdhsa_user_sgpr_private_segment_size 0
		.amdhsa_wavefront_size32 1
		.amdhsa_uses_dynamic_stack 0
		.amdhsa_enable_private_segment 0
		.amdhsa_system_sgpr_workgroup_id_x 1
		.amdhsa_system_sgpr_workgroup_id_y 0
		.amdhsa_system_sgpr_workgroup_id_z 1
		.amdhsa_system_sgpr_workgroup_info 0
		.amdhsa_system_vgpr_workitem_id 0
		.amdhsa_next_free_vgpr 14
		.amdhsa_next_free_sgpr 38
		.amdhsa_named_barrier_count 0
		.amdhsa_reserve_vcc 1
		.amdhsa_float_round_mode_32 0
		.amdhsa_float_round_mode_16_64 0
		.amdhsa_float_denorm_mode_32 3
		.amdhsa_float_denorm_mode_16_64 3
		.amdhsa_fp16_overflow 0
		.amdhsa_memory_ordered 1
		.amdhsa_forward_progress 1
		.amdhsa_inst_pref_size 8
		.amdhsa_round_robin_scheduling 0
		.amdhsa_exception_fp_ieee_invalid_op 0
		.amdhsa_exception_fp_denorm_src 0
		.amdhsa_exception_fp_ieee_div_zero 0
		.amdhsa_exception_fp_ieee_overflow 0
		.amdhsa_exception_fp_ieee_underflow 0
		.amdhsa_exception_fp_ieee_inexact 0
		.amdhsa_exception_int_div_zero 0
	.end_amdhsa_kernel
	.section	.text._ZL36rocblas_hemvn_kernel_lower_block_sumILi64EiPK19rocblas_complex_numIdEPS1_S1_EviT1_lS5_lT2_lT0_lPT3_i,"axG",@progbits,_ZL36rocblas_hemvn_kernel_lower_block_sumILi64EiPK19rocblas_complex_numIdEPS1_S1_EviT1_lS5_lT2_lT0_lPT3_i,comdat
.Lfunc_end27:
	.size	_ZL36rocblas_hemvn_kernel_lower_block_sumILi64EiPK19rocblas_complex_numIdEPS1_S1_EviT1_lS5_lT2_lT0_lPT3_i, .Lfunc_end27-_ZL36rocblas_hemvn_kernel_lower_block_sumILi64EiPK19rocblas_complex_numIdEPS1_S1_EviT1_lS5_lT2_lT0_lPT3_i
                                        ; -- End function
	.set _ZL36rocblas_hemvn_kernel_lower_block_sumILi64EiPK19rocblas_complex_numIdEPS1_S1_EviT1_lS5_lT2_lT0_lPT3_i.num_vgpr, 14
	.set _ZL36rocblas_hemvn_kernel_lower_block_sumILi64EiPK19rocblas_complex_numIdEPS1_S1_EviT1_lS5_lT2_lT0_lPT3_i.num_agpr, 0
	.set _ZL36rocblas_hemvn_kernel_lower_block_sumILi64EiPK19rocblas_complex_numIdEPS1_S1_EviT1_lS5_lT2_lT0_lPT3_i.numbered_sgpr, 38
	.set _ZL36rocblas_hemvn_kernel_lower_block_sumILi64EiPK19rocblas_complex_numIdEPS1_S1_EviT1_lS5_lT2_lT0_lPT3_i.num_named_barrier, 0
	.set _ZL36rocblas_hemvn_kernel_lower_block_sumILi64EiPK19rocblas_complex_numIdEPS1_S1_EviT1_lS5_lT2_lT0_lPT3_i.private_seg_size, 0
	.set _ZL36rocblas_hemvn_kernel_lower_block_sumILi64EiPK19rocblas_complex_numIdEPS1_S1_EviT1_lS5_lT2_lT0_lPT3_i.uses_vcc, 1
	.set _ZL36rocblas_hemvn_kernel_lower_block_sumILi64EiPK19rocblas_complex_numIdEPS1_S1_EviT1_lS5_lT2_lT0_lPT3_i.uses_flat_scratch, 0
	.set _ZL36rocblas_hemvn_kernel_lower_block_sumILi64EiPK19rocblas_complex_numIdEPS1_S1_EviT1_lS5_lT2_lT0_lPT3_i.has_dyn_sized_stack, 0
	.set _ZL36rocblas_hemvn_kernel_lower_block_sumILi64EiPK19rocblas_complex_numIdEPS1_S1_EviT1_lS5_lT2_lT0_lPT3_i.has_recursion, 0
	.set _ZL36rocblas_hemvn_kernel_lower_block_sumILi64EiPK19rocblas_complex_numIdEPS1_S1_EviT1_lS5_lT2_lT0_lPT3_i.has_indirect_call, 0
	.section	.AMDGPU.csdata,"",@progbits
; Kernel info:
; codeLenInByte = 916
; TotalNumSgprs: 40
; NumVgprs: 14
; ScratchSize: 0
; MemoryBound: 0
; FloatMode: 240
; IeeeMode: 1
; LDSByteSize: 0 bytes/workgroup (compile time only)
; SGPRBlocks: 0
; VGPRBlocks: 0
; NumSGPRsForWavesPerEU: 40
; NumVGPRsForWavesPerEU: 14
; NamedBarCnt: 0
; Occupancy: 16
; WaveLimiterHint : 0
; COMPUTE_PGM_RSRC2:SCRATCH_EN: 0
; COMPUTE_PGM_RSRC2:USER_SGPR: 2
; COMPUTE_PGM_RSRC2:TRAP_HANDLER: 0
; COMPUTE_PGM_RSRC2:TGID_X_EN: 1
; COMPUTE_PGM_RSRC2:TGID_Y_EN: 0
; COMPUTE_PGM_RSRC2:TGID_Z_EN: 1
; COMPUTE_PGM_RSRC2:TIDIG_COMP_CNT: 0
	.section	.text._ZL26rocblas_hemvn_kernel_lowerILb1ELi64ELi4ELi33ELi32ELi16El19rocblas_complex_numIdEPKS1_PS1_EviT6_lT7_lT5_lS6_lS7_lS5_lT8_i,"axG",@progbits,_ZL26rocblas_hemvn_kernel_lowerILb1ELi64ELi4ELi33ELi32ELi16El19rocblas_complex_numIdEPKS1_PS1_EviT6_lT7_lT5_lS6_lS7_lS5_lT8_i,comdat
	.globl	_ZL26rocblas_hemvn_kernel_lowerILb1ELi64ELi4ELi33ELi32ELi16El19rocblas_complex_numIdEPKS1_PS1_EviT6_lT7_lT5_lS6_lS7_lS5_lT8_i ; -- Begin function _ZL26rocblas_hemvn_kernel_lowerILb1ELi64ELi4ELi33ELi32ELi16El19rocblas_complex_numIdEPKS1_PS1_EviT6_lT7_lT5_lS6_lS7_lS5_lT8_i
	.p2align	8
	.type	_ZL26rocblas_hemvn_kernel_lowerILb1ELi64ELi4ELi33ELi32ELi16El19rocblas_complex_numIdEPKS1_PS1_EviT6_lT7_lT5_lS6_lS7_lS5_lT8_i,@function
_ZL26rocblas_hemvn_kernel_lowerILb1ELi64ELi4ELi33ELi32ELi16El19rocblas_complex_numIdEPKS1_PS1_EviT6_lT7_lT5_lS6_lS7_lS5_lT8_i: ; @_ZL26rocblas_hemvn_kernel_lowerILb1ELi64ELi4ELi33ELi32ELi16El19rocblas_complex_numIdEPKS1_PS1_EviT6_lT7_lT5_lS6_lS7_lS5_lT8_i
; %bb.0:
	s_clause 0x1
	s_load_b64 s[2:3], s[0:1], 0x94
	s_load_b32 s33, s[0:1], 0x80
	s_bfe_u32 s4, ttmp6, 0x40014
	s_lshr_b32 s5, ttmp7, 16
	s_add_co_i32 s4, s4, 1
	s_bfe_u32 s6, ttmp6, 0x40008
	s_mul_i32 s4, s5, s4
	s_getreg_b32 s14, hwreg(HW_REG_IB_STS2, 6, 4)
	s_add_co_i32 s6, s6, s4
	s_mov_b32 s27, 0
	s_wait_kmcnt 0x0
	s_lshr_b32 s4, s2, 16
	s_and_b32 s2, s2, 0xffff
	s_and_b32 s3, s3, 0xffff
	s_mul_i32 s2, s4, s2
	s_cmp_eq_u32 s14, 0
	s_mul_i32 s2, s2, s3
	s_cselect_b32 s24, s5, s6
	s_cmp_lg_u32 s2, 0x100
	s_cselect_b32 s2, -1, 0
	s_cmp_ge_u32 s24, s33
	s_cselect_b32 s3, -1, 0
	s_delay_alu instid0(SALU_CYCLE_1) | instskip(NEXT) | instid1(SALU_CYCLE_1)
	s_or_b32 s2, s2, s3
	s_and_b32 vcc_lo, exec_lo, s2
	s_cbranch_vccnz .LBB28_136
; %bb.1:
	s_clause 0x1
	s_load_b128 s[4:7], s[0:1], 0x8
	s_load_b32 s2, s[0:1], 0x0
	s_bfe_u32 s15, ttmp6, 0x4000c
	s_add_nc_u64 s[16:17], s[0:1], 0x88
	s_add_co_i32 s15, s15, 1
	s_clause 0x2
	s_load_b512 s[36:51], s[0:1], 0x20
	s_load_b64 s[12:13], s[0:1], 0x78
	s_load_b128 s[8:11], s[0:1], 0x60
	v_bfe_u32 v1, v0, 10, 10
	s_load_b32 s26, s[16:17], 0x0
	s_wait_xcnt 0x0
	s_mul_i32 s1, ttmp9, s15
	v_and_b32_e32 v148, 0x3ff, v0
	s_and_b32 s3, ttmp6, 15
	v_lshlrev_b32_e32 v8, 6, v1
	s_add_co_i32 s1, s3, s1
	v_dual_mov_b32 v151, 0 :: v_dual_bitop2_b32 v150, 31, v0 bitop3:0x40
	s_delay_alu instid0(VALU_DEP_2) | instskip(SKIP_1) | instid1(VALU_DEP_3)
	v_dual_lshlrev_b32 v149, 4, v148 :: v_dual_add_nc_u32 v9, v8, v148
	v_cmp_eq_u32_e64 s0, 0, v1
	v_lshlrev_b32_e32 v10, 4, v150
	s_wait_kmcnt 0x0
	v_cmp_neq_f64_e64 s15, s[4:5], 0
	v_cmp_neq_f64_e64 s16, s[6:7], 0
	s_ashr_i32 s3, s2, 31
	s_cmp_eq_u32 s14, 0
	v_lshl_or_b32 v12, v150, 9, v10
	s_cselect_b32 s68, ttmp9, s1
	v_cmp_neq_f64_e64 s25, s[8:9], 1.0
	s_lshl_b32 s22, s68, 6
	s_delay_alu instid0(SALU_CYCLE_1) | instskip(SKIP_3) | instid1(VALU_DEP_1)
	v_dual_lshrrev_b32 v11, 5, v9 :: v_dual_add_nc_u32 v152, s22, v148
	s_mul_u64 s[30:31], s[26:27], s[2:3]
	s_lshr_b32 s3, s3, 26
	s_add_co_i32 s1, s26, -1
	v_mad_nc_u64_u32 v[2:3], s40, v11, v[150:151]
	v_ashrrev_i32_e32 v153, 31, v152
	s_add_co_i32 s3, s2, s3
	s_lshl_b64 s[4:5], s[46:47], 4
	s_and_not1_b32 s3, s3, 63
	s_lshl_b64 s[6:7], s[38:39], 4
	v_mul_u64_e32 v[4:5], s[48:49], v[152:153]
	s_mul_i32 s8, s2, s68
	s_sub_co_i32 s2, s2, s3
	s_add_nc_u64 s[6:7], s[36:37], s[6:7]
	s_add_nc_u64 s[4:5], s[44:45], s[4:5]
	v_mad_u32 v3, s41, v11, v3
	v_add_nc_u32_e32 v168, 0x4700, v149
	v_cmp_neq_f64_e64 s58, s[10:11], 0
	v_mul_u32_u24_e32 v16, 33, v150
	v_mad_u32_u24 v169, 0x210, v11, v10
	v_mul_u32_u24_e32 v15, 0x840, v11
	v_cmp_eq_u32_e64 s21, 1, v11
	v_sub_nc_u64_e32 v[158:159], 0, v[150:151]
	v_mad_u32_u24 v173, 0x210, v150, v10
	s_or_b32 s26, s15, s16
	s_cmp_eq_u32 s68, s1
	v_sub_nc_u64_e32 v[160:161], 0, v[2:3]
	s_cselect_b32 s34, s2, 0
	v_add_nc_u32_e32 v170, 0x1080, v169
	s_cmp_eq_u32 s34, 0
	v_cmp_le_i32_e32 vcc_lo, s34, v148
	s_cselect_b32 s69, -1, 0
	s_cmp_lg_u32 s34, 0
	v_add_nc_u32_e32 v171, 0x2100, v169
	s_cselect_b32 s1, -1, 0
	s_ashr_i32 s23, s22, 31
	s_ashr_i32 s9, s8, 31
	s_lshl_b64 s[2:3], s[22:23], 4
	s_mul_u64 s[56:57], s[40:41], s[22:23]
	s_add_nc_u64 s[2:3], s[6:7], s[2:3]
	s_sub_co_i32 s20, s34, 32
	v_lshl_add_u64 v[6:7], v[2:3], 4, s[2:3]
	s_lshl_b64 s[2:3], s[8:9], 4
	v_lshlrev_b32_e32 v13, 6, v11
	v_lshl_add_u64 v[154:155], v[4:5], 4, s[4:5]
	v_add_nc_u32_e32 v4, 8, v11
	v_lshl_add_u64 v[156:157], s[56:57], 4, v[6:7]
	v_dual_lshlrev_b32 v7, 2, v11 :: v_dual_add_nc_u32 v5, 16, v11
	v_dual_add_nc_u32 v6, 24, v11 :: v_dual_add_nc_u32 v174, v12, v13
	s_add_nc_u64 s[44:45], s[12:13], s[2:3]
	s_delay_alu instid0(VALU_DEP_2)
	v_cmp_ge_u32_e64 s7, v7, v150
	v_or_b32_e32 v14, 1, v7
	v_cmp_eq_u32_e64 s8, v7, v150
	v_dual_add_nc_u32 v175, 16, v174 :: v_dual_bitop2_b32 v12, 2, v7 bitop3:0x54
	v_dual_add_nc_u32 v176, 32, v174 :: v_dual_bitop2_b32 v7, 3, v7 bitop3:0x54
	v_cmp_le_i32_e64 s4, s34, v4
	v_cmp_le_i32_e64 s5, s34, v5
	;; [unrolled: 1-line block ×3, first 2 shown]
	s_delay_alu instid0(VALU_DEP_4)
	v_cmp_ge_u32_e64 s13, v7, v150
	v_cmp_eq_u32_e64 s14, v7, v150
	v_dual_lshlrev_b32 v4, 2, v1 :: v_dual_bitop2_b32 v7, 32, v150 bitop3:0x54
	v_cmp_le_i32_e64 s19, s20, v5
	v_mov_b32_e32 v5, v151
	v_cmp_ge_u32_e64 s11, v12, v150
	v_cmp_eq_u32_e64 s12, v12, v150
	v_dual_lshlrev_b32 v12, 4, v11 :: v_dual_lshlrev_b32 v177, 4, v16
	s_delay_alu instid0(VALU_DEP_4) | instskip(SKIP_2) | instid1(VALU_DEP_4)
	v_mul_u64_e32 v[162:163], s[40:41], v[4:5]
	v_add_nc_u32_e32 v178, 48, v174
	v_cmp_gt_i32_e64 s16, s34, v7
	v_dual_lshrrev_b32 v7, 4, v9 :: v_dual_add_nc_u32 v180, v177, v12
	v_cmp_le_i32_e64 s3, s34, v11
	v_cmp_le_i32_e64 s6, s34, v6
	v_cmp_le_i32_e64 s17, s20, v11
	v_cmp_le_i32_e64 s20, s20, v6
	v_mul_i32_i24_e32 v6, 0xffffffd0, v11
	v_mad_u32_u24 v181, v11, 48, v180
	v_and_b32_e32 v11, 15, v0
	v_dual_lshlrev_b32 v2, 6, v7 :: v_dual_bitop2_b32 v0, 48, v0 bitop3:0x40
	v_cmp_ge_u32_e64 s9, v14, v150
	v_cmp_eq_u32_e64 s10, v14, v150
	v_mul_u32_u24_e32 v14, 0x210, v14
	v_add_nc_u32_e32 v179, 0x4700, v13
	v_dual_lshlrev_b32 v0, 4, v0 :: v_dual_add_nc_u32 v191, v10, v15
	v_or_b32_e32 v3, 0xf0, v149
	v_mad_u32_u24 v185, 0x430, v11, v2
	v_mul_i32_i24_e32 v2, 0xffffffd0, v7
	s_and_b32 s1, s1, vcc_lo
	s_lshl_b64 s[36:37], s[40:41], 7
	s_lshl_b64 s[38:39], s[40:41], 8
	s_ashr_i32 s35, s34, 31
	s_lshl_b64 s[46:47], s[40:41], 5
	s_xor_b32 s59, s1, -1
	s_mul_u64 s[22:23], s[48:49], s[22:23]
	s_cmp_gt_i32 s68, 0
	v_add_nc_u32_e32 v172, 0x3180, v169
	v_cmp_gt_i32_e64 s2, s34, v150
	v_cmp_gt_u32_e64 s15, 32, v9
	s_sub_nc_u64 s[54:55], 0, s[22:23]
	v_add_nc_u32_e32 v182, 0x4300, v149
	v_add_nc_u32_e32 v183, 0x4300, v8
	v_mad_u32_u24 v184, 0x10c0, v1, v149
	v_cmp_gt_u32_e64 s22, 64, v9
	v_mad_u32_u24 v186, 0x430, v11, v0
	v_mad_u32_u24 v187, 0x430, v11, v3
	;; [unrolled: 1-line block ×3, first 2 shown]
	v_cndmask_b32_e64 v189, 0, 1, s26
	v_add_nc_u32_e32 v190, 0x4700, v12
	v_add_nc_u32_e32 v192, v10, v14
	;; [unrolled: 1-line block ×4, first 2 shown]
	v_lshlrev_b32_e32 v150, 4, v150
	s_cselect_b32 s23, -1, 0
	s_or_b32 s25, s26, s25
	s_mul_u64 s[28:29], s[40:41], 0x180
	s_sub_nc_u64 s[52:53], 0, s[46:47]
	s_sub_nc_u64 s[56:57], 0, s[56:57]
	s_and_b32 s70, s0, s59
	s_or_b32 s71, s25, s58
	s_mov_b64 s[58:59], 0xfffffffffffffdf0
	s_mov_b64 s[60:61], 0xfffffffffffffe00
	s_sub_nc_u64 s[62:63], 0, s[34:35]
	s_lshl_b64 s[64:65], s[40:41], 4
	s_mul_u64 s[40:41], s[40:41], 0xd0
	s_branch .LBB28_4
.LBB28_2:                               ;   in Loop: Header=BB28_4 Depth=1
	s_wait_xcnt 0x0
	s_or_b32 exec_lo, exec_lo, s25
.LBB28_3:                               ;   in Loop: Header=BB28_4 Depth=1
	s_add_co_i32 s24, s24, 0x10000
	s_delay_alu instid0(SALU_CYCLE_1)
	s_cmp_lt_u32 s24, s33
	s_cbranch_scc0 .LBB28_136
.LBB28_4:                               ; =>This Loop Header: Depth=1
                                        ;     Child Loop BB28_112 Depth 2
	s_and_not1_b32 vcc_lo, exec_lo, s71
	s_cbranch_vccnz .LBB28_3
; %bb.5:                                ;   in Loop: Header=BB28_4 Depth=1
	v_cmp_ne_u32_e32 vcc_lo, 1, v189
	s_cbranch_vccnz .LBB28_3
; %bb.6:                                ;   in Loop: Header=BB28_4 Depth=1
	s_mov_b32 s25, s27
	s_delay_alu instid0(SALU_CYCLE_1) | instskip(NEXT) | instid1(SALU_CYCLE_1)
	s_mul_u64 s[66:67], s[50:51], s[24:25]
	v_lshl_add_u64 v[36:37], s[66:67], 4, v[154:155]
	s_and_saveexec_b32 s26, s0
	s_cbranch_execz .LBB28_11
; %bb.7:                                ;   in Loop: Header=BB28_4 Depth=1
	s_and_saveexec_b32 s66, s1
	s_delay_alu instid0(SALU_CYCLE_1)
	s_xor_b32 s66, exec_lo, s66
; %bb.8:                                ;   in Loop: Header=BB28_4 Depth=1
	v_dual_mov_b32 v0, v151 :: v_dual_mov_b32 v1, v151
	v_dual_mov_b32 v2, v151 :: v_dual_mov_b32 v3, v151
	ds_store_b128 v168, v[0:3]
; %bb.9:                                ;   in Loop: Header=BB28_4 Depth=1
	s_and_not1_saveexec_b32 s66, s66
	s_cbranch_execz .LBB28_11
; %bb.10:                               ;   in Loop: Header=BB28_4 Depth=1
	global_load_b128 v[0:3], v[36:37], off
	s_wait_loadcnt 0x0
	ds_store_2addr_b64 v168, v[0:1], v[2:3] offset1:1
.LBB28_11:                              ;   in Loop: Header=BB28_4 Depth=1
	s_wait_xcnt 0x0
	s_or_b32 exec_lo, exec_lo, s26
	s_mul_u64 s[66:67], s[42:43], s[24:25]
	s_and_not1_b32 vcc_lo, exec_lo, s69
	v_lshl_add_u64 v[4:5], s[66:67], 4, v[156:157]
	s_mov_b32 s26, -1
	s_cbranch_vccnz .LBB28_13
; %bb.12:                               ;   in Loop: Header=BB28_4 Depth=1
	s_delay_alu instid0(VALU_DEP_1) | instskip(SKIP_1) | instid1(VALU_DEP_1)
	v_add_nc_u64_e32 v[6:7], s[36:37], v[4:5]
	s_mov_b32 s26, 0
	v_add_nc_u64_e32 v[10:11], s[36:37], v[6:7]
	s_delay_alu instid0(VALU_DEP_1)
	v_add_nc_u64_e32 v[14:15], s[36:37], v[10:11]
	s_clause 0x3
	global_load_b128 v[0:3], v[4:5], off
	global_load_b128 v[6:9], v[6:7], off
	;; [unrolled: 1-line block ×4, first 2 shown]
	s_wait_loadcnt 0x3
	ds_store_2addr_b64 v169, v[0:1], v[2:3] offset1:1
	s_wait_loadcnt 0x2
	ds_store_2addr_b64 v170, v[6:7], v[8:9] offset1:1
	;; [unrolled: 2-line block ×4, first 2 shown]
.LBB28_13:                              ;   in Loop: Header=BB28_4 Depth=1
	s_and_not1_b32 vcc_lo, exec_lo, s26
	s_cbranch_vccnz .LBB28_25
; %bb.14:                               ;   in Loop: Header=BB28_4 Depth=1
	s_wait_xcnt 0x0
	s_and_saveexec_b32 s26, s3
	s_delay_alu instid0(SALU_CYCLE_1)
	s_xor_b32 s26, exec_lo, s26
; %bb.15:                               ;   in Loop: Header=BB28_4 Depth=1
	v_dual_mov_b32 v0, v151 :: v_dual_mov_b32 v1, v151
	v_dual_mov_b32 v2, v151 :: v_dual_mov_b32 v3, v151
	ds_store_b128 v169, v[0:3]
; %bb.16:                               ;   in Loop: Header=BB28_4 Depth=1
	s_or_saveexec_b32 s26, s26
	v_lshl_add_u64 v[0:1], v[158:159], 4, v[4:5]
	s_delay_alu instid0(VALU_DEP_1) | instskip(NEXT) | instid1(VALU_DEP_1)
	v_lshl_add_u64 v[0:1], s[34:35], 4, v[0:1]
	v_add_nc_u64_e32 v[0:1], -16, v[0:1]
	s_delay_alu instid0(VALU_DEP_1)
	v_dual_cndmask_b32 v1, v1, v5, s2 :: v_dual_cndmask_b32 v0, v0, v4, s2
	s_xor_b32 exec_lo, exec_lo, s26
	s_cbranch_execnz .LBB28_118
; %bb.17:                               ;   in Loop: Header=BB28_4 Depth=1
	s_or_b32 exec_lo, exec_lo, s26
	s_and_saveexec_b32 s26, s4
	s_delay_alu instid0(SALU_CYCLE_1)
	s_xor_b32 s26, exec_lo, s26
	s_cbranch_execnz .LBB28_119
.LBB28_18:                              ;   in Loop: Header=BB28_4 Depth=1
	s_and_not1_saveexec_b32 s26, s26
	s_cbranch_execnz .LBB28_120
.LBB28_19:                              ;   in Loop: Header=BB28_4 Depth=1
	s_or_b32 exec_lo, exec_lo, s26
	s_and_saveexec_b32 s26, s5
	s_delay_alu instid0(SALU_CYCLE_1)
	s_xor_b32 s26, exec_lo, s26
	s_cbranch_execnz .LBB28_121
.LBB28_20:                              ;   in Loop: Header=BB28_4 Depth=1
	s_and_not1_saveexec_b32 s26, s26
	s_cbranch_execnz .LBB28_122
.LBB28_21:                              ;   in Loop: Header=BB28_4 Depth=1
	s_or_b32 exec_lo, exec_lo, s26
	s_and_saveexec_b32 s26, s6
	s_delay_alu instid0(SALU_CYCLE_1)
	s_xor_b32 s26, exec_lo, s26
	s_cbranch_execnz .LBB28_123
.LBB28_22:                              ;   in Loop: Header=BB28_4 Depth=1
	s_and_not1_saveexec_b32 s26, s26
	s_cbranch_execz .LBB28_24
.LBB28_23:                              ;   in Loop: Header=BB28_4 Depth=1
	v_add_nc_u64_e32 v[2:3], s[28:29], v[0:1]
	global_load_b128 v[6:9], v[2:3], off
	s_wait_loadcnt 0x0
	ds_store_2addr_b64 v172, v[6:7], v[8:9] offset1:1
.LBB28_24:                              ;   in Loop: Header=BB28_4 Depth=1
	s_wait_xcnt 0x0
	s_or_b32 exec_lo, exec_lo, s26
	v_add_nc_u64_e32 v[0:1], v[0:1], v[150:151]
	s_delay_alu instid0(VALU_DEP_1) | instskip(NEXT) | instid1(VALU_DEP_1)
	v_lshl_add_u64 v[0:1], s[62:63], 4, v[0:1]
	v_add_nc_u64_e32 v[0:1], 16, v[0:1]
	s_delay_alu instid0(VALU_DEP_1)
	v_dual_cndmask_b32 v5, v1, v5, s2 :: v_dual_cndmask_b32 v4, v0, v4, s2
.LBB28_25:                              ;   in Loop: Header=BB28_4 Depth=1
	s_mov_b32 s26, 0
	s_wait_dscnt 0x0
	s_barrier_signal -1
	s_barrier_wait -1
	s_wait_xcnt 0x0
	s_and_saveexec_b32 s66, s7
	s_delay_alu instid0(SALU_CYCLE_1)
	s_xor_b32 s66, exec_lo, s66
; %bb.26:                               ;   in Loop: Header=BB28_4 Depth=1
	s_and_b32 s26, s8, exec_lo
; %bb.27:                               ;   in Loop: Header=BB28_4 Depth=1
	s_or_saveexec_b32 s66, s66
	v_mov_b64_e32 v[2:3], 0
	v_mov_b32_e32 v6, v173
	s_xor_b32 exec_lo, exec_lo, s66
	s_cbranch_execz .LBB28_29
; %bb.28:                               ;   in Loop: Header=BB28_4 Depth=1
	ds_load_b128 v[0:3], v191
	v_mov_b32_e32 v6, v174
	s_or_b32 s26, s26, exec_lo
	s_wait_dscnt 0x0
	v_xor_b32_e32 v3, 0x80000000, v3
	ds_store_b64 v174, v[0:1]
.LBB28_29:                              ;   in Loop: Header=BB28_4 Depth=1
	s_or_b32 exec_lo, exec_lo, s66
	s_and_saveexec_b32 s66, s26
; %bb.30:                               ;   in Loop: Header=BB28_4 Depth=1
	ds_store_b64 v6, v[2:3] offset:8
; %bb.31:                               ;   in Loop: Header=BB28_4 Depth=1
	s_or_b32 exec_lo, exec_lo, s66
	s_mov_b32 s26, 0
	s_and_saveexec_b32 s66, s9
	s_delay_alu instid0(SALU_CYCLE_1)
	s_xor_b32 s66, exec_lo, s66
; %bb.32:                               ;   in Loop: Header=BB28_4 Depth=1
	s_and_b32 s26, s10, exec_lo
; %bb.33:                               ;   in Loop: Header=BB28_4 Depth=1
	s_or_saveexec_b32 s66, s66
	v_mov_b64_e32 v[2:3], 0
	v_mov_b32_e32 v6, v173
	s_xor_b32 exec_lo, exec_lo, s66
	s_cbranch_execz .LBB28_35
; %bb.34:                               ;   in Loop: Header=BB28_4 Depth=1
	ds_load_b128 v[0:3], v192
	v_mov_b32_e32 v6, v175
	s_or_b32 s26, s26, exec_lo
	s_wait_dscnt 0x0
	v_xor_b32_e32 v3, 0x80000000, v3
	ds_store_b64 v175, v[0:1]
.LBB28_35:                              ;   in Loop: Header=BB28_4 Depth=1
	s_or_b32 exec_lo, exec_lo, s66
	s_and_saveexec_b32 s66, s26
; %bb.36:                               ;   in Loop: Header=BB28_4 Depth=1
	ds_store_b64 v6, v[2:3] offset:8
; %bb.37:                               ;   in Loop: Header=BB28_4 Depth=1
	s_or_b32 exec_lo, exec_lo, s66
	s_mov_b32 s26, 0
	s_and_saveexec_b32 s66, s11
	s_delay_alu instid0(SALU_CYCLE_1)
	s_xor_b32 s66, exec_lo, s66
; %bb.38:                               ;   in Loop: Header=BB28_4 Depth=1
	s_and_b32 s26, s12, exec_lo
; %bb.39:                               ;   in Loop: Header=BB28_4 Depth=1
	s_or_saveexec_b32 s66, s66
	v_mov_b64_e32 v[2:3], 0
	v_mov_b32_e32 v6, v173
	s_xor_b32 exec_lo, exec_lo, s66
	s_cbranch_execz .LBB28_41
; %bb.40:                               ;   in Loop: Header=BB28_4 Depth=1
	ds_load_b128 v[0:3], v192 offset:528
	v_mov_b32_e32 v6, v176
	s_or_b32 s26, s26, exec_lo
	s_wait_dscnt 0x0
	v_xor_b32_e32 v3, 0x80000000, v3
	ds_store_b64 v176, v[0:1]
.LBB28_41:                              ;   in Loop: Header=BB28_4 Depth=1
	s_or_b32 exec_lo, exec_lo, s66
	s_and_saveexec_b32 s66, s26
; %bb.42:                               ;   in Loop: Header=BB28_4 Depth=1
	ds_store_b64 v6, v[2:3] offset:8
; %bb.43:                               ;   in Loop: Header=BB28_4 Depth=1
	s_or_b32 exec_lo, exec_lo, s66
	s_mov_b32 s26, 0
	s_and_saveexec_b32 s66, s13
	s_delay_alu instid0(SALU_CYCLE_1)
	s_xor_b32 s66, exec_lo, s66
; %bb.44:                               ;   in Loop: Header=BB28_4 Depth=1
	s_and_b32 s26, s14, exec_lo
; %bb.45:                               ;   in Loop: Header=BB28_4 Depth=1
	s_or_saveexec_b32 s66, s66
	v_mov_b64_e32 v[2:3], 0
	v_mov_b32_e32 v6, v173
	s_xor_b32 exec_lo, exec_lo, s66
	s_cbranch_execz .LBB28_47
; %bb.46:                               ;   in Loop: Header=BB28_4 Depth=1
	ds_load_b128 v[0:3], v192 offset:1056
	v_mov_b32_e32 v6, v178
	s_or_b32 s26, s26, exec_lo
	s_wait_dscnt 0x0
	v_xor_b32_e32 v3, 0x80000000, v3
	ds_store_b64 v178, v[0:1]
.LBB28_47:                              ;   in Loop: Header=BB28_4 Depth=1
	s_or_b32 exec_lo, exec_lo, s66
	s_and_saveexec_b32 s66, s26
; %bb.48:                               ;   in Loop: Header=BB28_4 Depth=1
	ds_store_b64 v6, v[2:3] offset:8
; %bb.49:                               ;   in Loop: Header=BB28_4 Depth=1
	s_or_b32 exec_lo, exec_lo, s66
	s_wait_dscnt 0x0
	s_barrier_signal -1
	s_barrier_wait -1
	ds_load_b128 v[0:3], v191
	ds_load_b128 v[6:9], v179
	ds_load_b128 v[10:13], v179 offset:16
	ds_load_b128 v[14:17], v192
	s_wait_dscnt 0x2
	v_mul_f64_e32 v[18:19], v[8:9], v[2:3]
	v_mul_f64_e32 v[24:25], v[6:7], v[2:3]
	s_wait_dscnt 0x0
	v_mul_f64_e32 v[26:27], v[12:13], v[16:17]
	v_mul_f64_e32 v[28:29], v[10:11], v[16:17]
	s_delay_alu instid0(VALU_DEP_4) | instskip(NEXT) | instid1(VALU_DEP_4)
	v_fma_f64 v[30:31], v[6:7], v[0:1], -v[18:19]
	v_fmac_f64_e32 v[24:25], v[8:9], v[0:1]
	ds_load_b128 v[0:3], v192 offset:528
	ds_load_b128 v[6:9], v179 offset:32
	;; [unrolled: 1-line block ×4, first 2 shown]
	v_fma_f64 v[10:11], v[10:11], v[14:15], -v[26:27]
	v_fmac_f64_e32 v[28:29], v[12:13], v[14:15]
	s_wait_dscnt 0x0
	s_barrier_signal -1
	s_barrier_wait -1
	v_mul_f64_e32 v[32:33], v[8:9], v[2:3]
	v_mul_f64_e32 v[2:3], v[6:7], v[2:3]
	v_add_f64_e32 v[12:13], 0, v[30:31]
	v_add_f64_e32 v[14:15], 0, v[24:25]
	v_mul_f64_e32 v[24:25], v[18:19], v[22:23]
	v_mul_f64_e32 v[22:23], v[16:17], v[22:23]
	v_fma_f64 v[6:7], v[6:7], v[0:1], -v[32:33]
	v_fmac_f64_e32 v[2:3], v[8:9], v[0:1]
	v_add_f64_e32 v[0:1], v[12:13], v[10:11]
	v_add_f64_e32 v[8:9], v[14:15], v[28:29]
	v_fma_f64 v[10:11], v[16:17], v[20:21], -v[24:25]
	v_fmac_f64_e32 v[22:23], v[18:19], v[20:21]
	s_delay_alu instid0(VALU_DEP_4) | instskip(NEXT) | instid1(VALU_DEP_4)
	v_add_f64_e32 v[0:1], v[0:1], v[6:7]
	v_add_f64_e32 v[2:3], v[8:9], v[2:3]
	s_delay_alu instid0(VALU_DEP_2) | instskip(NEXT) | instid1(VALU_DEP_2)
	v_add_f64_e32 v[6:7], v[0:1], v[10:11]
	v_add_f64_e32 v[8:9], v[2:3], v[22:23]
	v_mov_b64_e32 v[0:1], 0
	v_mov_b64_e32 v[2:3], 0
	ds_store_b128 v180, v[6:9]
	s_wait_dscnt 0x0
	s_barrier_signal -1
	s_barrier_wait -1
	s_and_saveexec_b32 s26, s15
	s_cbranch_execz .LBB28_51
; %bb.50:                               ;   in Loop: Header=BB28_4 Depth=1
	ds_load_b128 v[0:3], v177
	ds_load_b128 v[6:9], v177 offset:16
	s_wait_dscnt 0x0
	v_add_f64_e32 v[10:11], v[6:7], v[0:1]
	v_add_f64_e32 v[12:13], v[8:9], v[2:3]
	ds_load_b128 v[0:3], v177 offset:32
	ds_load_b128 v[6:9], v177 offset:48
	s_wait_dscnt 0x1
	v_add_f64_e32 v[0:1], v[10:11], v[0:1]
	v_add_f64_e32 v[2:3], v[12:13], v[2:3]
	s_wait_dscnt 0x0
	s_delay_alu instid0(VALU_DEP_2) | instskip(NEXT) | instid1(VALU_DEP_2)
	v_add_f64_e32 v[10:11], v[0:1], v[6:7]
	v_add_f64_e32 v[12:13], v[2:3], v[8:9]
	ds_load_b128 v[0:3], v177 offset:64
	ds_load_b128 v[6:9], v177 offset:80
	s_wait_dscnt 0x1
	v_add_f64_e32 v[0:1], v[10:11], v[0:1]
	v_add_f64_e32 v[2:3], v[12:13], v[2:3]
	s_wait_dscnt 0x0
	s_delay_alu instid0(VALU_DEP_2) | instskip(NEXT) | instid1(VALU_DEP_2)
	;; [unrolled: 9-line block ×3, first 2 shown]
	v_add_f64_e32 v[0:1], v[0:1], v[6:7]
	v_add_f64_e32 v[2:3], v[2:3], v[8:9]
.LBB28_51:                              ;   in Loop: Header=BB28_4 Depth=1
	s_or_b32 exec_lo, exec_lo, s26
	v_lshl_add_u64 v[4:5], s[46:47], 4, v[4:5]
	s_and_not1_b32 vcc_lo, exec_lo, s69
	s_mov_b32 s26, -1
	s_barrier_signal -1
	s_delay_alu instid0(VALU_DEP_1)
	v_add_nc_u64_e32 v[8:9], 0x200, v[4:5]
	s_barrier_wait -1
	s_cbranch_vccnz .LBB28_53
; %bb.52:                               ;   in Loop: Header=BB28_4 Depth=1
	v_add_nc_u64_e32 v[6:7], s[36:37], v[4:5]
	s_mov_b32 s26, 0
	s_delay_alu instid0(VALU_DEP_1) | instskip(NEXT) | instid1(VALU_DEP_1)
	v_add_nc_u64_e32 v[18:19], s[36:37], v[6:7]
	v_add_nc_u64_e32 v[22:23], s[36:37], v[18:19]
	s_clause 0x3
	global_load_b128 v[10:13], v[8:9], off
	global_load_b128 v[14:17], v[6:7], off offset:512
	global_load_b128 v[18:21], v[18:19], off offset:512
	;; [unrolled: 1-line block ×3, first 2 shown]
	s_wait_loadcnt 0x3
	ds_store_2addr_b64 v169, v[10:11], v[12:13] offset1:1
	s_wait_loadcnt 0x2
	ds_store_2addr_b64 v170, v[14:15], v[16:17] offset1:1
	;; [unrolled: 2-line block ×4, first 2 shown]
.LBB28_53:                              ;   in Loop: Header=BB28_4 Depth=1
	s_and_not1_b32 vcc_lo, exec_lo, s26
	s_cbranch_vccnz .LBB28_65
; %bb.54:                               ;   in Loop: Header=BB28_4 Depth=1
	s_wait_xcnt 0x0
	s_and_saveexec_b32 s26, s17
	s_delay_alu instid0(SALU_CYCLE_1)
	s_xor_b32 s26, exec_lo, s26
; %bb.55:                               ;   in Loop: Header=BB28_4 Depth=1
	v_dual_mov_b32 v10, v151 :: v_dual_mov_b32 v11, v151
	v_dual_mov_b32 v12, v151 :: v_dual_mov_b32 v13, v151
	ds_store_b128 v169, v[10:13]
; %bb.56:                               ;   in Loop: Header=BB28_4 Depth=1
	s_or_saveexec_b32 s26, s26
	v_lshl_add_u64 v[4:5], v[158:159], 4, v[4:5]
	s_delay_alu instid0(VALU_DEP_1) | instskip(NEXT) | instid1(VALU_DEP_1)
	v_lshl_add_u64 v[4:5], s[34:35], 4, v[4:5]
	v_add_nc_u64_e32 v[4:5], -16, v[4:5]
	s_delay_alu instid0(VALU_DEP_1)
	v_dual_cndmask_b32 v5, v5, v9, s16 :: v_dual_cndmask_b32 v4, v4, v8, s16
	s_xor_b32 exec_lo, exec_lo, s26
	s_cbranch_execnz .LBB28_124
; %bb.57:                               ;   in Loop: Header=BB28_4 Depth=1
	s_or_b32 exec_lo, exec_lo, s26
	s_and_saveexec_b32 s26, s18
	s_delay_alu instid0(SALU_CYCLE_1)
	s_xor_b32 s26, exec_lo, s26
	s_cbranch_execnz .LBB28_125
.LBB28_58:                              ;   in Loop: Header=BB28_4 Depth=1
	s_and_not1_saveexec_b32 s26, s26
	s_cbranch_execnz .LBB28_126
.LBB28_59:                              ;   in Loop: Header=BB28_4 Depth=1
	s_or_b32 exec_lo, exec_lo, s26
	s_and_saveexec_b32 s26, s19
	s_delay_alu instid0(SALU_CYCLE_1)
	s_xor_b32 s26, exec_lo, s26
	s_cbranch_execnz .LBB28_127
.LBB28_60:                              ;   in Loop: Header=BB28_4 Depth=1
	s_and_not1_saveexec_b32 s26, s26
	s_cbranch_execnz .LBB28_128
.LBB28_61:                              ;   in Loop: Header=BB28_4 Depth=1
	s_or_b32 exec_lo, exec_lo, s26
	s_and_saveexec_b32 s26, s20
	s_delay_alu instid0(SALU_CYCLE_1)
	s_xor_b32 s26, exec_lo, s26
	s_cbranch_execnz .LBB28_129
.LBB28_62:                              ;   in Loop: Header=BB28_4 Depth=1
	s_and_not1_saveexec_b32 s26, s26
	s_cbranch_execz .LBB28_64
.LBB28_63:                              ;   in Loop: Header=BB28_4 Depth=1
	v_add_nc_u64_e32 v[6:7], s[28:29], v[4:5]
	global_load_b128 v[10:13], v[6:7], off
	s_wait_loadcnt 0x0
	ds_store_2addr_b64 v172, v[10:11], v[12:13] offset1:1
.LBB28_64:                              ;   in Loop: Header=BB28_4 Depth=1
	s_wait_xcnt 0x0
	s_or_b32 exec_lo, exec_lo, s26
	v_add_nc_u64_e32 v[4:5], v[4:5], v[150:151]
	s_delay_alu instid0(VALU_DEP_1) | instskip(NEXT) | instid1(VALU_DEP_1)
	v_lshl_add_u64 v[4:5], s[62:63], 4, v[4:5]
	v_add_nc_u64_e32 v[4:5], 0x210, v[4:5]
	s_delay_alu instid0(VALU_DEP_1)
	v_dual_cndmask_b32 v9, v5, v9, s16 :: v_dual_cndmask_b32 v8, v4, v8, s16
.LBB28_65:                              ;   in Loop: Header=BB28_4 Depth=1
	s_mov_b32 s26, 0
	s_wait_dscnt 0x0
	s_barrier_signal -1
	s_barrier_wait -1
	s_wait_xcnt 0x0
	s_and_saveexec_b32 s66, s7
	s_delay_alu instid0(SALU_CYCLE_1)
	s_xor_b32 s66, exec_lo, s66
; %bb.66:                               ;   in Loop: Header=BB28_4 Depth=1
	s_and_b32 s26, s8, exec_lo
; %bb.67:                               ;   in Loop: Header=BB28_4 Depth=1
	s_or_saveexec_b32 s66, s66
	v_mov_b64_e32 v[6:7], 0
	v_mov_b32_e32 v10, v173
	s_xor_b32 exec_lo, exec_lo, s66
	s_cbranch_execz .LBB28_69
; %bb.68:                               ;   in Loop: Header=BB28_4 Depth=1
	ds_load_b128 v[4:7], v191
	v_mov_b32_e32 v10, v174
	s_or_b32 s26, s26, exec_lo
	s_wait_dscnt 0x0
	v_xor_b32_e32 v7, 0x80000000, v7
	ds_store_b64 v174, v[4:5]
.LBB28_69:                              ;   in Loop: Header=BB28_4 Depth=1
	s_or_b32 exec_lo, exec_lo, s66
	s_and_saveexec_b32 s66, s26
; %bb.70:                               ;   in Loop: Header=BB28_4 Depth=1
	ds_store_b64 v10, v[6:7] offset:8
; %bb.71:                               ;   in Loop: Header=BB28_4 Depth=1
	s_or_b32 exec_lo, exec_lo, s66
	s_mov_b32 s26, 0
	s_and_saveexec_b32 s66, s9
	s_delay_alu instid0(SALU_CYCLE_1)
	s_xor_b32 s66, exec_lo, s66
; %bb.72:                               ;   in Loop: Header=BB28_4 Depth=1
	s_and_b32 s26, s10, exec_lo
; %bb.73:                               ;   in Loop: Header=BB28_4 Depth=1
	s_or_saveexec_b32 s66, s66
	v_mov_b64_e32 v[6:7], 0
	v_mov_b32_e32 v10, v173
	s_xor_b32 exec_lo, exec_lo, s66
	s_cbranch_execz .LBB28_75
; %bb.74:                               ;   in Loop: Header=BB28_4 Depth=1
	ds_load_b128 v[4:7], v192
	v_mov_b32_e32 v10, v175
	s_or_b32 s26, s26, exec_lo
	s_wait_dscnt 0x0
	v_xor_b32_e32 v7, 0x80000000, v7
	ds_store_b64 v175, v[4:5]
.LBB28_75:                              ;   in Loop: Header=BB28_4 Depth=1
	s_or_b32 exec_lo, exec_lo, s66
	s_and_saveexec_b32 s66, s26
; %bb.76:                               ;   in Loop: Header=BB28_4 Depth=1
	ds_store_b64 v10, v[6:7] offset:8
; %bb.77:                               ;   in Loop: Header=BB28_4 Depth=1
	s_or_b32 exec_lo, exec_lo, s66
	s_mov_b32 s26, 0
	s_and_saveexec_b32 s66, s11
	s_delay_alu instid0(SALU_CYCLE_1)
	s_xor_b32 s66, exec_lo, s66
; %bb.78:                               ;   in Loop: Header=BB28_4 Depth=1
	s_and_b32 s26, s12, exec_lo
; %bb.79:                               ;   in Loop: Header=BB28_4 Depth=1
	s_or_saveexec_b32 s66, s66
	v_mov_b64_e32 v[6:7], 0
	v_mov_b32_e32 v10, v173
	s_xor_b32 exec_lo, exec_lo, s66
	s_cbranch_execz .LBB28_81
; %bb.80:                               ;   in Loop: Header=BB28_4 Depth=1
	ds_load_b128 v[4:7], v192 offset:528
	v_mov_b32_e32 v10, v176
	s_or_b32 s26, s26, exec_lo
	s_wait_dscnt 0x0
	v_xor_b32_e32 v7, 0x80000000, v7
	ds_store_b64 v176, v[4:5]
.LBB28_81:                              ;   in Loop: Header=BB28_4 Depth=1
	s_or_b32 exec_lo, exec_lo, s66
	s_and_saveexec_b32 s66, s26
; %bb.82:                               ;   in Loop: Header=BB28_4 Depth=1
	ds_store_b64 v10, v[6:7] offset:8
; %bb.83:                               ;   in Loop: Header=BB28_4 Depth=1
	s_or_b32 exec_lo, exec_lo, s66
	s_mov_b32 s26, 0
	s_and_saveexec_b32 s66, s13
	s_delay_alu instid0(SALU_CYCLE_1)
	s_xor_b32 s66, exec_lo, s66
; %bb.84:                               ;   in Loop: Header=BB28_4 Depth=1
	s_and_b32 s26, s14, exec_lo
; %bb.85:                               ;   in Loop: Header=BB28_4 Depth=1
	s_or_saveexec_b32 s66, s66
	v_mov_b64_e32 v[6:7], 0
	v_mov_b32_e32 v10, v173
	s_xor_b32 exec_lo, exec_lo, s66
	s_cbranch_execz .LBB28_87
; %bb.86:                               ;   in Loop: Header=BB28_4 Depth=1
	ds_load_b128 v[4:7], v192 offset:1056
	v_mov_b32_e32 v10, v178
	s_or_b32 s26, s26, exec_lo
	s_wait_dscnt 0x0
	v_xor_b32_e32 v7, 0x80000000, v7
	ds_store_b64 v178, v[4:5]
.LBB28_87:                              ;   in Loop: Header=BB28_4 Depth=1
	s_or_b32 exec_lo, exec_lo, s66
	s_and_saveexec_b32 s66, s26
; %bb.88:                               ;   in Loop: Header=BB28_4 Depth=1
	ds_store_b64 v10, v[6:7] offset:8
; %bb.89:                               ;   in Loop: Header=BB28_4 Depth=1
	s_or_b32 exec_lo, exec_lo, s66
	s_wait_dscnt 0x0
	s_barrier_signal -1
	s_barrier_wait -1
	ds_load_b128 v[4:7], v191
	ds_load_b128 v[10:13], v179 offset:512
	ds_load_b128 v[14:17], v179 offset:528
	ds_load_b128 v[18:21], v192
	s_wait_dscnt 0x2
	v_mul_f64_e32 v[22:23], v[12:13], v[6:7]
	v_mul_f64_e32 v[28:29], v[10:11], v[6:7]
	s_wait_dscnt 0x0
	v_mul_f64_e32 v[30:31], v[16:17], v[20:21]
	v_mul_f64_e32 v[32:33], v[14:15], v[20:21]
	s_delay_alu instid0(VALU_DEP_4) | instskip(NEXT) | instid1(VALU_DEP_4)
	v_fma_f64 v[34:35], v[10:11], v[4:5], -v[22:23]
	v_fmac_f64_e32 v[28:29], v[12:13], v[4:5]
	ds_load_b128 v[4:7], v192 offset:528
	ds_load_b128 v[10:13], v179 offset:544
	;; [unrolled: 1-line block ×4, first 2 shown]
	v_fma_f64 v[14:15], v[14:15], v[18:19], -v[30:31]
	v_fmac_f64_e32 v[32:33], v[16:17], v[18:19]
	s_wait_dscnt 0x0
	s_barrier_signal -1
	s_barrier_wait -1
	v_mul_f64_e32 v[38:39], v[12:13], v[6:7]
	v_mul_f64_e32 v[6:7], v[10:11], v[6:7]
	v_add_f64_e32 v[16:17], 0, v[34:35]
	v_add_f64_e32 v[18:19], 0, v[28:29]
	v_mul_f64_e32 v[28:29], v[22:23], v[26:27]
	v_mul_f64_e32 v[26:27], v[20:21], v[26:27]
	v_fma_f64 v[10:11], v[10:11], v[4:5], -v[38:39]
	v_fmac_f64_e32 v[6:7], v[12:13], v[4:5]
	v_add_f64_e32 v[4:5], v[16:17], v[14:15]
	v_add_f64_e32 v[12:13], v[18:19], v[32:33]
	v_fma_f64 v[14:15], v[20:21], v[24:25], -v[28:29]
	v_fmac_f64_e32 v[26:27], v[22:23], v[24:25]
	s_delay_alu instid0(VALU_DEP_4) | instskip(NEXT) | instid1(VALU_DEP_4)
	v_add_f64_e32 v[4:5], v[4:5], v[10:11]
	v_add_f64_e32 v[6:7], v[12:13], v[6:7]
	s_delay_alu instid0(VALU_DEP_2) | instskip(NEXT) | instid1(VALU_DEP_2)
	v_add_f64_e32 v[4:5], v[4:5], v[14:15]
	v_add_f64_e32 v[6:7], v[6:7], v[26:27]
	ds_store_b128 v180, v[4:7]
	s_wait_dscnt 0x0
	s_barrier_signal -1
	s_barrier_wait -1
	s_and_saveexec_b32 s26, s21
	s_cbranch_execz .LBB28_91
; %bb.90:                               ;   in Loop: Header=BB28_4 Depth=1
	ds_load_b128 v[0:3], v177
	ds_load_b128 v[4:7], v177 offset:16
	s_wait_dscnt 0x0
	v_add_f64_e32 v[10:11], v[4:5], v[0:1]
	v_add_f64_e32 v[12:13], v[6:7], v[2:3]
	ds_load_b128 v[0:3], v177 offset:32
	ds_load_b128 v[4:7], v177 offset:48
	s_wait_dscnt 0x1
	v_add_f64_e32 v[0:1], v[10:11], v[0:1]
	v_add_f64_e32 v[2:3], v[12:13], v[2:3]
	s_wait_dscnt 0x0
	s_delay_alu instid0(VALU_DEP_2) | instskip(NEXT) | instid1(VALU_DEP_2)
	v_add_f64_e32 v[10:11], v[0:1], v[4:5]
	v_add_f64_e32 v[12:13], v[2:3], v[6:7]
	ds_load_b128 v[0:3], v177 offset:64
	ds_load_b128 v[4:7], v177 offset:80
	s_wait_dscnt 0x1
	v_add_f64_e32 v[0:1], v[10:11], v[0:1]
	v_add_f64_e32 v[2:3], v[12:13], v[2:3]
	s_wait_dscnt 0x0
	s_delay_alu instid0(VALU_DEP_2) | instskip(NEXT) | instid1(VALU_DEP_2)
	;; [unrolled: 9-line block ×3, first 2 shown]
	v_add_f64_e32 v[0:1], v[0:1], v[4:5]
	v_add_f64_e32 v[2:3], v[2:3], v[6:7]
.LBB28_91:                              ;   in Loop: Header=BB28_4 Depth=1
	s_or_b32 exec_lo, exec_lo, s26
	v_lshl_add_u64 v[38:39], s[52:53], 4, v[8:9]
	s_and_not1_b32 vcc_lo, exec_lo, s69
	s_mov_b32 s26, -1
	s_barrier_signal -1
	s_barrier_wait -1
	s_cbranch_vccnz .LBB28_93
; %bb.92:                               ;   in Loop: Header=BB28_4 Depth=1
	v_add_nc_u64_e32 v[8:9], s[36:37], v[38:39]
	s_mov_b32 s26, 0
	s_delay_alu instid0(VALU_DEP_1) | instskip(NEXT) | instid1(VALU_DEP_1)
	v_add_nc_u64_e32 v[12:13], s[36:37], v[8:9]
	v_add_nc_u64_e32 v[16:17], s[36:37], v[12:13]
	s_clause 0x3
	global_load_b128 v[4:7], v[38:39], off
	global_load_b128 v[8:11], v[8:9], off
	;; [unrolled: 1-line block ×4, first 2 shown]
	s_wait_loadcnt 0x3
	ds_store_2addr_b64 v169, v[4:5], v[6:7] offset1:1
	s_wait_loadcnt 0x2
	ds_store_2addr_b64 v170, v[8:9], v[10:11] offset1:1
	;; [unrolled: 2-line block ×4, first 2 shown]
.LBB28_93:                              ;   in Loop: Header=BB28_4 Depth=1
	s_and_not1_b32 vcc_lo, exec_lo, s26
	s_cbranch_vccnz .LBB28_105
; %bb.94:                               ;   in Loop: Header=BB28_4 Depth=1
	s_wait_xcnt 0x0
	s_and_saveexec_b32 s26, s3
	s_delay_alu instid0(SALU_CYCLE_1)
	s_xor_b32 s26, exec_lo, s26
; %bb.95:                               ;   in Loop: Header=BB28_4 Depth=1
	v_dual_mov_b32 v4, v151 :: v_dual_mov_b32 v5, v151
	v_dual_mov_b32 v6, v151 :: v_dual_mov_b32 v7, v151
	ds_store_b128 v169, v[4:7]
; %bb.96:                               ;   in Loop: Header=BB28_4 Depth=1
	s_or_saveexec_b32 s26, s26
	v_lshl_add_u64 v[4:5], v[158:159], 4, v[38:39]
	s_delay_alu instid0(VALU_DEP_1) | instskip(NEXT) | instid1(VALU_DEP_1)
	v_lshl_add_u64 v[4:5], s[34:35], 4, v[4:5]
	v_add_nc_u64_e32 v[4:5], s[58:59], v[4:5]
	s_delay_alu instid0(VALU_DEP_1)
	v_dual_cndmask_b32 v5, v5, v39, s16 :: v_dual_cndmask_b32 v4, v4, v38, s16
	s_xor_b32 exec_lo, exec_lo, s26
	s_cbranch_execnz .LBB28_130
; %bb.97:                               ;   in Loop: Header=BB28_4 Depth=1
	s_or_b32 exec_lo, exec_lo, s26
	s_and_saveexec_b32 s26, s4
	s_delay_alu instid0(SALU_CYCLE_1)
	s_xor_b32 s26, exec_lo, s26
	s_cbranch_execnz .LBB28_131
.LBB28_98:                              ;   in Loop: Header=BB28_4 Depth=1
	s_and_not1_saveexec_b32 s26, s26
	s_cbranch_execnz .LBB28_132
.LBB28_99:                              ;   in Loop: Header=BB28_4 Depth=1
	s_or_b32 exec_lo, exec_lo, s26
	s_and_saveexec_b32 s26, s5
	s_delay_alu instid0(SALU_CYCLE_1)
	s_xor_b32 s26, exec_lo, s26
	s_cbranch_execnz .LBB28_133
.LBB28_100:                             ;   in Loop: Header=BB28_4 Depth=1
	s_and_not1_saveexec_b32 s26, s26
	s_cbranch_execnz .LBB28_134
.LBB28_101:                             ;   in Loop: Header=BB28_4 Depth=1
	s_or_b32 exec_lo, exec_lo, s26
	s_and_saveexec_b32 s26, s6
	s_delay_alu instid0(SALU_CYCLE_1)
	s_xor_b32 s26, exec_lo, s26
	s_cbranch_execnz .LBB28_135
.LBB28_102:                             ;   in Loop: Header=BB28_4 Depth=1
	s_and_not1_saveexec_b32 s26, s26
	s_cbranch_execz .LBB28_104
.LBB28_103:                             ;   in Loop: Header=BB28_4 Depth=1
	v_add_nc_u64_e32 v[6:7], s[28:29], v[4:5]
	global_load_b128 v[6:9], v[6:7], off
	s_wait_loadcnt 0x0
	ds_store_2addr_b64 v172, v[6:7], v[8:9] offset1:1
.LBB28_104:                             ;   in Loop: Header=BB28_4 Depth=1
	s_wait_xcnt 0x0
	s_or_b32 exec_lo, exec_lo, s26
	v_add_nc_u64_e32 v[4:5], v[4:5], v[150:151]
	s_delay_alu instid0(VALU_DEP_1) | instskip(NEXT) | instid1(VALU_DEP_1)
	v_lshl_add_u64 v[4:5], s[62:63], 4, v[4:5]
	v_add_nc_u64_e32 v[4:5], 0x210, v[4:5]
	s_delay_alu instid0(VALU_DEP_1)
	v_dual_cndmask_b32 v39, v5, v39, s16 :: v_dual_cndmask_b32 v38, v4, v38, s16
.LBB28_105:                             ;   in Loop: Header=BB28_4 Depth=1
	s_wait_dscnt 0x0
	s_barrier_signal -1
	s_barrier_wait -1
	ds_load_b128 v[4:7], v193
	s_wait_xcnt 0x2
	ds_load_b128 v[8:11], v169
	s_wait_xcnt 0x1
	;; [unrolled: 2-line block ×3, first 2 shown]
	ds_load_b128 v[16:19], v190 offset:384
	ds_load_b128 v[20:23], v190 offset:128
	;; [unrolled: 1-line block ×3, first 2 shown]
	s_wait_dscnt 0x4
	v_mul_f64_e32 v[28:29], v[6:7], v[10:11]
	v_mul_f64_e32 v[30:31], v[4:5], v[10:11]
	s_wait_dscnt 0x1
	v_mul_f64_e32 v[32:33], v[22:23], v[14:15]
	v_mul_f64_e32 v[14:15], v[20:21], v[14:15]
	s_delay_alu instid0(VALU_DEP_4) | instskip(NEXT) | instid1(VALU_DEP_4)
	v_fma_f64 v[28:29], v[4:5], v[8:9], -v[28:29]
	v_fmac_f64_e32 v[30:31], v[6:7], v[8:9]
	ds_load_b128 v[4:7], v171
	ds_load_b128 v[8:11], v172
	v_fma_f64 v[20:21], v[20:21], v[12:13], -v[32:33]
	v_fmac_f64_e32 v[14:15], v[22:23], v[12:13]
	s_wait_dscnt 0x1
	v_mul_f64_e32 v[34:35], v[26:27], v[6:7]
	v_mul_f64_e32 v[6:7], v[24:25], v[6:7]
	v_add_f64_e32 v[12:13], 0, v[28:29]
	v_add_f64_e32 v[22:23], 0, v[30:31]
	s_wait_dscnt 0x0
	v_mul_f64_e32 v[28:29], v[18:19], v[10:11]
	v_mul_f64_e32 v[10:11], v[16:17], v[10:11]
	v_fma_f64 v[24:25], v[24:25], v[4:5], -v[34:35]
	v_fmac_f64_e32 v[6:7], v[26:27], v[4:5]
	v_add_f64_e32 v[4:5], v[12:13], v[20:21]
	v_add_f64_e32 v[12:13], v[22:23], v[14:15]
	v_fma_f64 v[14:15], v[16:17], v[8:9], -v[28:29]
	v_fmac_f64_e32 v[10:11], v[18:19], v[8:9]
	s_delay_alu instid0(VALU_DEP_4) | instskip(NEXT) | instid1(VALU_DEP_4)
	v_add_f64_e32 v[4:5], v[4:5], v[24:25]
	v_add_f64_e32 v[6:7], v[12:13], v[6:7]
	s_delay_alu instid0(VALU_DEP_2) | instskip(NEXT) | instid1(VALU_DEP_2)
	v_add_f64_e32 v[40:41], v[4:5], v[14:15]
	v_add_f64_e32 v[42:43], v[6:7], v[10:11]
	ds_load_b128 v[28:31], v181
	ds_load_b128 v[20:23], v181 offset:16
	ds_load_b128 v[8:11], v181 offset:32
	;; [unrolled: 1-line block ×7, first 2 shown]
	s_wait_dscnt 0x0
	s_barrier_signal -1
	s_barrier_wait -1
	ds_store_b128 v180, v[40:43]
	s_wait_dscnt 0x0
	s_barrier_signal -1
	s_barrier_wait -1
	s_and_saveexec_b32 s26, s21
	s_cbranch_execz .LBB28_107
; %bb.106:                              ;   in Loop: Header=BB28_4 Depth=1
	ds_load_b128 v[40:43], v177
	ds_load_b128 v[44:47], v177 offset:16
	s_wait_dscnt 0x1
	v_add_f64_e32 v[0:1], v[0:1], v[40:41]
	v_add_f64_e32 v[2:3], v[2:3], v[42:43]
	s_wait_dscnt 0x0
	s_delay_alu instid0(VALU_DEP_2) | instskip(NEXT) | instid1(VALU_DEP_2)
	v_add_f64_e32 v[44:45], v[0:1], v[44:45]
	v_add_f64_e32 v[46:47], v[2:3], v[46:47]
	ds_load_b128 v[0:3], v177 offset:32
	ds_load_b128 v[40:43], v177 offset:48
	s_wait_dscnt 0x1
	v_add_f64_e32 v[0:1], v[44:45], v[0:1]
	v_add_f64_e32 v[2:3], v[46:47], v[2:3]
	s_wait_dscnt 0x0
	s_delay_alu instid0(VALU_DEP_2) | instskip(NEXT) | instid1(VALU_DEP_2)
	v_add_f64_e32 v[44:45], v[0:1], v[40:41]
	v_add_f64_e32 v[46:47], v[2:3], v[42:43]
	ds_load_b128 v[0:3], v177 offset:64
	;; [unrolled: 9-line block ×3, first 2 shown]
	ds_load_b128 v[40:43], v177 offset:112
	s_wait_dscnt 0x1
	v_add_f64_e32 v[0:1], v[44:45], v[0:1]
	v_add_f64_e32 v[2:3], v[46:47], v[2:3]
	s_wait_dscnt 0x0
	s_delay_alu instid0(VALU_DEP_2) | instskip(NEXT) | instid1(VALU_DEP_2)
	v_add_f64_e32 v[0:1], v[0:1], v[40:41]
	v_add_f64_e32 v[2:3], v[2:3], v[42:43]
.LBB28_107:                             ;   in Loop: Header=BB28_4 Depth=1
	s_or_b32 exec_lo, exec_lo, s26
	v_mul_f64_e32 v[40:41], v[30:31], v[34:35]
	v_mul_f64_e32 v[30:31], v[30:31], v[32:33]
	;; [unrolled: 1-line block ×4, first 2 shown]
	s_barrier_signal -1
	s_barrier_wait -1
	s_delay_alu instid0(VALU_DEP_4) | instskip(NEXT) | instid1(VALU_DEP_4)
	v_fmac_f64_e32 v[40:41], v[28:29], v[32:33]
	v_fma_f64 v[28:29], v[28:29], v[34:35], -v[30:31]
	v_mul_f64_e32 v[30:31], v[10:11], v[18:19]
	v_mul_f64_e32 v[10:11], v[10:11], v[16:17]
	v_fmac_f64_e32 v[42:43], v[20:21], v[24:25]
	v_fma_f64 v[20:21], v[20:21], v[26:27], -v[22:23]
	v_mul_f64_e32 v[26:27], v[6:7], v[14:15]
	v_mul_f64_e32 v[6:7], v[6:7], v[12:13]
	v_add_f64_e32 v[22:23], 0, v[40:41]
	v_add_f64_e32 v[24:25], 0, v[28:29]
	v_fmac_f64_e32 v[30:31], v[8:9], v[16:17]
	v_fma_f64 v[8:9], v[8:9], v[18:19], -v[10:11]
	v_fmac_f64_e32 v[26:27], v[4:5], v[12:13]
	v_fma_f64 v[6:7], v[4:5], v[14:15], -v[6:7]
	v_add_f64_e32 v[10:11], v[22:23], v[42:43]
	v_add_f64_e32 v[16:17], v[24:25], v[20:21]
	s_delay_alu instid0(VALU_DEP_2) | instskip(NEXT) | instid1(VALU_DEP_2)
	v_add_f64_e32 v[4:5], v[10:11], v[30:31]
	v_add_f64_e32 v[8:9], v[16:17], v[8:9]
	s_delay_alu instid0(VALU_DEP_2) | instskip(NEXT) | instid1(VALU_DEP_2)
	v_add_f64_e32 v[4:5], v[4:5], v[26:27]
	v_add_f64_e32 v[6:7], v[8:9], v[6:7]
	ds_store_b128 v180, v[4:7]
	s_wait_dscnt 0x0
	s_barrier_signal -1
	s_barrier_wait -1
	s_and_saveexec_b32 s26, s15
	s_cbranch_execz .LBB28_109
; %bb.108:                              ;   in Loop: Header=BB28_4 Depth=1
	ds_load_b128 v[4:7], v177
	ds_load_b128 v[8:11], v177 offset:16
	s_wait_dscnt 0x1
	v_add_f64_e32 v[0:1], v[0:1], v[4:5]
	v_add_f64_e32 v[2:3], v[2:3], v[6:7]
	s_wait_dscnt 0x0
	s_delay_alu instid0(VALU_DEP_2) | instskip(NEXT) | instid1(VALU_DEP_2)
	v_add_f64_e32 v[8:9], v[0:1], v[8:9]
	v_add_f64_e32 v[10:11], v[2:3], v[10:11]
	ds_load_b128 v[0:3], v177 offset:32
	ds_load_b128 v[4:7], v177 offset:48
	s_wait_dscnt 0x1
	v_add_f64_e32 v[0:1], v[8:9], v[0:1]
	v_add_f64_e32 v[2:3], v[10:11], v[2:3]
	s_wait_dscnt 0x0
	s_delay_alu instid0(VALU_DEP_2) | instskip(NEXT) | instid1(VALU_DEP_2)
	v_add_f64_e32 v[8:9], v[0:1], v[4:5]
	v_add_f64_e32 v[10:11], v[2:3], v[6:7]
	ds_load_b128 v[0:3], v177 offset:64
	;; [unrolled: 9-line block ×3, first 2 shown]
	ds_load_b128 v[4:7], v177 offset:112
	s_wait_dscnt 0x1
	v_add_f64_e32 v[0:1], v[8:9], v[0:1]
	v_add_f64_e32 v[2:3], v[10:11], v[2:3]
	s_wait_dscnt 0x0
	s_delay_alu instid0(VALU_DEP_2) | instskip(NEXT) | instid1(VALU_DEP_2)
	v_add_f64_e32 v[0:1], v[0:1], v[4:5]
	v_add_f64_e32 v[2:3], v[2:3], v[6:7]
.LBB28_109:                             ;   in Loop: Header=BB28_4 Depth=1
	s_or_b32 exec_lo, exec_lo, s26
	s_mul_u64 s[66:67], s[30:31], s[24:25]
	s_and_not1_b32 vcc_lo, exec_lo, s23
	s_lshl_b64 s[66:67], s[66:67], 4
	s_delay_alu instid0(SALU_CYCLE_1)
	s_add_nc_u64 s[66:67], s[44:45], s[66:67]
	s_barrier_signal -1
	s_barrier_wait -1
	s_cbranch_vccnz .LBB28_116
; %bb.110:                              ;   in Loop: Header=BB28_4 Depth=1
	v_lshl_add_u64 v[4:5], s[56:57], 4, v[38:39]
	v_dual_mov_b32 v7, v151 :: v_dual_lshlrev_b32 v6, 4, v148
	v_lshl_add_u64 v[164:165], s[54:55], 4, v[36:37]
	s_mov_b32 s26, 0
	s_delay_alu instid0(VALU_DEP_3) | instskip(SKIP_1) | instid1(VALU_DEP_1)
	v_lshl_add_u64 v[4:5], v[160:161], 4, v[4:5]
	s_mov_b32 s25, s68
	v_lshl_add_u64 v[4:5], v[162:163], 4, v[4:5]
	s_delay_alu instid0(VALU_DEP_1) | instskip(SKIP_1) | instid1(VALU_DEP_1)
	v_add_nc_u64_e32 v[6:7], v[4:5], v[6:7]
	v_lshl_add_u64 v[4:5], s[34:35], 4, v[4:5]
	v_add_nc_u64_e32 v[4:5], s[58:59], v[4:5]
	s_delay_alu instid0(VALU_DEP_3) | instskip(NEXT) | instid1(VALU_DEP_1)
	v_add_nc_u64_e32 v[6:7], s[60:61], v[6:7]
	v_dual_cndmask_b32 v5, v7, v5, s1 :: v_dual_cndmask_b32 v4, v6, v4, s1
	s_branch .LBB28_112
.LBB28_111:                             ;   in Loop: Header=BB28_112 Depth=2
	s_wait_xcnt 0x0
	s_or_b32 exec_lo, exec_lo, s72
	v_mul_f64_e32 v[84:85], v[18:19], v[38:39]
	v_mul_f64_e32 v[38:39], v[16:17], v[38:39]
	;; [unrolled: 1-line block ×4, first 2 shown]
	s_add_co_i32 s25, s25, -1
	s_add_co_i32 s26, s26, 64
	s_cmp_eq_u32 s25, 0
	s_wait_storecnt 0x0
	s_barrier_signal -1
	s_barrier_wait -1
	s_delay_alu instid0(VALU_DEP_4) | instskip(NEXT) | instid1(VALU_DEP_4)
	v_fma_f64 v[16:17], v[16:17], v[36:37], -v[84:85]
	v_fmac_f64_e32 v[38:39], v[18:19], v[36:37]
	v_mul_f64_e32 v[18:19], v[10:11], v[46:47]
	v_mul_f64_e32 v[36:37], v[8:9], v[46:47]
	v_fma_f64 v[12:13], v[12:13], v[48:49], -v[86:87]
	v_fmac_f64_e32 v[50:51], v[14:15], v[48:49]
	v_mul_f64_e32 v[14:15], v[6:7], v[30:31]
	v_add_f64_e32 v[0:1], v[0:1], v[16:17]
	v_add_f64_e32 v[2:3], v[2:3], v[38:39]
	v_mul_f64_e32 v[16:17], v[4:5], v[30:31]
	v_fma_f64 v[8:9], v[8:9], v[44:45], -v[18:19]
	v_fmac_f64_e32 v[36:37], v[10:11], v[44:45]
	v_mul_f64_e32 v[10:11], v[42:43], v[74:75]
	v_fma_f64 v[4:5], v[4:5], v[28:29], -v[14:15]
	v_mul_f64_e32 v[14:15], v[24:25], v[78:79]
	v_add_f64_e32 v[0:1], v[0:1], v[12:13]
	v_add_f64_e32 v[2:3], v[2:3], v[50:51]
	v_mul_f64_e32 v[12:13], v[40:41], v[74:75]
	v_fmac_f64_e32 v[16:17], v[6:7], v[28:29]
	v_mul_f64_e32 v[6:7], v[34:35], v[82:83]
	v_fma_f64 v[10:11], v[40:41], v[72:73], -v[10:11]
	v_fmac_f64_e32 v[14:15], v[26:27], v[76:77]
	v_add_f64_e32 v[0:1], v[0:1], v[8:9]
	v_add_f64_e32 v[2:3], v[2:3], v[36:37]
	v_mul_f64_e32 v[8:9], v[32:33], v[82:83]
	v_fmac_f64_e32 v[12:13], v[42:43], v[72:73]
	v_fma_f64 v[6:7], v[32:33], v[80:81], -v[6:7]
	v_add_f64_e32 v[0:1], v[0:1], v[4:5]
	v_add_f64_e32 v[2:3], v[2:3], v[16:17]
	v_mul_f64_e32 v[4:5], v[26:27], v[78:79]
	v_fmac_f64_e32 v[8:9], v[34:35], v[80:81]
	s_delay_alu instid0(VALU_DEP_4) | instskip(NEXT) | instid1(VALU_DEP_4)
	v_add_f64_e32 v[0:1], v[0:1], v[10:11]
	v_add_f64_e32 v[2:3], v[2:3], v[12:13]
	v_mul_f64_e32 v[10:11], v[22:23], v[70:71]
	v_mul_f64_e32 v[12:13], v[20:21], v[70:71]
	v_fma_f64 v[4:5], v[24:25], v[76:77], -v[4:5]
	v_add_f64_e32 v[0:1], v[0:1], v[6:7]
	v_add_f64_e32 v[2:3], v[2:3], v[8:9]
	v_mul_f64_e32 v[6:7], v[66:67], v[122:123]
	v_mul_f64_e32 v[8:9], v[64:65], v[122:123]
	v_fma_f64 v[10:11], v[20:21], v[68:69], -v[10:11]
	v_fmac_f64_e32 v[12:13], v[22:23], v[68:69]
	v_add_f64_e32 v[0:1], v[0:1], v[4:5]
	v_add_f64_e32 v[2:3], v[2:3], v[14:15]
	v_mul_f64_e32 v[4:5], v[62:63], v[130:131]
	v_mul_f64_e32 v[14:15], v[60:61], v[130:131]
	v_fma_f64 v[6:7], v[64:65], v[120:121], -v[6:7]
	v_fmac_f64_e32 v[8:9], v[66:67], v[120:121]
	;; [unrolled: 6-line block ×8, first 2 shown]
	v_add_f64_e32 v[0:1], v[0:1], v[10:11]
	v_add_f64_e32 v[2:3], v[2:3], v[12:13]
	v_fma_f64 v[4:5], v[96:97], v[136:137], -v[4:5]
	v_fmac_f64_e32 v[14:15], v[98:99], v[136:137]
	s_delay_alu instid0(VALU_DEP_4) | instskip(NEXT) | instid1(VALU_DEP_4)
	v_add_f64_e32 v[0:1], v[0:1], v[6:7]
	v_add_f64_e32 v[2:3], v[2:3], v[8:9]
	s_delay_alu instid0(VALU_DEP_2) | instskip(NEXT) | instid1(VALU_DEP_2)
	v_add_f64_e32 v[0:1], v[0:1], v[4:5]
	v_add_f64_e32 v[2:3], v[2:3], v[14:15]
	v_add_nc_u64_e32 v[4:5], s[40:41], v[166:167]
	s_cbranch_scc1 .LBB28_116
.LBB28_112:                             ;   Parent Loop BB28_4 Depth=1
                                        ; =>  This Inner Loop Header: Depth=2
	s_and_saveexec_b32 s72, s0
	s_cbranch_execz .LBB28_114
; %bb.113:                              ;   in Loop: Header=BB28_112 Depth=2
	s_mul_u64 s[74:75], s[48:49], s[26:27]
	s_delay_alu instid0(SALU_CYCLE_1)
	v_lshl_add_u64 v[6:7], s[74:75], 4, v[164:165]
	global_load_b128 v[6:9], v[6:7], off
	s_wait_loadcnt 0x0
	ds_store_2addr_b64 v182, v[6:7], v[8:9] offset1:1
.LBB28_114:                             ;   in Loop: Header=BB28_112 Depth=2
	s_wait_xcnt 0x0
	s_or_b32 exec_lo, exec_lo, s72
	s_delay_alu instid0(VALU_DEP_1) | instskip(SKIP_3) | instid1(VALU_DEP_1)
	v_add_nc_u64_e32 v[6:7], s[64:65], v[4:5]
	s_wait_dscnt 0x0
	s_barrier_signal -1
	s_barrier_wait -1
	v_add_nc_u64_e32 v[8:9], s[64:65], v[6:7]
	s_delay_alu instid0(VALU_DEP_1)
	v_add_nc_u64_e32 v[28:29], s[64:65], v[8:9]
	s_clause 0x3
	global_load_b128 v[16:19], v[4:5], off
	global_load_b128 v[12:15], v[6:7], off
	;; [unrolled: 1-line block ×4, first 2 shown]
	ds_load_b128 v[20:23], v168
	ds_load_b128 v[36:39], v183
	s_wait_loadcnt_dscnt 0x301
	v_mul_f64_e32 v[24:25], v[18:19], v[22:23]
	v_mul_f64_e32 v[26:27], v[18:19], v[20:21]
	s_wait_loadcnt 0x2
	v_mul_f64_e32 v[32:33], v[14:15], v[22:23]
	v_mul_f64_e32 v[30:31], v[14:15], v[20:21]
	s_wait_loadcnt 0x1
	;; [unrolled: 3-line block ×3, first 2 shown]
	v_mul_f64_e32 v[52:53], v[6:7], v[22:23]
	v_mul_f64_e32 v[44:45], v[6:7], v[20:21]
	v_fmac_f64_e32 v[24:25], v[16:17], v[20:21]
	v_fma_f64 v[26:27], v[16:17], v[22:23], -v[26:27]
	v_fmac_f64_e32 v[32:33], v[12:13], v[20:21]
	v_fma_f64 v[34:35], v[12:13], v[22:23], -v[30:31]
	;; [unrolled: 2-line block ×4, first 2 shown]
	v_add_nc_u64_e32 v[20:21], s[40:41], v[28:29]
	ds_load_b128 v[48:51], v183 offset:16
	ds_load_b128 v[44:47], v183 offset:32
	s_wait_xcnt 0x0
	ds_load_b128 v[28:31], v183 offset:48
	ds_store_b128 v184, v[24:27]
	ds_store_b128 v184, v[32:35] offset:1072
	ds_store_b128 v184, v[40:43] offset:2144
	ds_store_b128 v184, v[52:55] offset:3216
	v_add_nc_u64_e32 v[22:23], s[64:65], v[20:21]
	s_wait_dscnt 0x0
	s_barrier_signal -1
	s_barrier_wait -1
	ds_load_b128 v[116:119], v185
	ds_load_b128 v[104:107], v185 offset:16
	ds_load_b128 v[92:95], v185 offset:32
	;; [unrolled: 1-line block ×3, first 2 shown]
	s_wait_dscnt 0x0
	v_add_nc_u64_e32 v[56:57], s[64:65], v[22:23]
	s_barrier_signal -1
	s_barrier_wait -1
	s_delay_alu instid0(VALU_DEP_1)
	v_add_nc_u64_e32 v[68:69], s[64:65], v[56:57]
	s_clause 0x3
	global_load_b128 v[40:43], v[20:21], off
	global_load_b128 v[32:35], v[22:23], off
	;; [unrolled: 1-line block ×4, first 2 shown]
	ds_load_b128 v[52:55], v168
	ds_load_b128 v[72:75], v183 offset:256
	s_wait_loadcnt_dscnt 0x301
	v_mul_f64_e32 v[58:59], v[42:43], v[52:53]
	s_wait_xcnt 0x1
	v_mul_f64_e32 v[56:57], v[42:43], v[54:55]
	s_wait_loadcnt 0x2
	v_mul_f64_e32 v[62:63], v[34:35], v[52:53]
	v_mul_f64_e32 v[60:61], v[34:35], v[54:55]
	s_wait_loadcnt 0x1
	v_mul_f64_e32 v[66:67], v[26:27], v[52:53]
	;; [unrolled: 3-line block ×3, first 2 shown]
	v_mul_f64_e32 v[88:89], v[22:23], v[54:55]
	v_fma_f64 v[58:59], v[40:41], v[54:55], -v[58:59]
	v_fmac_f64_e32 v[56:57], v[40:41], v[52:53]
	v_fma_f64 v[62:63], v[32:33], v[54:55], -v[62:63]
	v_fmac_f64_e32 v[60:61], v[32:33], v[52:53]
	;; [unrolled: 2-line block ×4, first 2 shown]
	v_add_nc_u64_e32 v[52:53], s[40:41], v[68:69]
	ds_load_b128 v[80:83], v183 offset:272
	ds_load_b128 v[76:79], v183 offset:288
	s_wait_xcnt 0x0
	ds_load_b128 v[68:71], v183 offset:304
	ds_store_b128 v184, v[56:59]
	ds_store_b128 v184, v[60:63] offset:1072
	ds_store_b128 v184, v[64:67] offset:2144
	;; [unrolled: 1-line block ×3, first 2 shown]
	v_add_nc_u64_e32 v[54:55], s[64:65], v[52:53]
	s_wait_dscnt 0x0
	s_barrier_signal -1
	s_barrier_wait -1
	ds_load_b128 v[196:199], v185
	ds_load_b128 v[200:203], v185 offset:16
	ds_load_b128 v[204:207], v185 offset:32
	;; [unrolled: 1-line block ×3, first 2 shown]
	s_wait_dscnt 0x0
	v_add_nc_u64_e32 v[96:97], s[64:65], v[54:55]
	s_barrier_signal -1
	s_barrier_wait -1
	s_delay_alu instid0(VALU_DEP_1)
	v_add_nc_u64_e32 v[112:113], s[64:65], v[96:97]
	s_clause 0x2
	global_load_b128 v[64:67], v[52:53], off
	global_load_b128 v[60:63], v[54:55], off
	;; [unrolled: 1-line block ×4, first 2 shown]
	ds_load_b128 v[88:91], v168
	ds_load_b128 v[120:123], v183 offset:512
	v_add_f64_e32 v[196:197], 0, v[196:197]
	v_add_f64_e32 v[198:199], 0, v[198:199]
	s_delay_alu instid0(VALU_DEP_2) | instskip(NEXT) | instid1(VALU_DEP_2)
	v_add_f64_e32 v[196:197], v[196:197], v[200:201]
	v_add_f64_e32 v[198:199], v[198:199], v[202:203]
	s_delay_alu instid0(VALU_DEP_2) | instskip(NEXT) | instid1(VALU_DEP_2)
	v_add_f64_e32 v[196:197], v[196:197], v[204:205]
	v_add_f64_e32 v[198:199], v[198:199], v[206:207]
	s_wait_loadcnt_dscnt 0x301
	v_mul_f64_e32 v[98:99], v[66:67], v[88:89]
	s_wait_xcnt 0x1
	v_mul_f64_e32 v[96:97], v[66:67], v[90:91]
	s_wait_loadcnt 0x2
	v_mul_f64_e32 v[102:103], v[62:63], v[88:89]
	v_mul_f64_e32 v[100:101], v[62:63], v[90:91]
	s_wait_loadcnt 0x1
	v_mul_f64_e32 v[110:111], v[58:59], v[88:89]
	;; [unrolled: 3-line block ×3, first 2 shown]
	v_mul_f64_e32 v[132:133], v[54:55], v[90:91]
	v_fma_f64 v[98:99], v[64:65], v[90:91], -v[98:99]
	v_fmac_f64_e32 v[96:97], v[64:65], v[88:89]
	v_fma_f64 v[102:103], v[60:61], v[90:91], -v[102:103]
	v_fmac_f64_e32 v[100:101], v[60:61], v[88:89]
	;; [unrolled: 2-line block ×4, first 2 shown]
	v_add_nc_u64_e32 v[88:89], s[40:41], v[112:113]
	ds_load_b128 v[128:131], v183 offset:528
	ds_load_b128 v[124:127], v183 offset:544
	s_wait_xcnt 0x0
	ds_load_b128 v[112:115], v183 offset:560
	ds_store_b128 v184, v[96:99]
	ds_store_b128 v184, v[100:103] offset:1072
	ds_store_b128 v184, v[108:111] offset:2144
	ds_store_b128 v184, v[132:135] offset:3216
	v_add_nc_u64_e32 v[90:91], s[64:65], v[88:89]
	s_wait_dscnt 0x0
	s_barrier_signal -1
	s_barrier_wait -1
	ds_load_b128 v[212:215], v185
	ds_load_b128 v[216:219], v185 offset:16
	ds_load_b128 v[220:223], v185 offset:32
	;; [unrolled: 1-line block ×3, first 2 shown]
	s_wait_dscnt 0x0
	v_add_nc_u64_e32 v[136:137], s[64:65], v[90:91]
	s_barrier_signal -1
	s_barrier_wait -1
	s_delay_alu instid0(VALU_DEP_1)
	v_add_nc_u64_e32 v[166:167], s[64:65], v[136:137]
	global_load_b128 v[108:111], v[88:89], off
	global_load_b128 v[100:103], v[90:91], off
	;; [unrolled: 1-line block ×4, first 2 shown]
	s_wait_xcnt 0x1
	ds_load_b128 v[136:139], v168
	ds_load_b128 v[132:135], v183 offset:768
	v_add_f64_e32 v[212:213], 0, v[212:213]
	v_add_f64_e32 v[214:215], 0, v[214:215]
	s_delay_alu instid0(VALU_DEP_2) | instskip(NEXT) | instid1(VALU_DEP_2)
	v_add_f64_e32 v[200:201], v[212:213], v[216:217]
	v_add_f64_e32 v[202:203], v[214:215], v[218:219]
	s_delay_alu instid0(VALU_DEP_2) | instskip(NEXT) | instid1(VALU_DEP_2)
	v_add_f64_e32 v[200:201], v[200:201], v[220:221]
	v_add_f64_e32 v[202:203], v[202:203], v[222:223]
	s_wait_loadcnt_dscnt 0x301
	v_mul_f64_e32 v[140:141], v[110:111], v[136:137]
	v_mul_f64_e32 v[228:229], v[110:111], v[138:139]
	s_wait_loadcnt 0x2
	v_mul_f64_e32 v[142:143], v[102:103], v[136:137]
	v_mul_f64_e32 v[232:233], v[102:103], v[138:139]
	s_wait_loadcnt 0x1
	;; [unrolled: 3-line block ×3, first 2 shown]
	v_mul_f64_e32 v[146:147], v[98:99], v[136:137]
	v_mul_f64_e32 v[240:241], v[98:99], v[138:139]
	v_fma_f64 v[230:231], v[108:109], v[138:139], -v[140:141]
	v_fmac_f64_e32 v[228:229], v[108:109], v[136:137]
	v_fma_f64 v[234:235], v[100:101], v[138:139], -v[142:143]
	v_fmac_f64_e32 v[232:233], v[100:101], v[136:137]
	;; [unrolled: 2-line block ×4, first 2 shown]
	ds_load_b128 v[144:147], v183 offset:784
	ds_load_b128 v[140:143], v183 offset:800
	;; [unrolled: 1-line block ×3, first 2 shown]
	ds_store_b128 v184, v[228:231]
	ds_store_b128 v184, v[232:235] offset:1072
	ds_store_b128 v184, v[236:239] offset:2144
	;; [unrolled: 1-line block ×3, first 2 shown]
	s_wait_dscnt 0x0
	s_barrier_signal -1
	s_barrier_wait -1
	ds_load_b128 v[228:231], v185
	v_add_f64_e32 v[232:233], 0, v[116:117]
	v_add_f64_e32 v[234:235], 0, v[118:119]
	ds_load_b128 v[116:119], v185 offset:16
	s_wait_dscnt 0x1
	v_add_f64_e32 v[228:229], 0, v[228:229]
	v_add_f64_e32 v[230:231], 0, v[230:231]
	;; [unrolled: 1-line block ×4, first 2 shown]
	ds_load_b128 v[104:107], v185 offset:32
	s_wait_dscnt 0x1
	v_add_f64_e32 v[116:117], v[228:229], v[116:117]
	v_add_f64_e32 v[118:119], v[230:231], v[118:119]
	;; [unrolled: 1-line block ×4, first 2 shown]
	ds_load_b128 v[92:95], v185 offset:48
	s_wait_dscnt 0x0
	s_barrier_signal -1
	s_barrier_wait -1
	v_add_f64_e32 v[204:205], v[116:117], v[104:105]
	v_add_f64_e32 v[206:207], v[118:119], v[106:107]
	;; [unrolled: 1-line block ×10, first 2 shown]
	ds_store_b128 v194, v[84:87]
	ds_store_b128 v194, v[104:107] offset:256
	ds_store_b128 v194, v[116:119] offset:512
	;; [unrolled: 1-line block ×3, first 2 shown]
	s_wait_dscnt 0x0
	s_barrier_signal -1
	s_barrier_wait -1
	s_wait_xcnt 0x0
	s_and_saveexec_b32 s72, s22
	s_cbranch_execz .LBB28_111
; %bb.115:                              ;   in Loop: Header=BB28_112 Depth=2
	ds_load_b128 v[84:87], v186
	ds_load_b128 v[92:95], v186 offset:16
	s_wait_dscnt 0x0
	v_add_f64_e32 v[104:105], v[92:93], v[84:85]
	v_add_f64_e32 v[106:107], v[94:95], v[86:87]
	ds_load_b128 v[84:87], v186 offset:32
	ds_load_b128 v[92:95], v186 offset:48
	s_wait_dscnt 0x1
	v_add_f64_e32 v[84:85], v[104:105], v[84:85]
	v_add_f64_e32 v[86:87], v[106:107], v[86:87]
	s_wait_dscnt 0x0
	s_delay_alu instid0(VALU_DEP_2) | instskip(NEXT) | instid1(VALU_DEP_2)
	v_add_f64_e32 v[104:105], v[84:85], v[92:93]
	v_add_f64_e32 v[106:107], v[86:87], v[94:95]
	ds_load_b128 v[84:87], v186 offset:64
	ds_load_b128 v[92:95], v186 offset:80
	s_wait_dscnt 0x1
	v_add_f64_e32 v[84:85], v[104:105], v[84:85]
	v_add_f64_e32 v[86:87], v[106:107], v[86:87]
	s_wait_dscnt 0x0
	s_delay_alu instid0(VALU_DEP_2) | instskip(NEXT) | instid1(VALU_DEP_2)
	;; [unrolled: 9-line block ×6, first 2 shown]
	v_add_f64_e32 v[104:105], v[84:85], v[92:93]
	v_add_f64_e32 v[106:107], v[86:87], v[94:95]
	ds_load_b128 v[84:87], v186 offset:224
	ds_load_b128 v[92:95], v187
	s_wait_dscnt 0x1
	v_add_f64_e32 v[84:85], v[104:105], v[84:85]
	v_add_f64_e32 v[86:87], v[106:107], v[86:87]
	s_wait_dscnt 0x0
	s_delay_alu instid0(VALU_DEP_2) | instskip(NEXT) | instid1(VALU_DEP_2)
	v_add_f64_e32 v[84:85], v[84:85], v[92:93]
	v_dual_add_f64 v[86:87], v[86:87], v[94:95] :: v_dual_add_nc_u32 v92, s26, v148
	global_store_b128 v92, v[84:87], s[66:67] scale_offset
	s_branch .LBB28_111
.LBB28_116:                             ;   in Loop: Header=BB28_4 Depth=1
	ds_store_b128 v188, v[0:3]
	s_wait_dscnt 0x0
	s_barrier_signal -1
	s_barrier_wait -1
	s_and_saveexec_b32 s25, s70
	s_cbranch_execz .LBB28_2
; %bb.117:                              ;   in Loop: Header=BB28_4 Depth=1
	ds_load_b128 v[0:3], v149 offset:1072
	ds_load_b128 v[4:7], v149
	s_wait_dscnt 0x0
	v_add_f64_e32 v[8:9], v[0:1], v[4:5]
	v_add_f64_e32 v[10:11], v[2:3], v[6:7]
	ds_load_b128 v[0:3], v149 offset:2144
	ds_load_b128 v[4:7], v149 offset:3216
	s_wait_dscnt 0x1
	v_add_f64_e32 v[0:1], v[8:9], v[0:1]
	v_add_f64_e32 v[2:3], v[10:11], v[2:3]
	s_wait_dscnt 0x0
	s_delay_alu instid0(VALU_DEP_2) | instskip(NEXT) | instid1(VALU_DEP_2)
	v_add_f64_e32 v[0:1], v[0:1], v[4:5]
	v_add_f64_e32 v[2:3], v[2:3], v[6:7]
	v_lshl_add_u64 v[4:5], v[152:153], 4, s[66:67]
	global_store_b128 v[4:5], v[0:3], off
	s_branch .LBB28_2
.LBB28_118:                             ;   in Loop: Header=BB28_4 Depth=1
	global_load_b128 v[6:9], v[0:1], off
	s_wait_loadcnt 0x0
	ds_store_2addr_b64 v169, v[6:7], v[8:9] offset1:1
	s_wait_xcnt 0x0
	s_or_b32 exec_lo, exec_lo, s26
	s_and_saveexec_b32 s26, s4
	s_delay_alu instid0(SALU_CYCLE_1)
	s_xor_b32 s26, exec_lo, s26
	s_cbranch_execz .LBB28_18
.LBB28_119:                             ;   in Loop: Header=BB28_4 Depth=1
	v_dual_mov_b32 v6, v151 :: v_dual_mov_b32 v7, v151
	v_dual_mov_b32 v8, v151 :: v_dual_mov_b32 v9, v151
	ds_store_b128 v170, v[6:9]
	s_and_not1_saveexec_b32 s26, s26
	s_cbranch_execz .LBB28_19
.LBB28_120:                             ;   in Loop: Header=BB28_4 Depth=1
	v_add_nc_u64_e32 v[2:3], s[36:37], v[0:1]
	global_load_b128 v[6:9], v[2:3], off
	s_wait_loadcnt 0x0
	ds_store_2addr_b64 v170, v[6:7], v[8:9] offset1:1
	s_wait_xcnt 0x0
	s_or_b32 exec_lo, exec_lo, s26
	s_and_saveexec_b32 s26, s5
	s_delay_alu instid0(SALU_CYCLE_1)
	s_xor_b32 s26, exec_lo, s26
	s_cbranch_execz .LBB28_20
.LBB28_121:                             ;   in Loop: Header=BB28_4 Depth=1
	v_dual_mov_b32 v6, v151 :: v_dual_mov_b32 v7, v151
	v_dual_mov_b32 v8, v151 :: v_dual_mov_b32 v9, v151
	ds_store_b128 v171, v[6:9]
	s_and_not1_saveexec_b32 s26, s26
	s_cbranch_execz .LBB28_21
.LBB28_122:                             ;   in Loop: Header=BB28_4 Depth=1
	v_add_nc_u64_e32 v[2:3], s[38:39], v[0:1]
	global_load_b128 v[6:9], v[2:3], off
	s_wait_loadcnt 0x0
	ds_store_2addr_b64 v171, v[6:7], v[8:9] offset1:1
	s_wait_xcnt 0x0
	s_or_b32 exec_lo, exec_lo, s26
	s_and_saveexec_b32 s26, s6
	s_delay_alu instid0(SALU_CYCLE_1)
	s_xor_b32 s26, exec_lo, s26
	s_cbranch_execz .LBB28_22
.LBB28_123:                             ;   in Loop: Header=BB28_4 Depth=1
	v_dual_mov_b32 v6, v151 :: v_dual_mov_b32 v7, v151
	v_dual_mov_b32 v8, v151 :: v_dual_mov_b32 v9, v151
	ds_store_b128 v172, v[6:9]
	s_and_not1_saveexec_b32 s26, s26
	s_cbranch_execnz .LBB28_23
	s_branch .LBB28_24
.LBB28_124:                             ;   in Loop: Header=BB28_4 Depth=1
	global_load_b128 v[10:13], v[4:5], off
	s_wait_loadcnt 0x0
	ds_store_2addr_b64 v169, v[10:11], v[12:13] offset1:1
	s_wait_xcnt 0x0
	s_or_b32 exec_lo, exec_lo, s26
	s_and_saveexec_b32 s26, s18
	s_delay_alu instid0(SALU_CYCLE_1)
	s_xor_b32 s26, exec_lo, s26
	s_cbranch_execz .LBB28_58
.LBB28_125:                             ;   in Loop: Header=BB28_4 Depth=1
	v_dual_mov_b32 v10, v151 :: v_dual_mov_b32 v11, v151
	v_dual_mov_b32 v12, v151 :: v_dual_mov_b32 v13, v151
	ds_store_b128 v170, v[10:13]
	s_and_not1_saveexec_b32 s26, s26
	s_cbranch_execz .LBB28_59
.LBB28_126:                             ;   in Loop: Header=BB28_4 Depth=1
	v_add_nc_u64_e32 v[6:7], s[36:37], v[4:5]
	global_load_b128 v[10:13], v[6:7], off
	s_wait_loadcnt 0x0
	ds_store_2addr_b64 v170, v[10:11], v[12:13] offset1:1
	s_wait_xcnt 0x0
	s_or_b32 exec_lo, exec_lo, s26
	s_and_saveexec_b32 s26, s19
	s_delay_alu instid0(SALU_CYCLE_1)
	s_xor_b32 s26, exec_lo, s26
	s_cbranch_execz .LBB28_60
.LBB28_127:                             ;   in Loop: Header=BB28_4 Depth=1
	v_dual_mov_b32 v10, v151 :: v_dual_mov_b32 v11, v151
	v_dual_mov_b32 v12, v151 :: v_dual_mov_b32 v13, v151
	ds_store_b128 v171, v[10:13]
	s_and_not1_saveexec_b32 s26, s26
	s_cbranch_execz .LBB28_61
.LBB28_128:                             ;   in Loop: Header=BB28_4 Depth=1
	v_add_nc_u64_e32 v[6:7], s[38:39], v[4:5]
	global_load_b128 v[10:13], v[6:7], off
	s_wait_loadcnt 0x0
	ds_store_2addr_b64 v171, v[10:11], v[12:13] offset1:1
	s_wait_xcnt 0x0
	s_or_b32 exec_lo, exec_lo, s26
	s_and_saveexec_b32 s26, s20
	s_delay_alu instid0(SALU_CYCLE_1)
	s_xor_b32 s26, exec_lo, s26
	s_cbranch_execz .LBB28_62
.LBB28_129:                             ;   in Loop: Header=BB28_4 Depth=1
	v_dual_mov_b32 v10, v151 :: v_dual_mov_b32 v11, v151
	v_dual_mov_b32 v12, v151 :: v_dual_mov_b32 v13, v151
	ds_store_b128 v172, v[10:13]
	s_and_not1_saveexec_b32 s26, s26
	s_cbranch_execnz .LBB28_63
	s_branch .LBB28_64
.LBB28_130:                             ;   in Loop: Header=BB28_4 Depth=1
	global_load_b128 v[6:9], v[4:5], off
	s_wait_loadcnt 0x0
	ds_store_2addr_b64 v169, v[6:7], v[8:9] offset1:1
	s_wait_xcnt 0x0
	s_or_b32 exec_lo, exec_lo, s26
	s_and_saveexec_b32 s26, s4
	s_delay_alu instid0(SALU_CYCLE_1)
	s_xor_b32 s26, exec_lo, s26
	s_cbranch_execz .LBB28_98
.LBB28_131:                             ;   in Loop: Header=BB28_4 Depth=1
	v_dual_mov_b32 v6, v151 :: v_dual_mov_b32 v7, v151
	v_dual_mov_b32 v8, v151 :: v_dual_mov_b32 v9, v151
	ds_store_b128 v170, v[6:9]
	s_and_not1_saveexec_b32 s26, s26
	s_cbranch_execz .LBB28_99
.LBB28_132:                             ;   in Loop: Header=BB28_4 Depth=1
	v_add_nc_u64_e32 v[6:7], s[36:37], v[4:5]
	global_load_b128 v[6:9], v[6:7], off
	s_wait_loadcnt 0x0
	ds_store_2addr_b64 v170, v[6:7], v[8:9] offset1:1
	s_wait_xcnt 0x0
	s_or_b32 exec_lo, exec_lo, s26
	s_and_saveexec_b32 s26, s5
	s_delay_alu instid0(SALU_CYCLE_1)
	s_xor_b32 s26, exec_lo, s26
	s_cbranch_execz .LBB28_100
.LBB28_133:                             ;   in Loop: Header=BB28_4 Depth=1
	v_dual_mov_b32 v6, v151 :: v_dual_mov_b32 v7, v151
	v_dual_mov_b32 v8, v151 :: v_dual_mov_b32 v9, v151
	ds_store_b128 v171, v[6:9]
	s_and_not1_saveexec_b32 s26, s26
	s_cbranch_execz .LBB28_101
.LBB28_134:                             ;   in Loop: Header=BB28_4 Depth=1
	v_add_nc_u64_e32 v[6:7], s[38:39], v[4:5]
	global_load_b128 v[6:9], v[6:7], off
	s_wait_loadcnt 0x0
	ds_store_2addr_b64 v171, v[6:7], v[8:9] offset1:1
	s_wait_xcnt 0x0
	s_or_b32 exec_lo, exec_lo, s26
	s_and_saveexec_b32 s26, s6
	s_delay_alu instid0(SALU_CYCLE_1)
	s_xor_b32 s26, exec_lo, s26
	s_cbranch_execz .LBB28_102
.LBB28_135:                             ;   in Loop: Header=BB28_4 Depth=1
	v_dual_mov_b32 v6, v151 :: v_dual_mov_b32 v7, v151
	v_dual_mov_b32 v8, v151 :: v_dual_mov_b32 v9, v151
	ds_store_b128 v172, v[6:9]
	s_and_not1_saveexec_b32 s26, s26
	s_cbranch_execnz .LBB28_103
	s_branch .LBB28_104
.LBB28_136:
	s_sendmsg sendmsg(MSG_DEALLOC_VGPRS)
	s_endpgm
	.section	.rodata,"a",@progbits
	.p2align	6, 0x0
	.amdhsa_kernel _ZL26rocblas_hemvn_kernel_lowerILb1ELi64ELi4ELi33ELi32ELi16El19rocblas_complex_numIdEPKS1_PS1_EviT6_lT7_lT5_lS6_lS7_lS5_lT8_i
		.amdhsa_group_segment_fixed_size 19200
		.amdhsa_private_segment_fixed_size 0
		.amdhsa_kernarg_size 392
		.amdhsa_user_sgpr_count 2
		.amdhsa_user_sgpr_dispatch_ptr 0
		.amdhsa_user_sgpr_queue_ptr 0
		.amdhsa_user_sgpr_kernarg_segment_ptr 1
		.amdhsa_user_sgpr_dispatch_id 0
		.amdhsa_user_sgpr_kernarg_preload_length 0
		.amdhsa_user_sgpr_kernarg_preload_offset 0
		.amdhsa_user_sgpr_private_segment_size 0
		.amdhsa_wavefront_size32 1
		.amdhsa_uses_dynamic_stack 0
		.amdhsa_enable_private_segment 0
		.amdhsa_system_sgpr_workgroup_id_x 1
		.amdhsa_system_sgpr_workgroup_id_y 0
		.amdhsa_system_sgpr_workgroup_id_z 1
		.amdhsa_system_sgpr_workgroup_info 0
		.amdhsa_system_vgpr_workitem_id 1
		.amdhsa_next_free_vgpr 244
		.amdhsa_next_free_sgpr 76
		.amdhsa_named_barrier_count 0
		.amdhsa_reserve_vcc 1
		.amdhsa_float_round_mode_32 0
		.amdhsa_float_round_mode_16_64 0
		.amdhsa_float_denorm_mode_32 3
		.amdhsa_float_denorm_mode_16_64 3
		.amdhsa_fp16_overflow 0
		.amdhsa_memory_ordered 1
		.amdhsa_forward_progress 1
		.amdhsa_inst_pref_size 66
		.amdhsa_round_robin_scheduling 0
		.amdhsa_exception_fp_ieee_invalid_op 0
		.amdhsa_exception_fp_denorm_src 0
		.amdhsa_exception_fp_ieee_div_zero 0
		.amdhsa_exception_fp_ieee_overflow 0
		.amdhsa_exception_fp_ieee_underflow 0
		.amdhsa_exception_fp_ieee_inexact 0
		.amdhsa_exception_int_div_zero 0
	.end_amdhsa_kernel
	.section	.text._ZL26rocblas_hemvn_kernel_lowerILb1ELi64ELi4ELi33ELi32ELi16El19rocblas_complex_numIdEPKS1_PS1_EviT6_lT7_lT5_lS6_lS7_lS5_lT8_i,"axG",@progbits,_ZL26rocblas_hemvn_kernel_lowerILb1ELi64ELi4ELi33ELi32ELi16El19rocblas_complex_numIdEPKS1_PS1_EviT6_lT7_lT5_lS6_lS7_lS5_lT8_i,comdat
.Lfunc_end28:
	.size	_ZL26rocblas_hemvn_kernel_lowerILb1ELi64ELi4ELi33ELi32ELi16El19rocblas_complex_numIdEPKS1_PS1_EviT6_lT7_lT5_lS6_lS7_lS5_lT8_i, .Lfunc_end28-_ZL26rocblas_hemvn_kernel_lowerILb1ELi64ELi4ELi33ELi32ELi16El19rocblas_complex_numIdEPKS1_PS1_EviT6_lT7_lT5_lS6_lS7_lS5_lT8_i
                                        ; -- End function
	.set _ZL26rocblas_hemvn_kernel_lowerILb1ELi64ELi4ELi33ELi32ELi16El19rocblas_complex_numIdEPKS1_PS1_EviT6_lT7_lT5_lS6_lS7_lS5_lT8_i.num_vgpr, 244
	.set _ZL26rocblas_hemvn_kernel_lowerILb1ELi64ELi4ELi33ELi32ELi16El19rocblas_complex_numIdEPKS1_PS1_EviT6_lT7_lT5_lS6_lS7_lS5_lT8_i.num_agpr, 0
	.set _ZL26rocblas_hemvn_kernel_lowerILb1ELi64ELi4ELi33ELi32ELi16El19rocblas_complex_numIdEPKS1_PS1_EviT6_lT7_lT5_lS6_lS7_lS5_lT8_i.numbered_sgpr, 76
	.set _ZL26rocblas_hemvn_kernel_lowerILb1ELi64ELi4ELi33ELi32ELi16El19rocblas_complex_numIdEPKS1_PS1_EviT6_lT7_lT5_lS6_lS7_lS5_lT8_i.num_named_barrier, 0
	.set _ZL26rocblas_hemvn_kernel_lowerILb1ELi64ELi4ELi33ELi32ELi16El19rocblas_complex_numIdEPKS1_PS1_EviT6_lT7_lT5_lS6_lS7_lS5_lT8_i.private_seg_size, 0
	.set _ZL26rocblas_hemvn_kernel_lowerILb1ELi64ELi4ELi33ELi32ELi16El19rocblas_complex_numIdEPKS1_PS1_EviT6_lT7_lT5_lS6_lS7_lS5_lT8_i.uses_vcc, 1
	.set _ZL26rocblas_hemvn_kernel_lowerILb1ELi64ELi4ELi33ELi32ELi16El19rocblas_complex_numIdEPKS1_PS1_EviT6_lT7_lT5_lS6_lS7_lS5_lT8_i.uses_flat_scratch, 0
	.set _ZL26rocblas_hemvn_kernel_lowerILb1ELi64ELi4ELi33ELi32ELi16El19rocblas_complex_numIdEPKS1_PS1_EviT6_lT7_lT5_lS6_lS7_lS5_lT8_i.has_dyn_sized_stack, 0
	.set _ZL26rocblas_hemvn_kernel_lowerILb1ELi64ELi4ELi33ELi32ELi16El19rocblas_complex_numIdEPKS1_PS1_EviT6_lT7_lT5_lS6_lS7_lS5_lT8_i.has_recursion, 0
	.set _ZL26rocblas_hemvn_kernel_lowerILb1ELi64ELi4ELi33ELi32ELi16El19rocblas_complex_numIdEPKS1_PS1_EviT6_lT7_lT5_lS6_lS7_lS5_lT8_i.has_indirect_call, 0
	.section	.AMDGPU.csdata,"",@progbits
; Kernel info:
; codeLenInByte = 8396
; TotalNumSgprs: 78
; NumVgprs: 244
; ScratchSize: 0
; MemoryBound: 0
; FloatMode: 240
; IeeeMode: 1
; LDSByteSize: 19200 bytes/workgroup (compile time only)
; SGPRBlocks: 0
; VGPRBlocks: 15
; NumSGPRsForWavesPerEU: 78
; NumVGPRsForWavesPerEU: 244
; NamedBarCnt: 0
; Occupancy: 4
; WaveLimiterHint : 1
; COMPUTE_PGM_RSRC2:SCRATCH_EN: 0
; COMPUTE_PGM_RSRC2:USER_SGPR: 2
; COMPUTE_PGM_RSRC2:TRAP_HANDLER: 0
; COMPUTE_PGM_RSRC2:TGID_X_EN: 1
; COMPUTE_PGM_RSRC2:TGID_Y_EN: 0
; COMPUTE_PGM_RSRC2:TGID_Z_EN: 1
; COMPUTE_PGM_RSRC2:TIDIG_COMP_CNT: 1
	.section	.text._ZL36rocblas_hemvn_kernel_lower_block_sumILi64El19rocblas_complex_numIdEPS1_S1_EviT1_lS3_lT2_lT0_lPT3_i,"axG",@progbits,_ZL36rocblas_hemvn_kernel_lower_block_sumILi64El19rocblas_complex_numIdEPS1_S1_EviT1_lS3_lT2_lT0_lPT3_i,comdat
	.globl	_ZL36rocblas_hemvn_kernel_lower_block_sumILi64El19rocblas_complex_numIdEPS1_S1_EviT1_lS3_lT2_lT0_lPT3_i ; -- Begin function _ZL36rocblas_hemvn_kernel_lower_block_sumILi64El19rocblas_complex_numIdEPS1_S1_EviT1_lS3_lT2_lT0_lPT3_i
	.p2align	8
	.type	_ZL36rocblas_hemvn_kernel_lower_block_sumILi64El19rocblas_complex_numIdEPS1_S1_EviT1_lS3_lT2_lT0_lPT3_i,@function
_ZL36rocblas_hemvn_kernel_lower_block_sumILi64El19rocblas_complex_numIdEPS1_S1_EviT1_lS3_lT2_lT0_lPT3_i: ; @_ZL36rocblas_hemvn_kernel_lower_block_sumILi64El19rocblas_complex_numIdEPS1_S1_EviT1_lS3_lT2_lT0_lPT3_i
; %bb.0:
	s_load_b32 s24, s[0:1], 0x60
	s_bfe_u32 s2, ttmp6, 0x40014
	s_lshr_b32 s3, ttmp7, 16
	s_add_co_i32 s2, s2, 1
	s_bfe_u32 s4, ttmp6, 0x40008
	s_mul_i32 s2, s3, s2
	s_getreg_b32 s20, hwreg(HW_REG_IB_STS2, 6, 4)
	s_add_co_i32 s4, s4, s2
	s_cmp_eq_u32 s20, 0
	s_cselect_b32 s2, s3, s4
	s_mov_b32 s3, 0
	s_wait_kmcnt 0x0
	s_cmp_ge_u32 s2, s24
	s_cbranch_scc1 .LBB29_24
; %bb.1:
	s_clause 0x3
	s_load_b128 s[12:15], s[0:1], 0x8
	s_load_b32 s22, s[0:1], 0x0
	s_load_b256 s[4:11], s[0:1], 0x40
	s_load_b128 s[16:19], s[0:1], 0x20
	s_bfe_u32 s25, ttmp6, 0x4000c
	s_and_b32 s26, ttmp6, 15
	s_add_co_i32 s25, s25, 1
	s_delay_alu instid0(SALU_CYCLE_1) | instskip(NEXT) | instid1(SALU_CYCLE_1)
	s_mul_i32 s27, ttmp9, s25
	s_add_co_i32 s26, s26, s27
	s_wait_kmcnt 0x0
	v_cmp_neq_f64_e64 s21, s[12:13], 0
	v_cmp_neq_f64_e64 s23, s[14:15], 0
	s_lshl_b64 s[4:5], s[4:5], 4
	v_cmp_neq_f64_e64 s28, s[18:19], 0
	v_cmp_neq_f64_e64 s29, s[16:17], 0
	v_cmp_neq_f64_e64 s27, s[16:17], 1.0
	s_or_b32 s23, s21, s23
	s_delay_alu instid0(SALU_CYCLE_1) | instskip(SKIP_3) | instid1(SALU_CYCLE_1)
	s_xor_b32 s25, s23, -1
	s_cmp_eq_u32 s20, 0
	s_load_b64 s[20:21], s[0:1], 0x38
	s_cselect_b32 s26, ttmp9, s26
	v_lshl_or_b32 v0, s26, 6, v0
	s_delay_alu instid0(VALU_DEP_1) | instskip(NEXT) | instid1(VALU_DEP_1)
	v_mad_u32 v2, s22, s26, v0
	v_dual_ashrrev_i32 v1, 31, v0 :: v_dual_ashrrev_i32 v3, 31, v2
	s_delay_alu instid0(VALU_DEP_1)
	v_mul_u64_e32 v[4:5], s[6:7], v[0:1]
	s_add_nc_u64 s[6:7], s[0:1], 0x68
	s_wait_xcnt 0x0
	v_cmp_gt_i32_e64 s0, s22, v0
	s_or_b32 s1, s23, s27
	v_lshl_add_u64 v[2:3], v[2:3], 4, s[10:11]
	s_or_b32 s10, s29, s28
	s_ashr_i32 s23, s22, 31
	v_cndmask_b32_e64 v10, 0, 1, s10
	s_wait_kmcnt 0x0
	s_add_nc_u64 s[4:5], s[20:21], s[4:5]
	v_add_nc_u64_e32 v[6:7], 8, v[2:3]
	s_or_b32 s1, s1, s28
	s_xor_b32 s27, s10, -1
	s_lshl_b64 s[10:11], s[22:23], 4
	s_branch .LBB29_4
.LBB29_2:                               ;   in Loop: Header=BB29_4 Depth=1
	s_wait_xcnt 0x0
	s_or_b32 exec_lo, exec_lo, s22
.LBB29_3:                               ;   in Loop: Header=BB29_4 Depth=1
	s_add_co_i32 s2, s2, 0x10000
	s_delay_alu instid0(SALU_CYCLE_1)
	s_cmp_lt_u32 s2, s24
	s_cbranch_scc0 .LBB29_24
.LBB29_4:                               ; =>This Loop Header: Depth=1
                                        ;     Child Loop BB29_15 Depth 2
	s_and_not1_b32 vcc_lo, exec_lo, s1
	s_cbranch_vccnz .LBB29_3
; %bb.5:                                ;   in Loop: Header=BB29_4 Depth=1
	s_mul_u64 s[20:21], s[8:9], s[2:3]
	s_and_not1_b32 vcc_lo, exec_lo, s25
	s_lshl_b64 s[20:21], s[20:21], 4
	s_delay_alu instid0(SALU_CYCLE_1)
	s_add_nc_u64 s[20:21], s[4:5], s[20:21]
	s_cbranch_vccnz .LBB29_10
; %bb.6:                                ;   in Loop: Header=BB29_4 Depth=1
	s_mov_b32 s22, 0
	s_mov_b32 s28, 0
                                        ; implicit-def: $vgpr2_vgpr3
	s_and_saveexec_b32 s23, s0
	s_cbranch_execz .LBB29_11
; %bb.7:                                ;   in Loop: Header=BB29_4 Depth=1
	v_mov_b64_e32 v[2:3], 0
	v_cmp_ne_u32_e32 vcc_lo, 1, v10
	v_mov_b64_e32 v[0:1], 0
	s_cbranch_vccnz .LBB29_9
; %bb.8:                                ;   in Loop: Header=BB29_4 Depth=1
	v_lshl_add_u64 v[0:1], v[4:5], 4, s[20:21]
	global_load_b128 v[12:15], v[0:1], off
	s_wait_loadcnt 0x0
	s_wait_xcnt 0x0
	v_mul_f64_e32 v[0:1], s[18:19], v[14:15]
	v_mul_f64_e32 v[2:3], s[16:17], v[14:15]
	s_delay_alu instid0(VALU_DEP_2) | instskip(NEXT) | instid1(VALU_DEP_2)
	v_fma_f64 v[0:1], s[16:17], v[12:13], -v[0:1]
	v_fmac_f64_e32 v[2:3], s[18:19], v[12:13]
.LBB29_9:                               ;   in Loop: Header=BB29_4 Depth=1
	s_mov_b32 s28, exec_lo
	s_or_b32 exec_lo, exec_lo, s23
	s_delay_alu instid0(SALU_CYCLE_1)
	s_and_b32 vcc_lo, exec_lo, s22
	s_cbranch_vccnz .LBB29_12
	s_branch .LBB29_22
.LBB29_10:                              ;   in Loop: Header=BB29_4 Depth=1
	s_mov_b32 s28, 0
                                        ; implicit-def: $vgpr2_vgpr3
	s_cbranch_execnz .LBB29_12
	s_branch .LBB29_22
.LBB29_11:                              ;   in Loop: Header=BB29_4 Depth=1
	s_or_b32 exec_lo, exec_lo, s23
	s_delay_alu instid0(SALU_CYCLE_1)
	s_and_b32 vcc_lo, exec_lo, s22
	s_cbranch_vccz .LBB29_22
.LBB29_12:                              ;   in Loop: Header=BB29_4 Depth=1
                                        ; implicit-def: $vgpr2_vgpr3
	s_and_saveexec_b32 s29, s0
	s_cbranch_execz .LBB29_21
; %bb.13:                               ;   in Loop: Header=BB29_4 Depth=1
	s_load_b32 s22, s[6:7], 0x0
	v_mov_b64_e32 v[0:1], 0
	v_mov_b64_e32 v[8:9], 0
	s_wait_kmcnt 0x0
	s_cmp_ge_i32 s26, s22
	s_cbranch_scc1 .LBB29_16
; %bb.14:                               ;   in Loop: Header=BB29_4 Depth=1
	s_mov_b32 s23, s3
	v_mov_b64_e32 v[0:1], 0
	s_mul_u64 s[30:31], s[10:11], s[22:23]
	v_mov_b64_e32 v[8:9], 0
	v_mad_nc_u64_u32 v[2:3], s30, s2, v[6:7]
	s_mov_b32 s23, s26
	s_delay_alu instid0(VALU_DEP_1)
	v_mad_u32 v3, s31, s2, v3
.LBB29_15:                              ;   Parent Loop BB29_4 Depth=1
                                        ; =>  This Inner Loop Header: Depth=2
	global_load_b128 v[12:15], v[2:3], off offset:-8
	s_wait_xcnt 0x0
	v_add_nc_u64_e32 v[2:3], s[10:11], v[2:3]
	s_add_co_i32 s23, s23, 1
	s_delay_alu instid0(SALU_CYCLE_1)
	s_cmp_ge_i32 s23, s22
	s_wait_loadcnt 0x0
	v_add_f64_e32 v[8:9], v[8:9], v[12:13]
	v_add_f64_e32 v[0:1], v[0:1], v[14:15]
	s_cbranch_scc0 .LBB29_15
.LBB29_16:                              ;   in Loop: Header=BB29_4 Depth=1
	s_delay_alu instid0(VALU_DEP_1) | instskip(SKIP_3) | instid1(VALU_DEP_2)
	v_mul_f64_e32 v[12:13], s[14:15], v[0:1]
	v_mul_f64_e32 v[2:3], s[12:13], v[0:1]
	s_and_b32 vcc_lo, exec_lo, s27
	s_mov_b32 s22, -1
	v_fma_f64 v[0:1], s[12:13], v[8:9], -v[12:13]
	s_delay_alu instid0(VALU_DEP_2)
	v_fmac_f64_e32 v[2:3], s[14:15], v[8:9]
	s_cbranch_vccz .LBB29_18
; %bb.17:                               ;   in Loop: Header=BB29_4 Depth=1
	s_mov_b32 s22, 0
.LBB29_18:                              ;   in Loop: Header=BB29_4 Depth=1
	s_delay_alu instid0(SALU_CYCLE_1)
	s_and_not1_b32 vcc_lo, exec_lo, s22
	s_cbranch_vccnz .LBB29_20
; %bb.19:                               ;   in Loop: Header=BB29_4 Depth=1
	v_lshl_add_u64 v[8:9], v[4:5], 4, s[20:21]
	global_load_b128 v[12:15], v[8:9], off
	s_wait_loadcnt 0x0
	s_wait_xcnt 0x0
	v_mul_f64_e32 v[8:9], s[18:19], v[14:15]
	v_mul_f64_e32 v[14:15], s[16:17], v[14:15]
	s_delay_alu instid0(VALU_DEP_2) | instskip(NEXT) | instid1(VALU_DEP_2)
	v_fma_f64 v[8:9], s[16:17], v[12:13], -v[8:9]
	v_fmac_f64_e32 v[14:15], s[18:19], v[12:13]
	s_delay_alu instid0(VALU_DEP_2) | instskip(NEXT) | instid1(VALU_DEP_2)
	v_add_f64_e32 v[0:1], v[0:1], v[8:9]
	v_add_f64_e32 v[2:3], v[2:3], v[14:15]
.LBB29_20:                              ;   in Loop: Header=BB29_4 Depth=1
	s_or_b32 s28, s28, exec_lo
.LBB29_21:                              ;   in Loop: Header=BB29_4 Depth=1
	s_or_b32 exec_lo, exec_lo, s29
.LBB29_22:                              ;   in Loop: Header=BB29_4 Depth=1
	s_and_saveexec_b32 s22, s28
	s_cbranch_execz .LBB29_2
; %bb.23:                               ;   in Loop: Header=BB29_4 Depth=1
	v_lshl_add_u64 v[8:9], v[4:5], 4, s[20:21]
	global_store_b128 v[8:9], v[0:3], off
	s_branch .LBB29_2
.LBB29_24:
	s_endpgm
	.section	.rodata,"a",@progbits
	.p2align	6, 0x0
	.amdhsa_kernel _ZL36rocblas_hemvn_kernel_lower_block_sumILi64El19rocblas_complex_numIdEPS1_S1_EviT1_lS3_lT2_lT0_lPT3_i
		.amdhsa_group_segment_fixed_size 0
		.amdhsa_private_segment_fixed_size 0
		.amdhsa_kernarg_size 360
		.amdhsa_user_sgpr_count 2
		.amdhsa_user_sgpr_dispatch_ptr 0
		.amdhsa_user_sgpr_queue_ptr 0
		.amdhsa_user_sgpr_kernarg_segment_ptr 1
		.amdhsa_user_sgpr_dispatch_id 0
		.amdhsa_user_sgpr_kernarg_preload_length 0
		.amdhsa_user_sgpr_kernarg_preload_offset 0
		.amdhsa_user_sgpr_private_segment_size 0
		.amdhsa_wavefront_size32 1
		.amdhsa_uses_dynamic_stack 0
		.amdhsa_enable_private_segment 0
		.amdhsa_system_sgpr_workgroup_id_x 1
		.amdhsa_system_sgpr_workgroup_id_y 0
		.amdhsa_system_sgpr_workgroup_id_z 1
		.amdhsa_system_sgpr_workgroup_info 0
		.amdhsa_system_vgpr_workitem_id 0
		.amdhsa_next_free_vgpr 16
		.amdhsa_next_free_sgpr 32
		.amdhsa_named_barrier_count 0
		.amdhsa_reserve_vcc 1
		.amdhsa_float_round_mode_32 0
		.amdhsa_float_round_mode_16_64 0
		.amdhsa_float_denorm_mode_32 3
		.amdhsa_float_denorm_mode_16_64 3
		.amdhsa_fp16_overflow 0
		.amdhsa_memory_ordered 1
		.amdhsa_forward_progress 1
		.amdhsa_inst_pref_size 7
		.amdhsa_round_robin_scheduling 0
		.amdhsa_exception_fp_ieee_invalid_op 0
		.amdhsa_exception_fp_denorm_src 0
		.amdhsa_exception_fp_ieee_div_zero 0
		.amdhsa_exception_fp_ieee_overflow 0
		.amdhsa_exception_fp_ieee_underflow 0
		.amdhsa_exception_fp_ieee_inexact 0
		.amdhsa_exception_int_div_zero 0
	.end_amdhsa_kernel
	.section	.text._ZL36rocblas_hemvn_kernel_lower_block_sumILi64El19rocblas_complex_numIdEPS1_S1_EviT1_lS3_lT2_lT0_lPT3_i,"axG",@progbits,_ZL36rocblas_hemvn_kernel_lower_block_sumILi64El19rocblas_complex_numIdEPS1_S1_EviT1_lS3_lT2_lT0_lPT3_i,comdat
.Lfunc_end29:
	.size	_ZL36rocblas_hemvn_kernel_lower_block_sumILi64El19rocblas_complex_numIdEPS1_S1_EviT1_lS3_lT2_lT0_lPT3_i, .Lfunc_end29-_ZL36rocblas_hemvn_kernel_lower_block_sumILi64El19rocblas_complex_numIdEPS1_S1_EviT1_lS3_lT2_lT0_lPT3_i
                                        ; -- End function
	.set _ZL36rocblas_hemvn_kernel_lower_block_sumILi64El19rocblas_complex_numIdEPS1_S1_EviT1_lS3_lT2_lT0_lPT3_i.num_vgpr, 16
	.set _ZL36rocblas_hemvn_kernel_lower_block_sumILi64El19rocblas_complex_numIdEPS1_S1_EviT1_lS3_lT2_lT0_lPT3_i.num_agpr, 0
	.set _ZL36rocblas_hemvn_kernel_lower_block_sumILi64El19rocblas_complex_numIdEPS1_S1_EviT1_lS3_lT2_lT0_lPT3_i.numbered_sgpr, 32
	.set _ZL36rocblas_hemvn_kernel_lower_block_sumILi64El19rocblas_complex_numIdEPS1_S1_EviT1_lS3_lT2_lT0_lPT3_i.num_named_barrier, 0
	.set _ZL36rocblas_hemvn_kernel_lower_block_sumILi64El19rocblas_complex_numIdEPS1_S1_EviT1_lS3_lT2_lT0_lPT3_i.private_seg_size, 0
	.set _ZL36rocblas_hemvn_kernel_lower_block_sumILi64El19rocblas_complex_numIdEPS1_S1_EviT1_lS3_lT2_lT0_lPT3_i.uses_vcc, 1
	.set _ZL36rocblas_hemvn_kernel_lower_block_sumILi64El19rocblas_complex_numIdEPS1_S1_EviT1_lS3_lT2_lT0_lPT3_i.uses_flat_scratch, 0
	.set _ZL36rocblas_hemvn_kernel_lower_block_sumILi64El19rocblas_complex_numIdEPS1_S1_EviT1_lS3_lT2_lT0_lPT3_i.has_dyn_sized_stack, 0
	.set _ZL36rocblas_hemvn_kernel_lower_block_sumILi64El19rocblas_complex_numIdEPS1_S1_EviT1_lS3_lT2_lT0_lPT3_i.has_recursion, 0
	.set _ZL36rocblas_hemvn_kernel_lower_block_sumILi64El19rocblas_complex_numIdEPS1_S1_EviT1_lS3_lT2_lT0_lPT3_i.has_indirect_call, 0
	.section	.AMDGPU.csdata,"",@progbits
; Kernel info:
; codeLenInByte = 808
; TotalNumSgprs: 34
; NumVgprs: 16
; ScratchSize: 0
; MemoryBound: 0
; FloatMode: 240
; IeeeMode: 1
; LDSByteSize: 0 bytes/workgroup (compile time only)
; SGPRBlocks: 0
; VGPRBlocks: 0
; NumSGPRsForWavesPerEU: 34
; NumVGPRsForWavesPerEU: 16
; NamedBarCnt: 0
; Occupancy: 16
; WaveLimiterHint : 0
; COMPUTE_PGM_RSRC2:SCRATCH_EN: 0
; COMPUTE_PGM_RSRC2:USER_SGPR: 2
; COMPUTE_PGM_RSRC2:TRAP_HANDLER: 0
; COMPUTE_PGM_RSRC2:TGID_X_EN: 1
; COMPUTE_PGM_RSRC2:TGID_Y_EN: 0
; COMPUTE_PGM_RSRC2:TGID_Z_EN: 1
; COMPUTE_PGM_RSRC2:TIDIG_COMP_CNT: 0
	.section	.text._ZL26rocblas_hemvn_kernel_lowerILb1ELi64ELi4ELi33ELi32ELi16Ei19rocblas_complex_numIdEPKS1_PS1_EviT6_lT7_lT5_lS6_lS7_lS5_lT8_i,"axG",@progbits,_ZL26rocblas_hemvn_kernel_lowerILb1ELi64ELi4ELi33ELi32ELi16Ei19rocblas_complex_numIdEPKS1_PS1_EviT6_lT7_lT5_lS6_lS7_lS5_lT8_i,comdat
	.globl	_ZL26rocblas_hemvn_kernel_lowerILb1ELi64ELi4ELi33ELi32ELi16Ei19rocblas_complex_numIdEPKS1_PS1_EviT6_lT7_lT5_lS6_lS7_lS5_lT8_i ; -- Begin function _ZL26rocblas_hemvn_kernel_lowerILb1ELi64ELi4ELi33ELi32ELi16Ei19rocblas_complex_numIdEPKS1_PS1_EviT6_lT7_lT5_lS6_lS7_lS5_lT8_i
	.p2align	8
	.type	_ZL26rocblas_hemvn_kernel_lowerILb1ELi64ELi4ELi33ELi32ELi16Ei19rocblas_complex_numIdEPKS1_PS1_EviT6_lT7_lT5_lS6_lS7_lS5_lT8_i,@function
_ZL26rocblas_hemvn_kernel_lowerILb1ELi64ELi4ELi33ELi32ELi16Ei19rocblas_complex_numIdEPKS1_PS1_EviT6_lT7_lT5_lS6_lS7_lS5_lT8_i: ; @_ZL26rocblas_hemvn_kernel_lowerILb1ELi64ELi4ELi33ELi32ELi16Ei19rocblas_complex_numIdEPKS1_PS1_EviT6_lT7_lT5_lS6_lS7_lS5_lT8_i
; %bb.0:
	s_clause 0x1
	s_load_b64 s[2:3], s[0:1], 0x94
	s_load_b32 s23, s[0:1], 0x80
	s_bfe_u32 s4, ttmp6, 0x40014
	s_lshr_b32 s5, ttmp7, 16
	s_add_co_i32 s4, s4, 1
	s_bfe_u32 s6, ttmp6, 0x40008
	s_mul_i32 s4, s5, s4
	s_getreg_b32 s18, hwreg(HW_REG_IB_STS2, 6, 4)
	s_add_co_i32 s6, s6, s4
	s_mov_b32 s29, 0
	s_wait_kmcnt 0x0
	s_lshr_b32 s4, s2, 16
	s_and_b32 s2, s2, 0xffff
	s_and_b32 s3, s3, 0xffff
	s_mul_i32 s2, s4, s2
	s_cmp_eq_u32 s18, 0
	s_mul_i32 s2, s2, s3
	s_cselect_b32 s28, s5, s6
	s_cmp_lg_u32 s2, 0x100
	s_cselect_b32 s2, -1, 0
	s_cmp_ge_u32 s28, s23
	s_cselect_b32 s3, -1, 0
	s_delay_alu instid0(SALU_CYCLE_1) | instskip(NEXT) | instid1(SALU_CYCLE_1)
	s_or_b32 s2, s2, s3
	s_and_b32 vcc_lo, exec_lo, s2
	s_cbranch_vccnz .LBB30_136
; %bb.1:
	s_clause 0x1
	s_load_b128 s[12:15], s[0:1], 0x8
	s_load_b32 s2, s[0:1], 0x0
	s_add_nc_u64 s[34:35], s[0:1], 0x88
	s_clause 0x6
	s_load_b128 s[4:7], s[0:1], 0x20
	s_load_b32 s62, s[0:1], 0x30
	s_load_b128 s[24:27], s[0:1], 0x38
	s_load_b96 s[20:22], s[0:1], 0x48
	s_load_b64 s[16:17], s[0:1], 0x78
	s_load_b64 s[30:31], s[0:1], 0x58
	s_load_b128 s[8:11], s[0:1], 0x60
	v_bfe_u32 v1, v0, 10, 10
	v_and_b32_e32 v144, 0x3ff, v0
	s_load_b32 s36, s[34:35], 0x0
	v_and_b32_e32 v146, 31, v0
	s_bfe_u32 s19, ttmp6, 0x4000c
	v_lshlrev_b32_e32 v6, 6, v1
	s_add_co_i32 s19, s19, 1
	v_lshlrev_b32_e32 v166, 4, v144
	s_and_b32 s3, ttmp6, 15
	s_mov_b32 s37, s29
	v_dual_add_nc_u32 v7, v6, v144 :: v_dual_lshlrev_b32 v8, 4, v146
	v_mul_u32_u24_e32 v16, 33, v146
	s_wait_xcnt 0x0
	v_cmp_eq_u32_e64 s0, 0, v1
	v_add_nc_u32_e32 v167, 0x4700, v166
	s_wait_kmcnt 0x0
	v_cmp_neq_f64_e64 s1, s[12:13], 0
	v_cmp_neq_f64_e64 s12, s[14:15], 0
	v_lshrrev_b32_e32 v9, 5, v7
	s_mul_i32 s13, ttmp9, s19
	s_ashr_i32 s63, s62, 31
	s_add_co_i32 s13, s3, s13
	s_ashr_i32 s3, s2, 31
	s_cmp_eq_u32 s18, 0
	v_mad_u32 v2, s62, v9, v146
	s_cselect_b32 s33, ttmp9, s13
	s_mul_u64 s[34:35], s[36:37], s[2:3]
	s_lshl_b32 s48, s33, 6
	s_lshr_b32 s3, s3, 26
	v_add_nc_u32_e32 v148, s48, v144
	s_add_co_i32 s3, s2, s3
	v_cmp_neq_f64_e64 s54, s[10:11], 0
	s_and_not1_b32 s3, s3, 63
	s_add_co_i32 s10, s36, -1
	v_cmp_neq_f64_e64 s52, s[8:9], 1.0
	v_ashrrev_i32_e32 v3, 31, v2
	v_mul_lo_u32 v4, s22, v148
	s_lshl_b64 s[8:9], s[20:21], 4
	s_lshl_b64 s[6:7], s[6:7], 4
	s_sub_co_i32 s3, s2, s3
	s_add_nc_u64 s[8:9], s[26:27], s[8:9]
	s_add_nc_u64 s[4:5], s[4:5], s[6:7]
	v_mov_b32_e32 v147, 0
	s_mul_i32 s50, s62, s48
	v_dual_add_nc_u32 v10, 24, v9 :: v_dual_lshlrev_b32 v11, 2, v9
	v_lshl_or_b32 v12, v146, 9, v8
	s_delay_alu instid0(VALU_DEP_4)
	v_dual_ashrrev_i32 v5, 31, v4 :: v_dual_lshlrev_b32 v13, 6, v9
	s_or_b32 s53, s1, s12
	s_cmp_eq_u32 s33, s10
	v_or_b32_e32 v14, 1, v11
	s_cselect_b32 s26, s3, 0
	v_lshl_add_u64 v[150:151], v[4:5], 4, s[8:9]
	s_cmp_eq_u32 s26, 0
	v_dual_add_nc_u32 v173, v12, v13 :: v_dual_bitop2_b32 v12, 2, v11 bitop3:0x54
	s_cselect_b32 s68, -1, 0
	s_cmp_lg_u32 s26, 0
	v_cmp_eq_u32_e64 s8, v11, v146
	s_cselect_b32 s1, -1, 0
	s_ashr_i32 s49, s48, 31
	s_ashr_i32 s51, s50, 31
	s_lshl_b64 s[6:7], s[48:49], 4
	s_sub_co_i32 s20, s26, 32
	s_add_nc_u64 s[4:5], s[4:5], s[6:7]
	v_cmp_ge_u32_e64 s7, v11, v146
	v_lshl_add_u64 v[4:5], v[2:3], 4, s[4:5]
	v_dual_add_nc_u32 v174, 16, v173 :: v_dual_bitop2_b32 v11, 3, v11 bitop3:0x54
	v_cmp_ge_u32_e64 s11, v12, v146
	v_cmp_eq_u32_e64 s12, v12, v146
	s_delay_alu instid0(VALU_DEP_4) | instskip(SKIP_3) | instid1(VALU_DEP_3)
	v_lshl_add_u64 v[152:153], s[50:51], 4, v[4:5]
	v_dual_add_nc_u32 v4, 8, v9 :: v_dual_add_nc_u32 v5, 16, v9
	v_dual_add_nc_u32 v175, 32, v173 :: v_dual_lshlrev_b32 v176, 4, v16
	v_lshlrev_b32_e32 v12, 4, v9
	v_cmp_le_i32_e64 s4, s26, v4
	v_cmp_le_i32_e64 s18, s20, v4
	v_mul_lo_u32 v4, v1, s62
	s_mul_i32 s2, s2, s33
	v_cmp_ge_u32_e64 s13, v11, v146
	v_cmp_eq_u32_e64 s14, v11, v146
	v_dual_add_nc_u32 v177, 48, v173 :: v_dual_bitop2_b32 v11, 32, v146 bitop3:0x54
	v_add_nc_u32_e32 v179, v176, v12
	s_ashr_i32 s3, s2, 31
	v_mad_u32_u24 v168, 0x210, v9, v8
	s_lshl_b64 s[2:3], s[2:3], 4
	v_cmp_le_i32_e64 s5, s26, v5
	s_add_nc_u64 s[36:37], s[16:17], s[2:3]
	v_cmp_le_i32_e64 s3, s26, v9
	v_mul_u32_u24_e32 v15, 0x840, v9
	v_cmp_le_i32_e64 s17, s20, v9
	v_cmp_le_i32_e64 s19, s20, v5
	v_cmp_eq_u32_e64 s21, 1, v9
	v_mul_i32_i24_e32 v5, 0xffffffd0, v9
	v_mad_u32_u24 v180, v9, 48, v179
	v_lshrrev_b32_e32 v9, 4, v7
	v_lshl_add_u32 v156, v4, 2, v144
	v_cmp_le_i32_e32 vcc_lo, s26, v144
	v_and_b32_e32 v4, 15, v0
	v_sub_nc_u64_e32 v[158:159], 0, v[2:3]
	v_dual_add_nc_u32 v189, v8, v15 :: v_dual_bitop2_b32 v0, 48, v0 bitop3:0x40
	v_dual_ashrrev_i32 v157, 31, v156 :: v_dual_lshlrev_b32 v2, 6, v9
	v_dual_mov_b32 v145, v147 :: v_dual_add_nc_u32 v170, 0x2100, v168
	s_and_b32 s1, s1, vcc_lo
	s_lshl_b32 s38, s62, 3
	s_lshl_b32 s40, s62, 4
	s_mul_i32 s42, s62, 24
	v_cmp_ge_u32_e64 s9, v14, v146
	v_cmp_eq_u32_e64 s10, v14, v146
	v_mul_u32_u24_e32 v14, 0x210, v14
	v_add_nc_u32_e32 v178, 0x4700, v13
	s_lshl_b32 s44, s62, 5
	s_mul_i32 s48, s22, s48
	s_delay_alu instid0(VALU_DEP_2)
	v_dual_lshlrev_b32 v0, 4, v0 :: v_dual_add_nc_u32 v190, v8, v14
	v_or_b32_e32 v3, 0xf0, v166
	v_mad_u32_u24 v183, 0x430, v4, v2
	v_mul_i32_i24_e32 v2, 0xffffffd0, v9
	s_ashr_i32 s39, s38, 31
	s_ashr_i32 s41, s40, 31
	;; [unrolled: 1-line block ×5, first 2 shown]
	s_xor_b32 s55, s1, -1
	s_ashr_i32 s49, s48, 31
	v_sub_nc_u64_e32 v[154:155], 0, v[146:147]
	s_cmp_gt_i32 s33, 0
	v_sub_nc_u64_e32 v[160:161], 0, v[144:145]
	v_add_nc_u32_e32 v169, 0x1080, v168
	v_add_nc_u32_e32 v171, 0x3180, v168
	v_cmp_gt_i32_e64 s2, s26, v146
	v_cmp_le_i32_e64 s6, s26, v10
	v_mad_u32_u24 v172, 0x210, v146, v8
	v_cmp_gt_u32_e64 s15, 32, v7
	v_cmp_gt_i32_e64 s16, s26, v11
	v_cmp_le_i32_e64 s20, s20, v10
	s_cselect_b32 s69, -1, 0
	s_lshl_b32 s70, s22, 6
	v_add_nc_u32_e32 v145, 0x4300, v166
	v_add_nc_u32_e32 v181, 0x4300, v6
	v_mad_u32_u24 v182, 0x10c0, v1, v166
	v_cmp_gt_u32_e64 s22, 64, v7
	v_mad_u32_u24 v184, 0x430, v4, v0
	v_mad_u32_u24 v185, 0x430, v4, v3
	;; [unrolled: 1-line block ×3, first 2 shown]
	v_dual_ashrrev_i32 v149, 31, v148 :: v_dual_add_nc_u32 v191, v178, v5
	v_cndmask_b32_e64 v187, 0, 1, s53
	v_add_nc_u32_e32 v188, 0x4700, v12
	v_add_nc_u32_e32 v192, v183, v2
	v_lshlrev_b32_e32 v146, 4, v146
	s_and_b32 s71, s0, s55
	s_or_b32 s55, s53, s52
	s_sub_nc_u64 s[46:47], 0, s[44:45]
	s_sub_nc_u64 s[48:49], 0, s[48:49]
	;; [unrolled: 1-line block ×3, first 2 shown]
	s_lshl_b64 s[52:53], s[62:63], 7
	s_or_b32 s72, s55, s54
	s_mov_b64 s[54:55], 0xfffffffffffffdf0
	s_mov_b64 s[56:57], 0xfffffffffffffe00
	s_sub_nc_u64 s[58:59], 0, s[26:27]
	s_lshl_b64 s[60:61], s[62:63], 4
	s_mul_u64 s[62:63], s[62:63], 0xd0
	s_branch .LBB30_4
.LBB30_2:                               ;   in Loop: Header=BB30_4 Depth=1
	s_wait_xcnt 0x0
	s_or_b32 exec_lo, exec_lo, s66
.LBB30_3:                               ;   in Loop: Header=BB30_4 Depth=1
	s_add_co_i32 s28, s28, 0x10000
	s_delay_alu instid0(SALU_CYCLE_1)
	s_cmp_lt_u32 s28, s23
	s_cbranch_scc0 .LBB30_136
.LBB30_4:                               ; =>This Loop Header: Depth=1
                                        ;     Child Loop BB30_112 Depth 2
	s_and_not1_b32 vcc_lo, exec_lo, s72
	s_cbranch_vccnz .LBB30_3
; %bb.5:                                ;   in Loop: Header=BB30_4 Depth=1
	v_cmp_ne_u32_e32 vcc_lo, 1, v187
	s_cbranch_vccnz .LBB30_3
; %bb.6:                                ;   in Loop: Header=BB30_4 Depth=1
	s_mul_u64 s[64:65], s[30:31], s[28:29]
	s_delay_alu instid0(SALU_CYCLE_1)
	v_lshl_add_u64 v[36:37], s[64:65], 4, v[150:151]
	s_and_saveexec_b32 s64, s0
	s_cbranch_execz .LBB30_11
; %bb.7:                                ;   in Loop: Header=BB30_4 Depth=1
	s_and_saveexec_b32 s65, s1
	s_delay_alu instid0(SALU_CYCLE_1)
	s_xor_b32 s65, exec_lo, s65
; %bb.8:                                ;   in Loop: Header=BB30_4 Depth=1
	v_dual_mov_b32 v0, v147 :: v_dual_mov_b32 v1, v147
	v_dual_mov_b32 v2, v147 :: v_dual_mov_b32 v3, v147
	ds_store_b128 v167, v[0:3]
; %bb.9:                                ;   in Loop: Header=BB30_4 Depth=1
	s_and_not1_saveexec_b32 s65, s65
	s_cbranch_execz .LBB30_11
; %bb.10:                               ;   in Loop: Header=BB30_4 Depth=1
	global_load_b128 v[0:3], v[36:37], off
	s_wait_loadcnt 0x0
	ds_store_2addr_b64 v167, v[0:1], v[2:3] offset1:1
.LBB30_11:                              ;   in Loop: Header=BB30_4 Depth=1
	s_wait_xcnt 0x0
	s_or_b32 exec_lo, exec_lo, s64
	s_mul_u64 s[64:65], s[24:25], s[28:29]
	s_and_not1_b32 vcc_lo, exec_lo, s68
	v_lshl_add_u64 v[4:5], s[64:65], 4, v[152:153]
	s_mov_b32 s64, -1
	s_cbranch_vccnz .LBB30_13
; %bb.12:                               ;   in Loop: Header=BB30_4 Depth=1
	s_delay_alu instid0(VALU_DEP_1) | instskip(SKIP_1) | instid1(VALU_DEP_1)
	v_lshl_add_u64 v[6:7], s[38:39], 4, v[4:5]
	s_mov_b32 s64, 0
	v_add_nc_u64_e32 v[10:11], s[52:53], v[6:7]
	s_delay_alu instid0(VALU_DEP_1)
	v_add_nc_u64_e32 v[14:15], s[52:53], v[10:11]
	s_clause 0x3
	global_load_b128 v[0:3], v[4:5], off
	global_load_b128 v[6:9], v[6:7], off
	;; [unrolled: 1-line block ×4, first 2 shown]
	s_wait_loadcnt 0x3
	ds_store_2addr_b64 v168, v[0:1], v[2:3] offset1:1
	s_wait_loadcnt 0x2
	ds_store_2addr_b64 v169, v[6:7], v[8:9] offset1:1
	s_wait_loadcnt 0x1
	ds_store_2addr_b64 v170, v[10:11], v[12:13] offset1:1
	s_wait_loadcnt 0x0
	ds_store_2addr_b64 v171, v[14:15], v[16:17] offset1:1
.LBB30_13:                              ;   in Loop: Header=BB30_4 Depth=1
	s_and_not1_b32 vcc_lo, exec_lo, s64
	s_cbranch_vccnz .LBB30_25
; %bb.14:                               ;   in Loop: Header=BB30_4 Depth=1
	s_wait_xcnt 0x0
	s_and_saveexec_b32 s64, s3
	s_delay_alu instid0(SALU_CYCLE_1)
	s_xor_b32 s64, exec_lo, s64
; %bb.15:                               ;   in Loop: Header=BB30_4 Depth=1
	v_dual_mov_b32 v0, v147 :: v_dual_mov_b32 v1, v147
	v_dual_mov_b32 v2, v147 :: v_dual_mov_b32 v3, v147
	ds_store_b128 v168, v[0:3]
; %bb.16:                               ;   in Loop: Header=BB30_4 Depth=1
	s_or_saveexec_b32 s64, s64
	v_lshl_add_u64 v[0:1], v[154:155], 4, v[4:5]
	s_delay_alu instid0(VALU_DEP_1) | instskip(NEXT) | instid1(VALU_DEP_1)
	v_lshl_add_u64 v[0:1], s[26:27], 4, v[0:1]
	v_add_nc_u64_e32 v[0:1], -16, v[0:1]
	s_delay_alu instid0(VALU_DEP_1)
	v_dual_cndmask_b32 v1, v1, v5, s2 :: v_dual_cndmask_b32 v0, v0, v4, s2
	s_xor_b32 exec_lo, exec_lo, s64
	s_cbranch_execnz .LBB30_118
; %bb.17:                               ;   in Loop: Header=BB30_4 Depth=1
	s_or_b32 exec_lo, exec_lo, s64
	s_and_saveexec_b32 s64, s4
	s_delay_alu instid0(SALU_CYCLE_1)
	s_xor_b32 s64, exec_lo, s64
	s_cbranch_execnz .LBB30_119
.LBB30_18:                              ;   in Loop: Header=BB30_4 Depth=1
	s_and_not1_saveexec_b32 s64, s64
	s_cbranch_execnz .LBB30_120
.LBB30_19:                              ;   in Loop: Header=BB30_4 Depth=1
	s_or_b32 exec_lo, exec_lo, s64
	s_and_saveexec_b32 s64, s5
	s_delay_alu instid0(SALU_CYCLE_1)
	s_xor_b32 s64, exec_lo, s64
	s_cbranch_execnz .LBB30_121
.LBB30_20:                              ;   in Loop: Header=BB30_4 Depth=1
	s_and_not1_saveexec_b32 s64, s64
	s_cbranch_execnz .LBB30_122
.LBB30_21:                              ;   in Loop: Header=BB30_4 Depth=1
	s_or_b32 exec_lo, exec_lo, s64
	s_and_saveexec_b32 s64, s6
	s_delay_alu instid0(SALU_CYCLE_1)
	s_xor_b32 s64, exec_lo, s64
	s_cbranch_execnz .LBB30_123
.LBB30_22:                              ;   in Loop: Header=BB30_4 Depth=1
	s_and_not1_saveexec_b32 s64, s64
	s_cbranch_execz .LBB30_24
.LBB30_23:                              ;   in Loop: Header=BB30_4 Depth=1
	v_lshl_add_u64 v[2:3], s[42:43], 4, v[0:1]
	global_load_b128 v[6:9], v[2:3], off
	s_wait_loadcnt 0x0
	ds_store_2addr_b64 v171, v[6:7], v[8:9] offset1:1
.LBB30_24:                              ;   in Loop: Header=BB30_4 Depth=1
	s_wait_xcnt 0x0
	s_or_b32 exec_lo, exec_lo, s64
	v_add_nc_u64_e32 v[0:1], v[0:1], v[146:147]
	s_delay_alu instid0(VALU_DEP_1) | instskip(NEXT) | instid1(VALU_DEP_1)
	v_lshl_add_u64 v[0:1], s[58:59], 4, v[0:1]
	v_add_nc_u64_e32 v[0:1], 16, v[0:1]
	s_delay_alu instid0(VALU_DEP_1)
	v_dual_cndmask_b32 v5, v1, v5, s2 :: v_dual_cndmask_b32 v4, v0, v4, s2
.LBB30_25:                              ;   in Loop: Header=BB30_4 Depth=1
	s_mov_b32 s64, 0
	s_wait_dscnt 0x0
	s_barrier_signal -1
	s_barrier_wait -1
	s_wait_xcnt 0x0
	s_and_saveexec_b32 s65, s7
	s_delay_alu instid0(SALU_CYCLE_1)
	s_xor_b32 s65, exec_lo, s65
; %bb.26:                               ;   in Loop: Header=BB30_4 Depth=1
	s_and_b32 s64, s8, exec_lo
; %bb.27:                               ;   in Loop: Header=BB30_4 Depth=1
	s_or_saveexec_b32 s65, s65
	v_mov_b64_e32 v[2:3], 0
	v_mov_b32_e32 v6, v172
	s_xor_b32 exec_lo, exec_lo, s65
	s_cbranch_execz .LBB30_29
; %bb.28:                               ;   in Loop: Header=BB30_4 Depth=1
	ds_load_b128 v[0:3], v189
	v_mov_b32_e32 v6, v173
	s_or_b32 s64, s64, exec_lo
	s_wait_dscnt 0x0
	v_xor_b32_e32 v3, 0x80000000, v3
	ds_store_b64 v173, v[0:1]
.LBB30_29:                              ;   in Loop: Header=BB30_4 Depth=1
	s_or_b32 exec_lo, exec_lo, s65
	s_and_saveexec_b32 s65, s64
; %bb.30:                               ;   in Loop: Header=BB30_4 Depth=1
	ds_store_b64 v6, v[2:3] offset:8
; %bb.31:                               ;   in Loop: Header=BB30_4 Depth=1
	s_or_b32 exec_lo, exec_lo, s65
	s_mov_b32 s64, 0
	s_and_saveexec_b32 s65, s9
	s_delay_alu instid0(SALU_CYCLE_1)
	s_xor_b32 s65, exec_lo, s65
; %bb.32:                               ;   in Loop: Header=BB30_4 Depth=1
	s_and_b32 s64, s10, exec_lo
; %bb.33:                               ;   in Loop: Header=BB30_4 Depth=1
	s_or_saveexec_b32 s65, s65
	v_mov_b64_e32 v[2:3], 0
	v_mov_b32_e32 v6, v172
	s_xor_b32 exec_lo, exec_lo, s65
	s_cbranch_execz .LBB30_35
; %bb.34:                               ;   in Loop: Header=BB30_4 Depth=1
	ds_load_b128 v[0:3], v190
	v_mov_b32_e32 v6, v174
	s_or_b32 s64, s64, exec_lo
	s_wait_dscnt 0x0
	v_xor_b32_e32 v3, 0x80000000, v3
	ds_store_b64 v174, v[0:1]
.LBB30_35:                              ;   in Loop: Header=BB30_4 Depth=1
	s_or_b32 exec_lo, exec_lo, s65
	s_and_saveexec_b32 s65, s64
; %bb.36:                               ;   in Loop: Header=BB30_4 Depth=1
	ds_store_b64 v6, v[2:3] offset:8
; %bb.37:                               ;   in Loop: Header=BB30_4 Depth=1
	s_or_b32 exec_lo, exec_lo, s65
	s_mov_b32 s64, 0
	s_and_saveexec_b32 s65, s11
	s_delay_alu instid0(SALU_CYCLE_1)
	s_xor_b32 s65, exec_lo, s65
; %bb.38:                               ;   in Loop: Header=BB30_4 Depth=1
	s_and_b32 s64, s12, exec_lo
; %bb.39:                               ;   in Loop: Header=BB30_4 Depth=1
	s_or_saveexec_b32 s65, s65
	v_mov_b64_e32 v[2:3], 0
	v_mov_b32_e32 v6, v172
	s_xor_b32 exec_lo, exec_lo, s65
	s_cbranch_execz .LBB30_41
; %bb.40:                               ;   in Loop: Header=BB30_4 Depth=1
	ds_load_b128 v[0:3], v190 offset:528
	v_mov_b32_e32 v6, v175
	s_or_b32 s64, s64, exec_lo
	s_wait_dscnt 0x0
	v_xor_b32_e32 v3, 0x80000000, v3
	ds_store_b64 v175, v[0:1]
.LBB30_41:                              ;   in Loop: Header=BB30_4 Depth=1
	s_or_b32 exec_lo, exec_lo, s65
	s_and_saveexec_b32 s65, s64
; %bb.42:                               ;   in Loop: Header=BB30_4 Depth=1
	ds_store_b64 v6, v[2:3] offset:8
; %bb.43:                               ;   in Loop: Header=BB30_4 Depth=1
	s_or_b32 exec_lo, exec_lo, s65
	s_mov_b32 s64, 0
	s_and_saveexec_b32 s65, s13
	s_delay_alu instid0(SALU_CYCLE_1)
	s_xor_b32 s65, exec_lo, s65
; %bb.44:                               ;   in Loop: Header=BB30_4 Depth=1
	s_and_b32 s64, s14, exec_lo
; %bb.45:                               ;   in Loop: Header=BB30_4 Depth=1
	s_or_saveexec_b32 s65, s65
	v_mov_b64_e32 v[2:3], 0
	v_mov_b32_e32 v6, v172
	s_xor_b32 exec_lo, exec_lo, s65
	s_cbranch_execz .LBB30_47
; %bb.46:                               ;   in Loop: Header=BB30_4 Depth=1
	ds_load_b128 v[0:3], v190 offset:1056
	v_mov_b32_e32 v6, v177
	s_or_b32 s64, s64, exec_lo
	s_wait_dscnt 0x0
	v_xor_b32_e32 v3, 0x80000000, v3
	ds_store_b64 v177, v[0:1]
.LBB30_47:                              ;   in Loop: Header=BB30_4 Depth=1
	s_or_b32 exec_lo, exec_lo, s65
	s_and_saveexec_b32 s65, s64
; %bb.48:                               ;   in Loop: Header=BB30_4 Depth=1
	ds_store_b64 v6, v[2:3] offset:8
; %bb.49:                               ;   in Loop: Header=BB30_4 Depth=1
	s_or_b32 exec_lo, exec_lo, s65
	s_wait_dscnt 0x0
	s_barrier_signal -1
	s_barrier_wait -1
	ds_load_b128 v[0:3], v189
	ds_load_b128 v[6:9], v178
	ds_load_b128 v[10:13], v178 offset:16
	ds_load_b128 v[14:17], v190
	s_wait_dscnt 0x2
	v_mul_f64_e32 v[18:19], v[8:9], v[2:3]
	v_mul_f64_e32 v[24:25], v[6:7], v[2:3]
	s_wait_dscnt 0x0
	v_mul_f64_e32 v[26:27], v[12:13], v[16:17]
	v_mul_f64_e32 v[28:29], v[10:11], v[16:17]
	s_delay_alu instid0(VALU_DEP_4) | instskip(NEXT) | instid1(VALU_DEP_4)
	v_fma_f64 v[30:31], v[6:7], v[0:1], -v[18:19]
	v_fmac_f64_e32 v[24:25], v[8:9], v[0:1]
	ds_load_b128 v[0:3], v190 offset:528
	ds_load_b128 v[6:9], v178 offset:32
	ds_load_b128 v[16:19], v178 offset:48
	ds_load_b128 v[20:23], v190 offset:1056
	v_fma_f64 v[10:11], v[10:11], v[14:15], -v[26:27]
	v_fmac_f64_e32 v[28:29], v[12:13], v[14:15]
	s_wait_dscnt 0x0
	s_barrier_signal -1
	s_barrier_wait -1
	v_mul_f64_e32 v[32:33], v[8:9], v[2:3]
	v_mul_f64_e32 v[2:3], v[6:7], v[2:3]
	v_add_f64_e32 v[12:13], 0, v[30:31]
	v_add_f64_e32 v[14:15], 0, v[24:25]
	v_mul_f64_e32 v[24:25], v[18:19], v[22:23]
	v_mul_f64_e32 v[22:23], v[16:17], v[22:23]
	v_fma_f64 v[6:7], v[6:7], v[0:1], -v[32:33]
	v_fmac_f64_e32 v[2:3], v[8:9], v[0:1]
	v_add_f64_e32 v[0:1], v[12:13], v[10:11]
	v_add_f64_e32 v[8:9], v[14:15], v[28:29]
	v_fma_f64 v[10:11], v[16:17], v[20:21], -v[24:25]
	v_fmac_f64_e32 v[22:23], v[18:19], v[20:21]
	s_delay_alu instid0(VALU_DEP_4) | instskip(NEXT) | instid1(VALU_DEP_4)
	v_add_f64_e32 v[0:1], v[0:1], v[6:7]
	v_add_f64_e32 v[2:3], v[8:9], v[2:3]
	s_delay_alu instid0(VALU_DEP_2) | instskip(NEXT) | instid1(VALU_DEP_2)
	v_add_f64_e32 v[6:7], v[0:1], v[10:11]
	v_add_f64_e32 v[8:9], v[2:3], v[22:23]
	v_mov_b64_e32 v[0:1], 0
	v_mov_b64_e32 v[2:3], 0
	ds_store_b128 v179, v[6:9]
	s_wait_dscnt 0x0
	s_barrier_signal -1
	s_barrier_wait -1
	s_and_saveexec_b32 s64, s15
	s_cbranch_execz .LBB30_51
; %bb.50:                               ;   in Loop: Header=BB30_4 Depth=1
	ds_load_b128 v[0:3], v176
	ds_load_b128 v[6:9], v176 offset:16
	s_wait_dscnt 0x0
	v_add_f64_e32 v[10:11], v[6:7], v[0:1]
	v_add_f64_e32 v[12:13], v[8:9], v[2:3]
	ds_load_b128 v[0:3], v176 offset:32
	ds_load_b128 v[6:9], v176 offset:48
	s_wait_dscnt 0x1
	v_add_f64_e32 v[0:1], v[10:11], v[0:1]
	v_add_f64_e32 v[2:3], v[12:13], v[2:3]
	s_wait_dscnt 0x0
	s_delay_alu instid0(VALU_DEP_2) | instskip(NEXT) | instid1(VALU_DEP_2)
	v_add_f64_e32 v[10:11], v[0:1], v[6:7]
	v_add_f64_e32 v[12:13], v[2:3], v[8:9]
	ds_load_b128 v[0:3], v176 offset:64
	ds_load_b128 v[6:9], v176 offset:80
	s_wait_dscnt 0x1
	v_add_f64_e32 v[0:1], v[10:11], v[0:1]
	v_add_f64_e32 v[2:3], v[12:13], v[2:3]
	s_wait_dscnt 0x0
	s_delay_alu instid0(VALU_DEP_2) | instskip(NEXT) | instid1(VALU_DEP_2)
	;; [unrolled: 9-line block ×3, first 2 shown]
	v_add_f64_e32 v[0:1], v[0:1], v[6:7]
	v_add_f64_e32 v[2:3], v[2:3], v[8:9]
.LBB30_51:                              ;   in Loop: Header=BB30_4 Depth=1
	s_or_b32 exec_lo, exec_lo, s64
	v_lshl_add_u64 v[4:5], s[44:45], 4, v[4:5]
	s_and_not1_b32 vcc_lo, exec_lo, s68
	s_mov_b32 s64, -1
	s_barrier_signal -1
	s_delay_alu instid0(VALU_DEP_1)
	v_add_nc_u64_e32 v[8:9], 0x200, v[4:5]
	s_barrier_wait -1
	s_cbranch_vccnz .LBB30_53
; %bb.52:                               ;   in Loop: Header=BB30_4 Depth=1
	v_lshl_add_u64 v[6:7], s[38:39], 4, v[4:5]
	s_mov_b32 s64, 0
	s_delay_alu instid0(VALU_DEP_1) | instskip(NEXT) | instid1(VALU_DEP_1)
	v_add_nc_u64_e32 v[18:19], s[52:53], v[6:7]
	v_add_nc_u64_e32 v[22:23], s[52:53], v[18:19]
	s_clause 0x3
	global_load_b128 v[10:13], v[8:9], off
	global_load_b128 v[14:17], v[6:7], off offset:512
	global_load_b128 v[18:21], v[18:19], off offset:512
	global_load_b128 v[22:25], v[22:23], off offset:512
	s_wait_loadcnt 0x3
	ds_store_2addr_b64 v168, v[10:11], v[12:13] offset1:1
	s_wait_loadcnt 0x2
	ds_store_2addr_b64 v169, v[14:15], v[16:17] offset1:1
	;; [unrolled: 2-line block ×4, first 2 shown]
.LBB30_53:                              ;   in Loop: Header=BB30_4 Depth=1
	s_and_not1_b32 vcc_lo, exec_lo, s64
	s_cbranch_vccnz .LBB30_65
; %bb.54:                               ;   in Loop: Header=BB30_4 Depth=1
	s_wait_xcnt 0x0
	s_and_saveexec_b32 s64, s17
	s_delay_alu instid0(SALU_CYCLE_1)
	s_xor_b32 s64, exec_lo, s64
; %bb.55:                               ;   in Loop: Header=BB30_4 Depth=1
	v_dual_mov_b32 v10, v147 :: v_dual_mov_b32 v11, v147
	v_dual_mov_b32 v12, v147 :: v_dual_mov_b32 v13, v147
	ds_store_b128 v168, v[10:13]
; %bb.56:                               ;   in Loop: Header=BB30_4 Depth=1
	s_or_saveexec_b32 s64, s64
	v_lshl_add_u64 v[4:5], v[154:155], 4, v[4:5]
	s_delay_alu instid0(VALU_DEP_1) | instskip(NEXT) | instid1(VALU_DEP_1)
	v_lshl_add_u64 v[4:5], s[26:27], 4, v[4:5]
	v_add_nc_u64_e32 v[4:5], -16, v[4:5]
	s_delay_alu instid0(VALU_DEP_1)
	v_dual_cndmask_b32 v5, v5, v9, s16 :: v_dual_cndmask_b32 v4, v4, v8, s16
	s_xor_b32 exec_lo, exec_lo, s64
	s_cbranch_execnz .LBB30_124
; %bb.57:                               ;   in Loop: Header=BB30_4 Depth=1
	s_or_b32 exec_lo, exec_lo, s64
	s_and_saveexec_b32 s64, s18
	s_delay_alu instid0(SALU_CYCLE_1)
	s_xor_b32 s64, exec_lo, s64
	s_cbranch_execnz .LBB30_125
.LBB30_58:                              ;   in Loop: Header=BB30_4 Depth=1
	s_and_not1_saveexec_b32 s64, s64
	s_cbranch_execnz .LBB30_126
.LBB30_59:                              ;   in Loop: Header=BB30_4 Depth=1
	s_or_b32 exec_lo, exec_lo, s64
	s_and_saveexec_b32 s64, s19
	s_delay_alu instid0(SALU_CYCLE_1)
	s_xor_b32 s64, exec_lo, s64
	s_cbranch_execnz .LBB30_127
.LBB30_60:                              ;   in Loop: Header=BB30_4 Depth=1
	s_and_not1_saveexec_b32 s64, s64
	s_cbranch_execnz .LBB30_128
.LBB30_61:                              ;   in Loop: Header=BB30_4 Depth=1
	s_or_b32 exec_lo, exec_lo, s64
	s_and_saveexec_b32 s64, s20
	s_delay_alu instid0(SALU_CYCLE_1)
	s_xor_b32 s64, exec_lo, s64
	s_cbranch_execnz .LBB30_129
.LBB30_62:                              ;   in Loop: Header=BB30_4 Depth=1
	s_and_not1_saveexec_b32 s64, s64
	s_cbranch_execz .LBB30_64
.LBB30_63:                              ;   in Loop: Header=BB30_4 Depth=1
	v_lshl_add_u64 v[6:7], s[42:43], 4, v[4:5]
	global_load_b128 v[10:13], v[6:7], off
	s_wait_loadcnt 0x0
	ds_store_2addr_b64 v171, v[10:11], v[12:13] offset1:1
.LBB30_64:                              ;   in Loop: Header=BB30_4 Depth=1
	s_wait_xcnt 0x0
	s_or_b32 exec_lo, exec_lo, s64
	v_add_nc_u64_e32 v[4:5], v[4:5], v[146:147]
	s_delay_alu instid0(VALU_DEP_1) | instskip(NEXT) | instid1(VALU_DEP_1)
	v_lshl_add_u64 v[4:5], s[58:59], 4, v[4:5]
	v_add_nc_u64_e32 v[4:5], 0x210, v[4:5]
	s_delay_alu instid0(VALU_DEP_1)
	v_dual_cndmask_b32 v9, v5, v9, s16 :: v_dual_cndmask_b32 v8, v4, v8, s16
.LBB30_65:                              ;   in Loop: Header=BB30_4 Depth=1
	s_mov_b32 s64, 0
	s_wait_dscnt 0x0
	s_barrier_signal -1
	s_barrier_wait -1
	s_wait_xcnt 0x0
	s_and_saveexec_b32 s65, s7
	s_delay_alu instid0(SALU_CYCLE_1)
	s_xor_b32 s65, exec_lo, s65
; %bb.66:                               ;   in Loop: Header=BB30_4 Depth=1
	s_and_b32 s64, s8, exec_lo
; %bb.67:                               ;   in Loop: Header=BB30_4 Depth=1
	s_or_saveexec_b32 s65, s65
	v_mov_b64_e32 v[6:7], 0
	v_mov_b32_e32 v10, v172
	s_xor_b32 exec_lo, exec_lo, s65
	s_cbranch_execz .LBB30_69
; %bb.68:                               ;   in Loop: Header=BB30_4 Depth=1
	ds_load_b128 v[4:7], v189
	v_mov_b32_e32 v10, v173
	s_or_b32 s64, s64, exec_lo
	s_wait_dscnt 0x0
	v_xor_b32_e32 v7, 0x80000000, v7
	ds_store_b64 v173, v[4:5]
.LBB30_69:                              ;   in Loop: Header=BB30_4 Depth=1
	s_or_b32 exec_lo, exec_lo, s65
	s_and_saveexec_b32 s65, s64
; %bb.70:                               ;   in Loop: Header=BB30_4 Depth=1
	ds_store_b64 v10, v[6:7] offset:8
; %bb.71:                               ;   in Loop: Header=BB30_4 Depth=1
	s_or_b32 exec_lo, exec_lo, s65
	s_mov_b32 s64, 0
	s_and_saveexec_b32 s65, s9
	s_delay_alu instid0(SALU_CYCLE_1)
	s_xor_b32 s65, exec_lo, s65
; %bb.72:                               ;   in Loop: Header=BB30_4 Depth=1
	s_and_b32 s64, s10, exec_lo
; %bb.73:                               ;   in Loop: Header=BB30_4 Depth=1
	s_or_saveexec_b32 s65, s65
	v_mov_b64_e32 v[6:7], 0
	v_mov_b32_e32 v10, v172
	s_xor_b32 exec_lo, exec_lo, s65
	s_cbranch_execz .LBB30_75
; %bb.74:                               ;   in Loop: Header=BB30_4 Depth=1
	ds_load_b128 v[4:7], v190
	v_mov_b32_e32 v10, v174
	s_or_b32 s64, s64, exec_lo
	s_wait_dscnt 0x0
	v_xor_b32_e32 v7, 0x80000000, v7
	ds_store_b64 v174, v[4:5]
.LBB30_75:                              ;   in Loop: Header=BB30_4 Depth=1
	s_or_b32 exec_lo, exec_lo, s65
	s_and_saveexec_b32 s65, s64
; %bb.76:                               ;   in Loop: Header=BB30_4 Depth=1
	ds_store_b64 v10, v[6:7] offset:8
; %bb.77:                               ;   in Loop: Header=BB30_4 Depth=1
	s_or_b32 exec_lo, exec_lo, s65
	s_mov_b32 s64, 0
	s_and_saveexec_b32 s65, s11
	s_delay_alu instid0(SALU_CYCLE_1)
	s_xor_b32 s65, exec_lo, s65
; %bb.78:                               ;   in Loop: Header=BB30_4 Depth=1
	s_and_b32 s64, s12, exec_lo
; %bb.79:                               ;   in Loop: Header=BB30_4 Depth=1
	s_or_saveexec_b32 s65, s65
	v_mov_b64_e32 v[6:7], 0
	v_mov_b32_e32 v10, v172
	s_xor_b32 exec_lo, exec_lo, s65
	s_cbranch_execz .LBB30_81
; %bb.80:                               ;   in Loop: Header=BB30_4 Depth=1
	ds_load_b128 v[4:7], v190 offset:528
	v_mov_b32_e32 v10, v175
	s_or_b32 s64, s64, exec_lo
	s_wait_dscnt 0x0
	v_xor_b32_e32 v7, 0x80000000, v7
	ds_store_b64 v175, v[4:5]
.LBB30_81:                              ;   in Loop: Header=BB30_4 Depth=1
	s_or_b32 exec_lo, exec_lo, s65
	s_and_saveexec_b32 s65, s64
; %bb.82:                               ;   in Loop: Header=BB30_4 Depth=1
	ds_store_b64 v10, v[6:7] offset:8
; %bb.83:                               ;   in Loop: Header=BB30_4 Depth=1
	s_or_b32 exec_lo, exec_lo, s65
	s_mov_b32 s64, 0
	s_and_saveexec_b32 s65, s13
	s_delay_alu instid0(SALU_CYCLE_1)
	s_xor_b32 s65, exec_lo, s65
; %bb.84:                               ;   in Loop: Header=BB30_4 Depth=1
	s_and_b32 s64, s14, exec_lo
; %bb.85:                               ;   in Loop: Header=BB30_4 Depth=1
	s_or_saveexec_b32 s65, s65
	v_mov_b64_e32 v[6:7], 0
	v_mov_b32_e32 v10, v172
	s_xor_b32 exec_lo, exec_lo, s65
	s_cbranch_execz .LBB30_87
; %bb.86:                               ;   in Loop: Header=BB30_4 Depth=1
	ds_load_b128 v[4:7], v190 offset:1056
	v_mov_b32_e32 v10, v177
	s_or_b32 s64, s64, exec_lo
	s_wait_dscnt 0x0
	v_xor_b32_e32 v7, 0x80000000, v7
	ds_store_b64 v177, v[4:5]
.LBB30_87:                              ;   in Loop: Header=BB30_4 Depth=1
	s_or_b32 exec_lo, exec_lo, s65
	s_and_saveexec_b32 s65, s64
; %bb.88:                               ;   in Loop: Header=BB30_4 Depth=1
	ds_store_b64 v10, v[6:7] offset:8
; %bb.89:                               ;   in Loop: Header=BB30_4 Depth=1
	s_or_b32 exec_lo, exec_lo, s65
	s_wait_dscnt 0x0
	s_barrier_signal -1
	s_barrier_wait -1
	ds_load_b128 v[4:7], v189
	ds_load_b128 v[10:13], v178 offset:512
	ds_load_b128 v[14:17], v178 offset:528
	ds_load_b128 v[18:21], v190
	s_wait_dscnt 0x2
	v_mul_f64_e32 v[22:23], v[12:13], v[6:7]
	v_mul_f64_e32 v[28:29], v[10:11], v[6:7]
	s_wait_dscnt 0x0
	v_mul_f64_e32 v[30:31], v[16:17], v[20:21]
	v_mul_f64_e32 v[32:33], v[14:15], v[20:21]
	s_delay_alu instid0(VALU_DEP_4) | instskip(NEXT) | instid1(VALU_DEP_4)
	v_fma_f64 v[34:35], v[10:11], v[4:5], -v[22:23]
	v_fmac_f64_e32 v[28:29], v[12:13], v[4:5]
	ds_load_b128 v[4:7], v190 offset:528
	ds_load_b128 v[10:13], v178 offset:544
	ds_load_b128 v[20:23], v178 offset:560
	ds_load_b128 v[24:27], v190 offset:1056
	v_fma_f64 v[14:15], v[14:15], v[18:19], -v[30:31]
	v_fmac_f64_e32 v[32:33], v[16:17], v[18:19]
	s_wait_dscnt 0x0
	s_barrier_signal -1
	s_barrier_wait -1
	v_mul_f64_e32 v[38:39], v[12:13], v[6:7]
	v_mul_f64_e32 v[6:7], v[10:11], v[6:7]
	v_add_f64_e32 v[16:17], 0, v[34:35]
	v_add_f64_e32 v[18:19], 0, v[28:29]
	v_mul_f64_e32 v[28:29], v[22:23], v[26:27]
	v_mul_f64_e32 v[26:27], v[20:21], v[26:27]
	v_fma_f64 v[10:11], v[10:11], v[4:5], -v[38:39]
	v_fmac_f64_e32 v[6:7], v[12:13], v[4:5]
	v_add_f64_e32 v[4:5], v[16:17], v[14:15]
	v_add_f64_e32 v[12:13], v[18:19], v[32:33]
	v_fma_f64 v[14:15], v[20:21], v[24:25], -v[28:29]
	v_fmac_f64_e32 v[26:27], v[22:23], v[24:25]
	s_delay_alu instid0(VALU_DEP_4) | instskip(NEXT) | instid1(VALU_DEP_4)
	v_add_f64_e32 v[4:5], v[4:5], v[10:11]
	v_add_f64_e32 v[6:7], v[12:13], v[6:7]
	s_delay_alu instid0(VALU_DEP_2) | instskip(NEXT) | instid1(VALU_DEP_2)
	v_add_f64_e32 v[4:5], v[4:5], v[14:15]
	v_add_f64_e32 v[6:7], v[6:7], v[26:27]
	ds_store_b128 v179, v[4:7]
	s_wait_dscnt 0x0
	s_barrier_signal -1
	s_barrier_wait -1
	s_and_saveexec_b32 s64, s21
	s_cbranch_execz .LBB30_91
; %bb.90:                               ;   in Loop: Header=BB30_4 Depth=1
	ds_load_b128 v[0:3], v176
	ds_load_b128 v[4:7], v176 offset:16
	s_wait_dscnt 0x0
	v_add_f64_e32 v[10:11], v[4:5], v[0:1]
	v_add_f64_e32 v[12:13], v[6:7], v[2:3]
	ds_load_b128 v[0:3], v176 offset:32
	ds_load_b128 v[4:7], v176 offset:48
	s_wait_dscnt 0x1
	v_add_f64_e32 v[0:1], v[10:11], v[0:1]
	v_add_f64_e32 v[2:3], v[12:13], v[2:3]
	s_wait_dscnt 0x0
	s_delay_alu instid0(VALU_DEP_2) | instskip(NEXT) | instid1(VALU_DEP_2)
	v_add_f64_e32 v[10:11], v[0:1], v[4:5]
	v_add_f64_e32 v[12:13], v[2:3], v[6:7]
	ds_load_b128 v[0:3], v176 offset:64
	ds_load_b128 v[4:7], v176 offset:80
	s_wait_dscnt 0x1
	v_add_f64_e32 v[0:1], v[10:11], v[0:1]
	v_add_f64_e32 v[2:3], v[12:13], v[2:3]
	s_wait_dscnt 0x0
	s_delay_alu instid0(VALU_DEP_2) | instskip(NEXT) | instid1(VALU_DEP_2)
	;; [unrolled: 9-line block ×3, first 2 shown]
	v_add_f64_e32 v[0:1], v[0:1], v[4:5]
	v_add_f64_e32 v[2:3], v[2:3], v[6:7]
.LBB30_91:                              ;   in Loop: Header=BB30_4 Depth=1
	s_or_b32 exec_lo, exec_lo, s64
	v_lshl_add_u64 v[38:39], s[46:47], 4, v[8:9]
	s_and_not1_b32 vcc_lo, exec_lo, s68
	s_mov_b32 s64, -1
	s_barrier_signal -1
	s_barrier_wait -1
	s_cbranch_vccnz .LBB30_93
; %bb.92:                               ;   in Loop: Header=BB30_4 Depth=1
	v_lshl_add_u64 v[8:9], s[38:39], 4, v[38:39]
	s_mov_b32 s64, 0
	s_delay_alu instid0(VALU_DEP_1) | instskip(NEXT) | instid1(VALU_DEP_1)
	v_add_nc_u64_e32 v[12:13], s[52:53], v[8:9]
	v_add_nc_u64_e32 v[16:17], s[52:53], v[12:13]
	s_clause 0x3
	global_load_b128 v[4:7], v[38:39], off
	global_load_b128 v[8:11], v[8:9], off
	;; [unrolled: 1-line block ×4, first 2 shown]
	s_wait_loadcnt 0x3
	ds_store_2addr_b64 v168, v[4:5], v[6:7] offset1:1
	s_wait_loadcnt 0x2
	ds_store_2addr_b64 v169, v[8:9], v[10:11] offset1:1
	s_wait_loadcnt 0x1
	ds_store_2addr_b64 v170, v[12:13], v[14:15] offset1:1
	s_wait_loadcnt 0x0
	ds_store_2addr_b64 v171, v[16:17], v[18:19] offset1:1
.LBB30_93:                              ;   in Loop: Header=BB30_4 Depth=1
	s_and_not1_b32 vcc_lo, exec_lo, s64
	s_cbranch_vccnz .LBB30_105
; %bb.94:                               ;   in Loop: Header=BB30_4 Depth=1
	s_wait_xcnt 0x0
	s_and_saveexec_b32 s64, s3
	s_delay_alu instid0(SALU_CYCLE_1)
	s_xor_b32 s64, exec_lo, s64
; %bb.95:                               ;   in Loop: Header=BB30_4 Depth=1
	v_dual_mov_b32 v4, v147 :: v_dual_mov_b32 v5, v147
	v_dual_mov_b32 v6, v147 :: v_dual_mov_b32 v7, v147
	ds_store_b128 v168, v[4:7]
; %bb.96:                               ;   in Loop: Header=BB30_4 Depth=1
	s_or_saveexec_b32 s64, s64
	v_lshl_add_u64 v[4:5], v[154:155], 4, v[38:39]
	s_delay_alu instid0(VALU_DEP_1) | instskip(NEXT) | instid1(VALU_DEP_1)
	v_lshl_add_u64 v[4:5], s[26:27], 4, v[4:5]
	v_add_nc_u64_e32 v[4:5], s[54:55], v[4:5]
	s_delay_alu instid0(VALU_DEP_1)
	v_dual_cndmask_b32 v5, v5, v39, s16 :: v_dual_cndmask_b32 v4, v4, v38, s16
	s_xor_b32 exec_lo, exec_lo, s64
	s_cbranch_execnz .LBB30_130
; %bb.97:                               ;   in Loop: Header=BB30_4 Depth=1
	s_or_b32 exec_lo, exec_lo, s64
	s_and_saveexec_b32 s64, s4
	s_delay_alu instid0(SALU_CYCLE_1)
	s_xor_b32 s64, exec_lo, s64
	s_cbranch_execnz .LBB30_131
.LBB30_98:                              ;   in Loop: Header=BB30_4 Depth=1
	s_and_not1_saveexec_b32 s64, s64
	s_cbranch_execnz .LBB30_132
.LBB30_99:                              ;   in Loop: Header=BB30_4 Depth=1
	s_or_b32 exec_lo, exec_lo, s64
	s_and_saveexec_b32 s64, s5
	s_delay_alu instid0(SALU_CYCLE_1)
	s_xor_b32 s64, exec_lo, s64
	s_cbranch_execnz .LBB30_133
.LBB30_100:                             ;   in Loop: Header=BB30_4 Depth=1
	s_and_not1_saveexec_b32 s64, s64
	s_cbranch_execnz .LBB30_134
.LBB30_101:                             ;   in Loop: Header=BB30_4 Depth=1
	s_or_b32 exec_lo, exec_lo, s64
	s_and_saveexec_b32 s64, s6
	s_delay_alu instid0(SALU_CYCLE_1)
	s_xor_b32 s64, exec_lo, s64
	s_cbranch_execnz .LBB30_135
.LBB30_102:                             ;   in Loop: Header=BB30_4 Depth=1
	s_and_not1_saveexec_b32 s64, s64
	s_cbranch_execz .LBB30_104
.LBB30_103:                             ;   in Loop: Header=BB30_4 Depth=1
	v_lshl_add_u64 v[6:7], s[42:43], 4, v[4:5]
	global_load_b128 v[6:9], v[6:7], off
	s_wait_loadcnt 0x0
	ds_store_2addr_b64 v171, v[6:7], v[8:9] offset1:1
.LBB30_104:                             ;   in Loop: Header=BB30_4 Depth=1
	s_wait_xcnt 0x0
	s_or_b32 exec_lo, exec_lo, s64
	v_add_nc_u64_e32 v[4:5], v[4:5], v[146:147]
	s_delay_alu instid0(VALU_DEP_1) | instskip(NEXT) | instid1(VALU_DEP_1)
	v_lshl_add_u64 v[4:5], s[58:59], 4, v[4:5]
	v_add_nc_u64_e32 v[4:5], 0x210, v[4:5]
	s_delay_alu instid0(VALU_DEP_1)
	v_dual_cndmask_b32 v39, v5, v39, s16 :: v_dual_cndmask_b32 v38, v4, v38, s16
.LBB30_105:                             ;   in Loop: Header=BB30_4 Depth=1
	s_wait_dscnt 0x0
	s_barrier_signal -1
	s_barrier_wait -1
	ds_load_b128 v[4:7], v191
	s_wait_xcnt 0x2
	ds_load_b128 v[8:11], v168
	s_wait_xcnt 0x1
	;; [unrolled: 2-line block ×3, first 2 shown]
	ds_load_b128 v[16:19], v188 offset:384
	ds_load_b128 v[20:23], v188 offset:128
	ds_load_b128 v[24:27], v188 offset:256
	s_wait_dscnt 0x4
	v_mul_f64_e32 v[28:29], v[6:7], v[10:11]
	v_mul_f64_e32 v[30:31], v[4:5], v[10:11]
	s_wait_dscnt 0x1
	v_mul_f64_e32 v[32:33], v[22:23], v[14:15]
	v_mul_f64_e32 v[14:15], v[20:21], v[14:15]
	s_delay_alu instid0(VALU_DEP_4) | instskip(NEXT) | instid1(VALU_DEP_4)
	v_fma_f64 v[28:29], v[4:5], v[8:9], -v[28:29]
	v_fmac_f64_e32 v[30:31], v[6:7], v[8:9]
	ds_load_b128 v[4:7], v170
	ds_load_b128 v[8:11], v171
	v_fma_f64 v[20:21], v[20:21], v[12:13], -v[32:33]
	v_fmac_f64_e32 v[14:15], v[22:23], v[12:13]
	s_wait_dscnt 0x1
	v_mul_f64_e32 v[34:35], v[26:27], v[6:7]
	v_mul_f64_e32 v[6:7], v[24:25], v[6:7]
	v_add_f64_e32 v[12:13], 0, v[28:29]
	v_add_f64_e32 v[22:23], 0, v[30:31]
	s_wait_dscnt 0x0
	v_mul_f64_e32 v[28:29], v[18:19], v[10:11]
	v_mul_f64_e32 v[10:11], v[16:17], v[10:11]
	v_fma_f64 v[24:25], v[24:25], v[4:5], -v[34:35]
	v_fmac_f64_e32 v[6:7], v[26:27], v[4:5]
	v_add_f64_e32 v[4:5], v[12:13], v[20:21]
	v_add_f64_e32 v[12:13], v[22:23], v[14:15]
	v_fma_f64 v[14:15], v[16:17], v[8:9], -v[28:29]
	v_fmac_f64_e32 v[10:11], v[18:19], v[8:9]
	s_delay_alu instid0(VALU_DEP_4) | instskip(NEXT) | instid1(VALU_DEP_4)
	v_add_f64_e32 v[4:5], v[4:5], v[24:25]
	v_add_f64_e32 v[6:7], v[12:13], v[6:7]
	s_delay_alu instid0(VALU_DEP_2) | instskip(NEXT) | instid1(VALU_DEP_2)
	v_add_f64_e32 v[40:41], v[4:5], v[14:15]
	v_add_f64_e32 v[42:43], v[6:7], v[10:11]
	ds_load_b128 v[28:31], v180
	ds_load_b128 v[20:23], v180 offset:16
	ds_load_b128 v[8:11], v180 offset:32
	;; [unrolled: 1-line block ×7, first 2 shown]
	s_wait_dscnt 0x0
	s_barrier_signal -1
	s_barrier_wait -1
	ds_store_b128 v179, v[40:43]
	s_wait_dscnt 0x0
	s_barrier_signal -1
	s_barrier_wait -1
	s_and_saveexec_b32 s64, s21
	s_cbranch_execz .LBB30_107
; %bb.106:                              ;   in Loop: Header=BB30_4 Depth=1
	ds_load_b128 v[40:43], v176
	ds_load_b128 v[44:47], v176 offset:16
	s_wait_dscnt 0x1
	v_add_f64_e32 v[0:1], v[0:1], v[40:41]
	v_add_f64_e32 v[2:3], v[2:3], v[42:43]
	s_wait_dscnt 0x0
	s_delay_alu instid0(VALU_DEP_2) | instskip(NEXT) | instid1(VALU_DEP_2)
	v_add_f64_e32 v[44:45], v[0:1], v[44:45]
	v_add_f64_e32 v[46:47], v[2:3], v[46:47]
	ds_load_b128 v[0:3], v176 offset:32
	ds_load_b128 v[40:43], v176 offset:48
	s_wait_dscnt 0x1
	v_add_f64_e32 v[0:1], v[44:45], v[0:1]
	v_add_f64_e32 v[2:3], v[46:47], v[2:3]
	s_wait_dscnt 0x0
	s_delay_alu instid0(VALU_DEP_2) | instskip(NEXT) | instid1(VALU_DEP_2)
	v_add_f64_e32 v[44:45], v[0:1], v[40:41]
	v_add_f64_e32 v[46:47], v[2:3], v[42:43]
	ds_load_b128 v[0:3], v176 offset:64
	;; [unrolled: 9-line block ×3, first 2 shown]
	ds_load_b128 v[40:43], v176 offset:112
	s_wait_dscnt 0x1
	v_add_f64_e32 v[0:1], v[44:45], v[0:1]
	v_add_f64_e32 v[2:3], v[46:47], v[2:3]
	s_wait_dscnt 0x0
	s_delay_alu instid0(VALU_DEP_2) | instskip(NEXT) | instid1(VALU_DEP_2)
	v_add_f64_e32 v[0:1], v[0:1], v[40:41]
	v_add_f64_e32 v[2:3], v[2:3], v[42:43]
.LBB30_107:                             ;   in Loop: Header=BB30_4 Depth=1
	s_or_b32 exec_lo, exec_lo, s64
	v_mul_f64_e32 v[40:41], v[30:31], v[34:35]
	v_mul_f64_e32 v[30:31], v[30:31], v[32:33]
	;; [unrolled: 1-line block ×4, first 2 shown]
	s_barrier_signal -1
	s_barrier_wait -1
	s_delay_alu instid0(VALU_DEP_4) | instskip(NEXT) | instid1(VALU_DEP_4)
	v_fmac_f64_e32 v[40:41], v[28:29], v[32:33]
	v_fma_f64 v[28:29], v[28:29], v[34:35], -v[30:31]
	v_mul_f64_e32 v[30:31], v[10:11], v[18:19]
	v_mul_f64_e32 v[10:11], v[10:11], v[16:17]
	v_fmac_f64_e32 v[42:43], v[20:21], v[24:25]
	v_fma_f64 v[20:21], v[20:21], v[26:27], -v[22:23]
	v_mul_f64_e32 v[26:27], v[6:7], v[14:15]
	v_mul_f64_e32 v[6:7], v[6:7], v[12:13]
	v_add_f64_e32 v[22:23], 0, v[40:41]
	v_add_f64_e32 v[24:25], 0, v[28:29]
	v_fmac_f64_e32 v[30:31], v[8:9], v[16:17]
	v_fma_f64 v[8:9], v[8:9], v[18:19], -v[10:11]
	v_fmac_f64_e32 v[26:27], v[4:5], v[12:13]
	v_fma_f64 v[6:7], v[4:5], v[14:15], -v[6:7]
	v_add_f64_e32 v[10:11], v[22:23], v[42:43]
	v_add_f64_e32 v[16:17], v[24:25], v[20:21]
	s_delay_alu instid0(VALU_DEP_2) | instskip(NEXT) | instid1(VALU_DEP_2)
	v_add_f64_e32 v[4:5], v[10:11], v[30:31]
	v_add_f64_e32 v[8:9], v[16:17], v[8:9]
	s_delay_alu instid0(VALU_DEP_2) | instskip(NEXT) | instid1(VALU_DEP_2)
	v_add_f64_e32 v[4:5], v[4:5], v[26:27]
	v_add_f64_e32 v[6:7], v[8:9], v[6:7]
	ds_store_b128 v179, v[4:7]
	s_wait_dscnt 0x0
	s_barrier_signal -1
	s_barrier_wait -1
	s_and_saveexec_b32 s64, s15
	s_cbranch_execz .LBB30_109
; %bb.108:                              ;   in Loop: Header=BB30_4 Depth=1
	ds_load_b128 v[4:7], v176
	ds_load_b128 v[8:11], v176 offset:16
	s_wait_dscnt 0x1
	v_add_f64_e32 v[0:1], v[0:1], v[4:5]
	v_add_f64_e32 v[2:3], v[2:3], v[6:7]
	s_wait_dscnt 0x0
	s_delay_alu instid0(VALU_DEP_2) | instskip(NEXT) | instid1(VALU_DEP_2)
	v_add_f64_e32 v[8:9], v[0:1], v[8:9]
	v_add_f64_e32 v[10:11], v[2:3], v[10:11]
	ds_load_b128 v[0:3], v176 offset:32
	ds_load_b128 v[4:7], v176 offset:48
	s_wait_dscnt 0x1
	v_add_f64_e32 v[0:1], v[8:9], v[0:1]
	v_add_f64_e32 v[2:3], v[10:11], v[2:3]
	s_wait_dscnt 0x0
	s_delay_alu instid0(VALU_DEP_2) | instskip(NEXT) | instid1(VALU_DEP_2)
	v_add_f64_e32 v[8:9], v[0:1], v[4:5]
	v_add_f64_e32 v[10:11], v[2:3], v[6:7]
	ds_load_b128 v[0:3], v176 offset:64
	;; [unrolled: 9-line block ×3, first 2 shown]
	ds_load_b128 v[4:7], v176 offset:112
	s_wait_dscnt 0x1
	v_add_f64_e32 v[0:1], v[8:9], v[0:1]
	v_add_f64_e32 v[2:3], v[10:11], v[2:3]
	s_wait_dscnt 0x0
	s_delay_alu instid0(VALU_DEP_2) | instskip(NEXT) | instid1(VALU_DEP_2)
	v_add_f64_e32 v[0:1], v[0:1], v[4:5]
	v_add_f64_e32 v[2:3], v[2:3], v[6:7]
.LBB30_109:                             ;   in Loop: Header=BB30_4 Depth=1
	s_or_b32 exec_lo, exec_lo, s64
	s_mul_u64 s[64:65], s[34:35], s[28:29]
	s_and_not1_b32 vcc_lo, exec_lo, s69
	s_lshl_b64 s[64:65], s[64:65], 4
	s_delay_alu instid0(SALU_CYCLE_1)
	s_add_nc_u64 s[64:65], s[36:37], s[64:65]
	s_barrier_signal -1
	s_barrier_wait -1
	s_cbranch_vccnz .LBB30_116
; %bb.110:                              ;   in Loop: Header=BB30_4 Depth=1
	v_lshl_add_u64 v[4:5], s[50:51], 4, v[38:39]
	v_lshl_add_u64 v[162:163], s[48:49], 4, v[36:37]
	v_mov_b32_e32 v193, v144
	s_mov_b32 s66, 0
	s_mov_b32 s73, s33
	v_lshl_add_u64 v[4:5], v[158:159], 4, v[4:5]
	s_delay_alu instid0(VALU_DEP_1) | instskip(NEXT) | instid1(VALU_DEP_1)
	v_lshl_add_u64 v[4:5], v[156:157], 4, v[4:5]
	v_lshl_add_u64 v[6:7], v[160:161], 4, v[4:5]
	v_add_nc_u64_e32 v[4:5], s[56:57], v[4:5]
	s_delay_alu instid0(VALU_DEP_2) | instskip(NEXT) | instid1(VALU_DEP_1)
	v_lshl_add_u64 v[6:7], s[26:27], 4, v[6:7]
	v_add_nc_u64_e32 v[6:7], s[54:55], v[6:7]
	s_delay_alu instid0(VALU_DEP_1)
	v_dual_cndmask_b32 v5, v5, v7, s1 :: v_dual_cndmask_b32 v4, v4, v6, s1
	s_branch .LBB30_112
.LBB30_111:                             ;   in Loop: Header=BB30_112 Depth=2
	s_wait_xcnt 0x0
	s_or_b32 exec_lo, exec_lo, s67
	v_dual_mul_f64 v[84:85], v[18:19], v[42:43] :: v_dual_add_nc_u32 v193, 64, v193
	v_mul_f64_e32 v[42:43], v[16:17], v[42:43]
	v_mul_f64_e32 v[86:87], v[14:15], v[50:51]
	;; [unrolled: 1-line block ×3, first 2 shown]
	s_add_co_i32 s73, s73, -1
	s_add_co_i32 s66, s66, s70
	s_cmp_eq_u32 s73, 0
	s_wait_storecnt 0x0
	s_barrier_signal -1
	s_barrier_wait -1
	s_delay_alu instid0(VALU_DEP_4) | instskip(NEXT) | instid1(VALU_DEP_4)
	v_fma_f64 v[16:17], v[16:17], v[40:41], -v[84:85]
	v_fmac_f64_e32 v[42:43], v[18:19], v[40:41]
	v_mul_f64_e32 v[18:19], v[10:11], v[46:47]
	v_mul_f64_e32 v[40:41], v[8:9], v[46:47]
	v_fma_f64 v[12:13], v[12:13], v[48:49], -v[86:87]
	v_fmac_f64_e32 v[50:51], v[14:15], v[48:49]
	v_mul_f64_e32 v[14:15], v[6:7], v[38:39]
	v_add_f64_e32 v[0:1], v[0:1], v[16:17]
	v_mul_f64_e32 v[16:17], v[4:5], v[38:39]
	v_add_f64_e32 v[2:3], v[2:3], v[42:43]
	v_fma_f64 v[8:9], v[8:9], v[44:45], -v[18:19]
	v_fmac_f64_e32 v[40:41], v[10:11], v[44:45]
	v_mul_f64_e32 v[10:11], v[34:35], v[74:75]
	v_fma_f64 v[4:5], v[4:5], v[36:37], -v[14:15]
	v_mul_f64_e32 v[14:15], v[24:25], v[78:79]
	v_add_f64_e32 v[0:1], v[0:1], v[12:13]
	v_mul_f64_e32 v[12:13], v[32:33], v[74:75]
	v_add_f64_e32 v[2:3], v[2:3], v[50:51]
	v_fmac_f64_e32 v[16:17], v[6:7], v[36:37]
	v_mul_f64_e32 v[6:7], v[30:31], v[82:83]
	v_fma_f64 v[10:11], v[32:33], v[72:73], -v[10:11]
	v_fmac_f64_e32 v[14:15], v[26:27], v[76:77]
	v_add_f64_e32 v[0:1], v[0:1], v[8:9]
	v_mul_f64_e32 v[8:9], v[28:29], v[82:83]
	v_add_f64_e32 v[2:3], v[2:3], v[40:41]
	v_fmac_f64_e32 v[12:13], v[34:35], v[72:73]
	v_fma_f64 v[6:7], v[28:29], v[80:81], -v[6:7]
	v_add_f64_e32 v[0:1], v[0:1], v[4:5]
	v_mul_f64_e32 v[4:5], v[26:27], v[78:79]
	v_add_f64_e32 v[2:3], v[2:3], v[16:17]
	v_fmac_f64_e32 v[8:9], v[30:31], v[80:81]
	s_delay_alu instid0(VALU_DEP_4) | instskip(SKIP_1) | instid1(VALU_DEP_4)
	v_add_f64_e32 v[0:1], v[0:1], v[10:11]
	v_mul_f64_e32 v[10:11], v[22:23], v[70:71]
	v_add_f64_e32 v[2:3], v[2:3], v[12:13]
	v_mul_f64_e32 v[12:13], v[20:21], v[70:71]
	v_fma_f64 v[4:5], v[24:25], v[76:77], -v[4:5]
	v_add_f64_e32 v[0:1], v[0:1], v[6:7]
	v_mul_f64_e32 v[6:7], v[66:67], v[118:119]
	v_add_f64_e32 v[2:3], v[2:3], v[8:9]
	v_mul_f64_e32 v[8:9], v[64:65], v[118:119]
	v_fma_f64 v[10:11], v[20:21], v[68:69], -v[10:11]
	v_fmac_f64_e32 v[12:13], v[22:23], v[68:69]
	v_add_f64_e32 v[0:1], v[0:1], v[4:5]
	v_mul_f64_e32 v[4:5], v[62:63], v[126:127]
	v_add_f64_e32 v[2:3], v[2:3], v[14:15]
	v_mul_f64_e32 v[14:15], v[60:61], v[126:127]
	v_fma_f64 v[6:7], v[64:65], v[116:117], -v[6:7]
	v_fmac_f64_e32 v[8:9], v[66:67], v[116:117]
	;; [unrolled: 6-line block ×8, first 2 shown]
	v_add_f64_e32 v[0:1], v[0:1], v[10:11]
	v_fma_f64 v[4:5], v[96:97], v[132:133], -v[4:5]
	v_add_f64_e32 v[2:3], v[2:3], v[12:13]
	v_fmac_f64_e32 v[14:15], v[98:99], v[132:133]
	s_delay_alu instid0(VALU_DEP_4) | instskip(NEXT) | instid1(VALU_DEP_3)
	v_add_f64_e32 v[0:1], v[0:1], v[6:7]
	v_add_f64_e32 v[2:3], v[2:3], v[8:9]
	s_delay_alu instid0(VALU_DEP_2) | instskip(SKIP_1) | instid1(VALU_DEP_3)
	v_add_f64_e32 v[0:1], v[0:1], v[4:5]
	v_add_nc_u64_e32 v[4:5], s[62:63], v[164:165]
	v_add_f64_e32 v[2:3], v[2:3], v[14:15]
	s_cbranch_scc1 .LBB30_116
.LBB30_112:                             ;   Parent Loop BB30_4 Depth=1
                                        ; =>  This Inner Loop Header: Depth=2
	s_and_saveexec_b32 s74, s0
	s_cbranch_execz .LBB30_114
; %bb.113:                              ;   in Loop: Header=BB30_112 Depth=2
	s_ashr_i32 s67, s66, 31
	s_delay_alu instid0(SALU_CYCLE_1)
	v_lshl_add_u64 v[6:7], s[66:67], 4, v[162:163]
	global_load_b128 v[6:9], v[6:7], off
	s_wait_loadcnt 0x0
	ds_store_2addr_b64 v145, v[6:7], v[8:9] offset1:1
.LBB30_114:                             ;   in Loop: Header=BB30_112 Depth=2
	s_wait_xcnt 0x0
	s_or_b32 exec_lo, exec_lo, s74
	v_add_nc_u64_e32 v[6:7], s[60:61], v[4:5]
	s_wait_dscnt 0x0
	s_barrier_signal -1
	s_barrier_wait -1
	s_delay_alu instid0(VALU_DEP_1) | instskip(NEXT) | instid1(VALU_DEP_1)
	v_add_nc_u64_e32 v[8:9], s[60:61], v[6:7]
	v_add_nc_u64_e32 v[36:37], s[60:61], v[8:9]
	s_clause 0x3
	global_load_b128 v[16:19], v[4:5], off
	global_load_b128 v[12:15], v[6:7], off
	;; [unrolled: 1-line block ×4, first 2 shown]
	ds_load_b128 v[20:23], v167
	ds_load_b128 v[40:43], v181
	s_wait_loadcnt_dscnt 0x301
	v_mul_f64_e32 v[24:25], v[18:19], v[22:23]
	v_mul_f64_e32 v[26:27], v[18:19], v[20:21]
	s_wait_loadcnt 0x2
	v_mul_f64_e32 v[28:29], v[14:15], v[22:23]
	v_mul_f64_e32 v[30:31], v[14:15], v[20:21]
	s_wait_loadcnt 0x1
	;; [unrolled: 3-line block ×3, first 2 shown]
	v_mul_f64_e32 v[52:53], v[6:7], v[22:23]
	v_mul_f64_e32 v[38:39], v[6:7], v[20:21]
	v_fmac_f64_e32 v[24:25], v[16:17], v[20:21]
	v_fma_f64 v[26:27], v[16:17], v[22:23], -v[26:27]
	v_fmac_f64_e32 v[28:29], v[12:13], v[20:21]
	v_fma_f64 v[30:31], v[12:13], v[22:23], -v[30:31]
	v_fmac_f64_e32 v[32:33], v[8:9], v[20:21]
	v_fma_f64 v[34:35], v[8:9], v[22:23], -v[34:35]
	v_fmac_f64_e32 v[52:53], v[4:5], v[20:21]
	v_fma_f64 v[54:55], v[4:5], v[22:23], -v[38:39]
	v_add_nc_u64_e32 v[20:21], s[62:63], v[36:37]
	ds_load_b128 v[48:51], v181 offset:16
	ds_load_b128 v[44:47], v181 offset:32
	s_wait_xcnt 0x0
	ds_load_b128 v[36:39], v181 offset:48
	ds_store_b128 v182, v[24:27]
	ds_store_b128 v182, v[28:31] offset:1072
	ds_store_b128 v182, v[32:35] offset:2144
	ds_store_b128 v182, v[52:55] offset:3216
	v_add_nc_u64_e32 v[22:23], s[60:61], v[20:21]
	s_wait_dscnt 0x0
	s_barrier_signal -1
	s_barrier_wait -1
	ds_load_b128 v[194:197], v183
	ds_load_b128 v[108:111], v183 offset:16
	ds_load_b128 v[92:95], v183 offset:32
	;; [unrolled: 1-line block ×3, first 2 shown]
	s_wait_dscnt 0x0
	v_add_nc_u64_e32 v[56:57], s[60:61], v[22:23]
	s_barrier_signal -1
	s_barrier_wait -1
	s_delay_alu instid0(VALU_DEP_1)
	v_add_nc_u64_e32 v[68:69], s[60:61], v[56:57]
	s_clause 0x3
	global_load_b128 v[32:35], v[20:21], off
	global_load_b128 v[28:31], v[22:23], off
	;; [unrolled: 1-line block ×4, first 2 shown]
	ds_load_b128 v[52:55], v167
	ds_load_b128 v[72:75], v181 offset:256
	s_wait_loadcnt_dscnt 0x301
	s_wait_xcnt 0x1
	v_mul_f64_e32 v[56:57], v[34:35], v[54:55]
	v_mul_f64_e32 v[58:59], v[34:35], v[52:53]
	s_wait_loadcnt 0x2
	v_mul_f64_e32 v[60:61], v[30:31], v[54:55]
	v_mul_f64_e32 v[62:63], v[30:31], v[52:53]
	s_wait_loadcnt 0x1
	;; [unrolled: 3-line block ×3, first 2 shown]
	v_mul_f64_e32 v[88:89], v[22:23], v[54:55]
	v_mul_f64_e32 v[70:71], v[22:23], v[52:53]
	v_fmac_f64_e32 v[56:57], v[32:33], v[52:53]
	v_fma_f64 v[58:59], v[32:33], v[54:55], -v[58:59]
	v_fmac_f64_e32 v[60:61], v[28:29], v[52:53]
	v_fma_f64 v[62:63], v[28:29], v[54:55], -v[62:63]
	;; [unrolled: 2-line block ×4, first 2 shown]
	v_add_nc_u64_e32 v[52:53], s[62:63], v[68:69]
	ds_load_b128 v[80:83], v181 offset:272
	ds_load_b128 v[76:79], v181 offset:288
	s_wait_xcnt 0x0
	ds_load_b128 v[68:71], v181 offset:304
	ds_store_b128 v182, v[56:59]
	ds_store_b128 v182, v[60:63] offset:1072
	ds_store_b128 v182, v[64:67] offset:2144
	;; [unrolled: 1-line block ×3, first 2 shown]
	v_add_nc_u64_e32 v[54:55], s[60:61], v[52:53]
	s_wait_dscnt 0x0
	s_barrier_signal -1
	s_barrier_wait -1
	ds_load_b128 v[198:201], v183
	ds_load_b128 v[202:205], v183 offset:16
	ds_load_b128 v[206:209], v183 offset:32
	;; [unrolled: 1-line block ×3, first 2 shown]
	s_wait_dscnt 0x0
	v_add_nc_u64_e32 v[96:97], s[60:61], v[54:55]
	s_barrier_signal -1
	s_barrier_wait -1
	s_delay_alu instid0(VALU_DEP_1)
	v_add_nc_u64_e32 v[112:113], s[60:61], v[96:97]
	s_clause 0x2
	global_load_b128 v[64:67], v[52:53], off
	global_load_b128 v[60:63], v[54:55], off
	global_load_b128 v[52:55], v[96:97], off
	global_load_b128 v[56:59], v[112:113], off
	ds_load_b128 v[88:91], v167
	ds_load_b128 v[116:119], v181 offset:512
	v_add_f64_e32 v[198:199], 0, v[198:199]
	v_add_f64_e32 v[200:201], 0, v[200:201]
	s_delay_alu instid0(VALU_DEP_2) | instskip(NEXT) | instid1(VALU_DEP_2)
	v_add_f64_e32 v[198:199], v[198:199], v[202:203]
	v_add_f64_e32 v[200:201], v[200:201], v[204:205]
	s_delay_alu instid0(VALU_DEP_2) | instskip(NEXT) | instid1(VALU_DEP_2)
	v_add_f64_e32 v[198:199], v[198:199], v[206:207]
	v_add_f64_e32 v[200:201], v[200:201], v[208:209]
	s_wait_loadcnt_dscnt 0x301
	v_mul_f64_e32 v[98:99], v[66:67], v[88:89]
	s_wait_xcnt 0x1
	v_mul_f64_e32 v[96:97], v[66:67], v[90:91]
	s_wait_loadcnt 0x2
	v_mul_f64_e32 v[102:103], v[62:63], v[88:89]
	v_mul_f64_e32 v[100:101], v[62:63], v[90:91]
	s_wait_loadcnt 0x1
	v_mul_f64_e32 v[106:107], v[54:55], v[88:89]
	;; [unrolled: 3-line block ×3, first 2 shown]
	v_mul_f64_e32 v[128:129], v[58:59], v[90:91]
	v_fma_f64 v[98:99], v[64:65], v[90:91], -v[98:99]
	v_fmac_f64_e32 v[96:97], v[64:65], v[88:89]
	v_fma_f64 v[102:103], v[60:61], v[90:91], -v[102:103]
	v_fmac_f64_e32 v[100:101], v[60:61], v[88:89]
	;; [unrolled: 2-line block ×4, first 2 shown]
	v_add_nc_u64_e32 v[88:89], s[62:63], v[112:113]
	ds_load_b128 v[124:127], v181 offset:528
	ds_load_b128 v[120:123], v181 offset:544
	s_wait_xcnt 0x0
	ds_load_b128 v[112:115], v181 offset:560
	ds_store_b128 v182, v[96:99]
	ds_store_b128 v182, v[100:103] offset:1072
	ds_store_b128 v182, v[104:107] offset:2144
	ds_store_b128 v182, v[128:131] offset:3216
	v_add_nc_u64_e32 v[90:91], s[60:61], v[88:89]
	s_wait_dscnt 0x0
	s_barrier_signal -1
	s_barrier_wait -1
	ds_load_b128 v[214:217], v183
	ds_load_b128 v[218:221], v183 offset:16
	ds_load_b128 v[222:225], v183 offset:32
	ds_load_b128 v[226:229], v183 offset:48
	s_wait_dscnt 0x0
	v_add_nc_u64_e32 v[132:133], s[60:61], v[90:91]
	s_barrier_signal -1
	s_barrier_wait -1
	s_delay_alu instid0(VALU_DEP_1)
	v_add_nc_u64_e32 v[164:165], s[60:61], v[132:133]
	global_load_b128 v[104:107], v[88:89], off
	global_load_b128 v[100:103], v[90:91], off
	global_load_b128 v[88:91], v[132:133], off
	global_load_b128 v[96:99], v[164:165], off
	s_wait_xcnt 0x1
	ds_load_b128 v[132:135], v167
	ds_load_b128 v[128:131], v181 offset:768
	v_add_f64_e32 v[214:215], 0, v[214:215]
	v_add_f64_e32 v[216:217], 0, v[216:217]
	s_delay_alu instid0(VALU_DEP_2) | instskip(NEXT) | instid1(VALU_DEP_2)
	v_add_f64_e32 v[202:203], v[214:215], v[218:219]
	v_add_f64_e32 v[204:205], v[216:217], v[220:221]
	s_delay_alu instid0(VALU_DEP_2) | instskip(NEXT) | instid1(VALU_DEP_2)
	v_add_f64_e32 v[202:203], v[202:203], v[222:223]
	v_add_f64_e32 v[204:205], v[204:205], v[224:225]
	s_wait_loadcnt_dscnt 0x301
	v_mul_f64_e32 v[136:137], v[106:107], v[132:133]
	v_mul_f64_e32 v[230:231], v[106:107], v[134:135]
	s_wait_loadcnt 0x2
	v_mul_f64_e32 v[138:139], v[102:103], v[132:133]
	v_mul_f64_e32 v[234:235], v[102:103], v[134:135]
	s_wait_loadcnt 0x1
	;; [unrolled: 3-line block ×3, first 2 shown]
	v_mul_f64_e32 v[142:143], v[98:99], v[132:133]
	v_mul_f64_e32 v[242:243], v[98:99], v[134:135]
	v_fma_f64 v[232:233], v[104:105], v[134:135], -v[136:137]
	v_fmac_f64_e32 v[230:231], v[104:105], v[132:133]
	v_fma_f64 v[236:237], v[100:101], v[134:135], -v[138:139]
	v_fmac_f64_e32 v[234:235], v[100:101], v[132:133]
	v_fma_f64 v[240:241], v[88:89], v[134:135], -v[140:141]
	v_fmac_f64_e32 v[238:239], v[88:89], v[132:133]
	v_fma_f64 v[244:245], v[96:97], v[134:135], -v[142:143]
	v_fmac_f64_e32 v[242:243], v[96:97], v[132:133]
	ds_load_b128 v[140:143], v181 offset:784
	ds_load_b128 v[136:139], v181 offset:800
	ds_load_b128 v[132:135], v181 offset:816
	ds_store_b128 v182, v[230:233]
	ds_store_b128 v182, v[234:237] offset:1072
	ds_store_b128 v182, v[238:241] offset:2144
	;; [unrolled: 1-line block ×3, first 2 shown]
	s_wait_dscnt 0x0
	s_barrier_signal -1
	s_barrier_wait -1
	ds_load_b128 v[230:233], v183
	v_add_f64_e32 v[234:235], 0, v[194:195]
	v_add_f64_e32 v[236:237], 0, v[196:197]
	ds_load_b128 v[194:197], v183 offset:16
	s_wait_dscnt 0x1
	v_add_f64_e32 v[230:231], 0, v[230:231]
	v_add_f64_e32 v[232:233], 0, v[232:233]
	;; [unrolled: 1-line block ×4, first 2 shown]
	ds_load_b128 v[108:111], v183 offset:32
	s_wait_dscnt 0x1
	v_add_f64_e32 v[194:195], v[230:231], v[194:195]
	v_add_f64_e32 v[196:197], v[232:233], v[196:197]
	;; [unrolled: 1-line block ×4, first 2 shown]
	ds_load_b128 v[92:95], v183 offset:48
	s_wait_dscnt 0x0
	s_barrier_signal -1
	s_barrier_wait -1
	v_add_f64_e32 v[206:207], v[194:195], v[108:109]
	v_add_f64_e32 v[208:209], v[196:197], v[110:111]
	;; [unrolled: 1-line block ×10, first 2 shown]
	ds_store_b128 v192, v[84:87]
	ds_store_b128 v192, v[108:111] offset:256
	ds_store_b128 v192, v[194:197] offset:512
	;; [unrolled: 1-line block ×3, first 2 shown]
	s_wait_dscnt 0x0
	s_barrier_signal -1
	s_barrier_wait -1
	s_wait_xcnt 0x0
	s_and_saveexec_b32 s67, s22
	s_cbranch_execz .LBB30_111
; %bb.115:                              ;   in Loop: Header=BB30_112 Depth=2
	ds_load_b128 v[84:87], v184
	ds_load_b128 v[92:95], v184 offset:16
	s_wait_dscnt 0x0
	v_add_f64_e32 v[108:109], v[92:93], v[84:85]
	v_add_f64_e32 v[110:111], v[94:95], v[86:87]
	ds_load_b128 v[84:87], v184 offset:32
	ds_load_b128 v[92:95], v184 offset:48
	s_wait_dscnt 0x1
	v_add_f64_e32 v[84:85], v[108:109], v[84:85]
	v_add_f64_e32 v[86:87], v[110:111], v[86:87]
	s_wait_dscnt 0x0
	s_delay_alu instid0(VALU_DEP_2) | instskip(NEXT) | instid1(VALU_DEP_2)
	v_add_f64_e32 v[108:109], v[84:85], v[92:93]
	v_add_f64_e32 v[110:111], v[86:87], v[94:95]
	ds_load_b128 v[84:87], v184 offset:64
	ds_load_b128 v[92:95], v184 offset:80
	s_wait_dscnt 0x1
	v_add_f64_e32 v[84:85], v[108:109], v[84:85]
	v_add_f64_e32 v[86:87], v[110:111], v[86:87]
	s_wait_dscnt 0x0
	s_delay_alu instid0(VALU_DEP_2) | instskip(NEXT) | instid1(VALU_DEP_2)
	;; [unrolled: 9-line block ×6, first 2 shown]
	v_add_f64_e32 v[108:109], v[84:85], v[92:93]
	v_add_f64_e32 v[110:111], v[86:87], v[94:95]
	ds_load_b128 v[84:87], v184 offset:224
	ds_load_b128 v[92:95], v185
	s_wait_dscnt 0x1
	v_add_f64_e32 v[84:85], v[108:109], v[84:85]
	v_add_f64_e32 v[86:87], v[110:111], v[86:87]
	s_wait_dscnt 0x0
	s_delay_alu instid0(VALU_DEP_2) | instskip(NEXT) | instid1(VALU_DEP_2)
	v_add_f64_e32 v[84:85], v[84:85], v[92:93]
	v_add_f64_e32 v[86:87], v[86:87], v[94:95]
	global_store_b128 v193, v[84:87], s[64:65] scale_offset
	s_branch .LBB30_111
.LBB30_116:                             ;   in Loop: Header=BB30_4 Depth=1
	ds_store_b128 v186, v[0:3]
	s_wait_dscnt 0x0
	s_barrier_signal -1
	s_barrier_wait -1
	s_and_saveexec_b32 s66, s71
	s_cbranch_execz .LBB30_2
; %bb.117:                              ;   in Loop: Header=BB30_4 Depth=1
	ds_load_b128 v[0:3], v166 offset:1072
	ds_load_b128 v[4:7], v166
	s_wait_dscnt 0x0
	v_add_f64_e32 v[8:9], v[0:1], v[4:5]
	v_add_f64_e32 v[10:11], v[2:3], v[6:7]
	ds_load_b128 v[0:3], v166 offset:2144
	ds_load_b128 v[4:7], v166 offset:3216
	s_wait_dscnt 0x1
	v_add_f64_e32 v[0:1], v[8:9], v[0:1]
	v_add_f64_e32 v[2:3], v[10:11], v[2:3]
	s_wait_dscnt 0x0
	s_delay_alu instid0(VALU_DEP_2) | instskip(NEXT) | instid1(VALU_DEP_2)
	v_add_f64_e32 v[0:1], v[0:1], v[4:5]
	v_add_f64_e32 v[2:3], v[2:3], v[6:7]
	v_lshl_add_u64 v[4:5], v[148:149], 4, s[64:65]
	global_store_b128 v[4:5], v[0:3], off
	s_branch .LBB30_2
.LBB30_118:                             ;   in Loop: Header=BB30_4 Depth=1
	global_load_b128 v[6:9], v[0:1], off
	s_wait_loadcnt 0x0
	ds_store_2addr_b64 v168, v[6:7], v[8:9] offset1:1
	s_wait_xcnt 0x0
	s_or_b32 exec_lo, exec_lo, s64
	s_and_saveexec_b32 s64, s4
	s_delay_alu instid0(SALU_CYCLE_1)
	s_xor_b32 s64, exec_lo, s64
	s_cbranch_execz .LBB30_18
.LBB30_119:                             ;   in Loop: Header=BB30_4 Depth=1
	v_dual_mov_b32 v6, v147 :: v_dual_mov_b32 v7, v147
	v_dual_mov_b32 v8, v147 :: v_dual_mov_b32 v9, v147
	ds_store_b128 v169, v[6:9]
	s_and_not1_saveexec_b32 s64, s64
	s_cbranch_execz .LBB30_19
.LBB30_120:                             ;   in Loop: Header=BB30_4 Depth=1
	v_lshl_add_u64 v[2:3], s[38:39], 4, v[0:1]
	global_load_b128 v[6:9], v[2:3], off
	s_wait_loadcnt 0x0
	ds_store_2addr_b64 v169, v[6:7], v[8:9] offset1:1
	s_wait_xcnt 0x0
	s_or_b32 exec_lo, exec_lo, s64
	s_and_saveexec_b32 s64, s5
	s_delay_alu instid0(SALU_CYCLE_1)
	s_xor_b32 s64, exec_lo, s64
	s_cbranch_execz .LBB30_20
.LBB30_121:                             ;   in Loop: Header=BB30_4 Depth=1
	v_dual_mov_b32 v6, v147 :: v_dual_mov_b32 v7, v147
	v_dual_mov_b32 v8, v147 :: v_dual_mov_b32 v9, v147
	ds_store_b128 v170, v[6:9]
	s_and_not1_saveexec_b32 s64, s64
	s_cbranch_execz .LBB30_21
.LBB30_122:                             ;   in Loop: Header=BB30_4 Depth=1
	v_lshl_add_u64 v[2:3], s[40:41], 4, v[0:1]
	global_load_b128 v[6:9], v[2:3], off
	s_wait_loadcnt 0x0
	ds_store_2addr_b64 v170, v[6:7], v[8:9] offset1:1
	s_wait_xcnt 0x0
	s_or_b32 exec_lo, exec_lo, s64
	s_and_saveexec_b32 s64, s6
	s_delay_alu instid0(SALU_CYCLE_1)
	s_xor_b32 s64, exec_lo, s64
	s_cbranch_execz .LBB30_22
.LBB30_123:                             ;   in Loop: Header=BB30_4 Depth=1
	v_dual_mov_b32 v6, v147 :: v_dual_mov_b32 v7, v147
	v_dual_mov_b32 v8, v147 :: v_dual_mov_b32 v9, v147
	ds_store_b128 v171, v[6:9]
	s_and_not1_saveexec_b32 s64, s64
	s_cbranch_execnz .LBB30_23
	s_branch .LBB30_24
.LBB30_124:                             ;   in Loop: Header=BB30_4 Depth=1
	global_load_b128 v[10:13], v[4:5], off
	s_wait_loadcnt 0x0
	ds_store_2addr_b64 v168, v[10:11], v[12:13] offset1:1
	s_wait_xcnt 0x0
	s_or_b32 exec_lo, exec_lo, s64
	s_and_saveexec_b32 s64, s18
	s_delay_alu instid0(SALU_CYCLE_1)
	s_xor_b32 s64, exec_lo, s64
	s_cbranch_execz .LBB30_58
.LBB30_125:                             ;   in Loop: Header=BB30_4 Depth=1
	v_dual_mov_b32 v10, v147 :: v_dual_mov_b32 v11, v147
	v_dual_mov_b32 v12, v147 :: v_dual_mov_b32 v13, v147
	ds_store_b128 v169, v[10:13]
	s_and_not1_saveexec_b32 s64, s64
	s_cbranch_execz .LBB30_59
.LBB30_126:                             ;   in Loop: Header=BB30_4 Depth=1
	v_lshl_add_u64 v[6:7], s[38:39], 4, v[4:5]
	global_load_b128 v[10:13], v[6:7], off
	s_wait_loadcnt 0x0
	ds_store_2addr_b64 v169, v[10:11], v[12:13] offset1:1
	s_wait_xcnt 0x0
	s_or_b32 exec_lo, exec_lo, s64
	s_and_saveexec_b32 s64, s19
	s_delay_alu instid0(SALU_CYCLE_1)
	s_xor_b32 s64, exec_lo, s64
	s_cbranch_execz .LBB30_60
.LBB30_127:                             ;   in Loop: Header=BB30_4 Depth=1
	v_dual_mov_b32 v10, v147 :: v_dual_mov_b32 v11, v147
	v_dual_mov_b32 v12, v147 :: v_dual_mov_b32 v13, v147
	ds_store_b128 v170, v[10:13]
	s_and_not1_saveexec_b32 s64, s64
	s_cbranch_execz .LBB30_61
.LBB30_128:                             ;   in Loop: Header=BB30_4 Depth=1
	v_lshl_add_u64 v[6:7], s[40:41], 4, v[4:5]
	global_load_b128 v[10:13], v[6:7], off
	s_wait_loadcnt 0x0
	ds_store_2addr_b64 v170, v[10:11], v[12:13] offset1:1
	s_wait_xcnt 0x0
	s_or_b32 exec_lo, exec_lo, s64
	s_and_saveexec_b32 s64, s20
	s_delay_alu instid0(SALU_CYCLE_1)
	s_xor_b32 s64, exec_lo, s64
	s_cbranch_execz .LBB30_62
.LBB30_129:                             ;   in Loop: Header=BB30_4 Depth=1
	v_dual_mov_b32 v10, v147 :: v_dual_mov_b32 v11, v147
	v_dual_mov_b32 v12, v147 :: v_dual_mov_b32 v13, v147
	ds_store_b128 v171, v[10:13]
	s_and_not1_saveexec_b32 s64, s64
	s_cbranch_execnz .LBB30_63
	s_branch .LBB30_64
.LBB30_130:                             ;   in Loop: Header=BB30_4 Depth=1
	global_load_b128 v[6:9], v[4:5], off
	s_wait_loadcnt 0x0
	ds_store_2addr_b64 v168, v[6:7], v[8:9] offset1:1
	s_wait_xcnt 0x0
	s_or_b32 exec_lo, exec_lo, s64
	s_and_saveexec_b32 s64, s4
	s_delay_alu instid0(SALU_CYCLE_1)
	s_xor_b32 s64, exec_lo, s64
	s_cbranch_execz .LBB30_98
.LBB30_131:                             ;   in Loop: Header=BB30_4 Depth=1
	v_dual_mov_b32 v6, v147 :: v_dual_mov_b32 v7, v147
	v_dual_mov_b32 v8, v147 :: v_dual_mov_b32 v9, v147
	ds_store_b128 v169, v[6:9]
	s_and_not1_saveexec_b32 s64, s64
	s_cbranch_execz .LBB30_99
.LBB30_132:                             ;   in Loop: Header=BB30_4 Depth=1
	v_lshl_add_u64 v[6:7], s[38:39], 4, v[4:5]
	global_load_b128 v[6:9], v[6:7], off
	s_wait_loadcnt 0x0
	ds_store_2addr_b64 v169, v[6:7], v[8:9] offset1:1
	s_wait_xcnt 0x0
	s_or_b32 exec_lo, exec_lo, s64
	s_and_saveexec_b32 s64, s5
	s_delay_alu instid0(SALU_CYCLE_1)
	s_xor_b32 s64, exec_lo, s64
	s_cbranch_execz .LBB30_100
.LBB30_133:                             ;   in Loop: Header=BB30_4 Depth=1
	v_dual_mov_b32 v6, v147 :: v_dual_mov_b32 v7, v147
	v_dual_mov_b32 v8, v147 :: v_dual_mov_b32 v9, v147
	ds_store_b128 v170, v[6:9]
	s_and_not1_saveexec_b32 s64, s64
	s_cbranch_execz .LBB30_101
.LBB30_134:                             ;   in Loop: Header=BB30_4 Depth=1
	v_lshl_add_u64 v[6:7], s[40:41], 4, v[4:5]
	global_load_b128 v[6:9], v[6:7], off
	s_wait_loadcnt 0x0
	ds_store_2addr_b64 v170, v[6:7], v[8:9] offset1:1
	s_wait_xcnt 0x0
	s_or_b32 exec_lo, exec_lo, s64
	s_and_saveexec_b32 s64, s6
	s_delay_alu instid0(SALU_CYCLE_1)
	s_xor_b32 s64, exec_lo, s64
	s_cbranch_execz .LBB30_102
.LBB30_135:                             ;   in Loop: Header=BB30_4 Depth=1
	v_dual_mov_b32 v6, v147 :: v_dual_mov_b32 v7, v147
	v_dual_mov_b32 v8, v147 :: v_dual_mov_b32 v9, v147
	ds_store_b128 v171, v[6:9]
	s_and_not1_saveexec_b32 s64, s64
	s_cbranch_execnz .LBB30_103
	s_branch .LBB30_104
.LBB30_136:
	s_sendmsg sendmsg(MSG_DEALLOC_VGPRS)
	s_endpgm
	.section	.rodata,"a",@progbits
	.p2align	6, 0x0
	.amdhsa_kernel _ZL26rocblas_hemvn_kernel_lowerILb1ELi64ELi4ELi33ELi32ELi16Ei19rocblas_complex_numIdEPKS1_PS1_EviT6_lT7_lT5_lS6_lS7_lS5_lT8_i
		.amdhsa_group_segment_fixed_size 19200
		.amdhsa_private_segment_fixed_size 0
		.amdhsa_kernarg_size 392
		.amdhsa_user_sgpr_count 2
		.amdhsa_user_sgpr_dispatch_ptr 0
		.amdhsa_user_sgpr_queue_ptr 0
		.amdhsa_user_sgpr_kernarg_segment_ptr 1
		.amdhsa_user_sgpr_dispatch_id 0
		.amdhsa_user_sgpr_kernarg_preload_length 0
		.amdhsa_user_sgpr_kernarg_preload_offset 0
		.amdhsa_user_sgpr_private_segment_size 0
		.amdhsa_wavefront_size32 1
		.amdhsa_uses_dynamic_stack 0
		.amdhsa_enable_private_segment 0
		.amdhsa_system_sgpr_workgroup_id_x 1
		.amdhsa_system_sgpr_workgroup_id_y 0
		.amdhsa_system_sgpr_workgroup_id_z 1
		.amdhsa_system_sgpr_workgroup_info 0
		.amdhsa_system_vgpr_workitem_id 1
		.amdhsa_next_free_vgpr 246
		.amdhsa_next_free_sgpr 75
		.amdhsa_named_barrier_count 0
		.amdhsa_reserve_vcc 1
		.amdhsa_float_round_mode_32 0
		.amdhsa_float_round_mode_16_64 0
		.amdhsa_float_denorm_mode_32 3
		.amdhsa_float_denorm_mode_16_64 3
		.amdhsa_fp16_overflow 0
		.amdhsa_memory_ordered 1
		.amdhsa_forward_progress 1
		.amdhsa_inst_pref_size 67
		.amdhsa_round_robin_scheduling 0
		.amdhsa_exception_fp_ieee_invalid_op 0
		.amdhsa_exception_fp_denorm_src 0
		.amdhsa_exception_fp_ieee_div_zero 0
		.amdhsa_exception_fp_ieee_overflow 0
		.amdhsa_exception_fp_ieee_underflow 0
		.amdhsa_exception_fp_ieee_inexact 0
		.amdhsa_exception_int_div_zero 0
	.end_amdhsa_kernel
	.section	.text._ZL26rocblas_hemvn_kernel_lowerILb1ELi64ELi4ELi33ELi32ELi16Ei19rocblas_complex_numIdEPKS1_PS1_EviT6_lT7_lT5_lS6_lS7_lS5_lT8_i,"axG",@progbits,_ZL26rocblas_hemvn_kernel_lowerILb1ELi64ELi4ELi33ELi32ELi16Ei19rocblas_complex_numIdEPKS1_PS1_EviT6_lT7_lT5_lS6_lS7_lS5_lT8_i,comdat
.Lfunc_end30:
	.size	_ZL26rocblas_hemvn_kernel_lowerILb1ELi64ELi4ELi33ELi32ELi16Ei19rocblas_complex_numIdEPKS1_PS1_EviT6_lT7_lT5_lS6_lS7_lS5_lT8_i, .Lfunc_end30-_ZL26rocblas_hemvn_kernel_lowerILb1ELi64ELi4ELi33ELi32ELi16Ei19rocblas_complex_numIdEPKS1_PS1_EviT6_lT7_lT5_lS6_lS7_lS5_lT8_i
                                        ; -- End function
	.set _ZL26rocblas_hemvn_kernel_lowerILb1ELi64ELi4ELi33ELi32ELi16Ei19rocblas_complex_numIdEPKS1_PS1_EviT6_lT7_lT5_lS6_lS7_lS5_lT8_i.num_vgpr, 246
	.set _ZL26rocblas_hemvn_kernel_lowerILb1ELi64ELi4ELi33ELi32ELi16Ei19rocblas_complex_numIdEPKS1_PS1_EviT6_lT7_lT5_lS6_lS7_lS5_lT8_i.num_agpr, 0
	.set _ZL26rocblas_hemvn_kernel_lowerILb1ELi64ELi4ELi33ELi32ELi16Ei19rocblas_complex_numIdEPKS1_PS1_EviT6_lT7_lT5_lS6_lS7_lS5_lT8_i.numbered_sgpr, 75
	.set _ZL26rocblas_hemvn_kernel_lowerILb1ELi64ELi4ELi33ELi32ELi16Ei19rocblas_complex_numIdEPKS1_PS1_EviT6_lT7_lT5_lS6_lS7_lS5_lT8_i.num_named_barrier, 0
	.set _ZL26rocblas_hemvn_kernel_lowerILb1ELi64ELi4ELi33ELi32ELi16Ei19rocblas_complex_numIdEPKS1_PS1_EviT6_lT7_lT5_lS6_lS7_lS5_lT8_i.private_seg_size, 0
	.set _ZL26rocblas_hemvn_kernel_lowerILb1ELi64ELi4ELi33ELi32ELi16Ei19rocblas_complex_numIdEPKS1_PS1_EviT6_lT7_lT5_lS6_lS7_lS5_lT8_i.uses_vcc, 1
	.set _ZL26rocblas_hemvn_kernel_lowerILb1ELi64ELi4ELi33ELi32ELi16Ei19rocblas_complex_numIdEPKS1_PS1_EviT6_lT7_lT5_lS6_lS7_lS5_lT8_i.uses_flat_scratch, 0
	.set _ZL26rocblas_hemvn_kernel_lowerILb1ELi64ELi4ELi33ELi32ELi16Ei19rocblas_complex_numIdEPKS1_PS1_EviT6_lT7_lT5_lS6_lS7_lS5_lT8_i.has_dyn_sized_stack, 0
	.set _ZL26rocblas_hemvn_kernel_lowerILb1ELi64ELi4ELi33ELi32ELi16Ei19rocblas_complex_numIdEPKS1_PS1_EviT6_lT7_lT5_lS6_lS7_lS5_lT8_i.has_recursion, 0
	.set _ZL26rocblas_hemvn_kernel_lowerILb1ELi64ELi4ELi33ELi32ELi16Ei19rocblas_complex_numIdEPKS1_PS1_EviT6_lT7_lT5_lS6_lS7_lS5_lT8_i.has_indirect_call, 0
	.section	.AMDGPU.csdata,"",@progbits
; Kernel info:
; codeLenInByte = 8516
; TotalNumSgprs: 77
; NumVgprs: 246
; ScratchSize: 0
; MemoryBound: 0
; FloatMode: 240
; IeeeMode: 1
; LDSByteSize: 19200 bytes/workgroup (compile time only)
; SGPRBlocks: 0
; VGPRBlocks: 15
; NumSGPRsForWavesPerEU: 77
; NumVGPRsForWavesPerEU: 246
; NamedBarCnt: 0
; Occupancy: 4
; WaveLimiterHint : 1
; COMPUTE_PGM_RSRC2:SCRATCH_EN: 0
; COMPUTE_PGM_RSRC2:USER_SGPR: 2
; COMPUTE_PGM_RSRC2:TRAP_HANDLER: 0
; COMPUTE_PGM_RSRC2:TGID_X_EN: 1
; COMPUTE_PGM_RSRC2:TGID_Y_EN: 0
; COMPUTE_PGM_RSRC2:TGID_Z_EN: 1
; COMPUTE_PGM_RSRC2:TIDIG_COMP_CNT: 1
	.section	.text._ZL36rocblas_hemvn_kernel_lower_block_sumILi64Ei19rocblas_complex_numIdEPS1_S1_EviT1_lS3_lT2_lT0_lPT3_i,"axG",@progbits,_ZL36rocblas_hemvn_kernel_lower_block_sumILi64Ei19rocblas_complex_numIdEPS1_S1_EviT1_lS3_lT2_lT0_lPT3_i,comdat
	.globl	_ZL36rocblas_hemvn_kernel_lower_block_sumILi64Ei19rocblas_complex_numIdEPS1_S1_EviT1_lS3_lT2_lT0_lPT3_i ; -- Begin function _ZL36rocblas_hemvn_kernel_lower_block_sumILi64Ei19rocblas_complex_numIdEPS1_S1_EviT1_lS3_lT2_lT0_lPT3_i
	.p2align	8
	.type	_ZL36rocblas_hemvn_kernel_lower_block_sumILi64Ei19rocblas_complex_numIdEPS1_S1_EviT1_lS3_lT2_lT0_lPT3_i,@function
_ZL36rocblas_hemvn_kernel_lower_block_sumILi64Ei19rocblas_complex_numIdEPS1_S1_EviT1_lS3_lT2_lT0_lPT3_i: ; @_ZL36rocblas_hemvn_kernel_lower_block_sumILi64Ei19rocblas_complex_numIdEPS1_S1_EviT1_lS3_lT2_lT0_lPT3_i
; %bb.0:
	s_load_b32 s24, s[0:1], 0x60
	s_bfe_u32 s2, ttmp6, 0x40014
	s_lshr_b32 s3, ttmp7, 16
	s_add_co_i32 s2, s2, 1
	s_bfe_u32 s4, ttmp6, 0x40008
	s_mul_i32 s2, s3, s2
	s_getreg_b32 s12, hwreg(HW_REG_IB_STS2, 6, 4)
	s_add_co_i32 s4, s4, s2
	s_cmp_eq_u32 s12, 0
	s_cselect_b32 s2, s3, s4
	s_mov_b32 s3, 0
	s_wait_kmcnt 0x0
	s_cmp_ge_u32 s2, s24
	s_cbranch_scc1 .LBB31_24
; %bb.1:
	s_clause 0x4
	s_load_b128 s[4:7], s[0:1], 0x8
	s_load_b128 s[8:11], s[0:1], 0x20
	s_load_b128 s[20:23], s[0:1], 0x38
	s_load_b32 s28, s[0:1], 0x0
	s_load_b32 s16, s[0:1], 0x48
	s_bfe_u32 s15, ttmp6, 0x4000c
	s_and_b32 s17, ttmp6, 15
	s_add_co_i32 s15, s15, 1
	s_delay_alu instid0(SALU_CYCLE_1) | instskip(NEXT) | instid1(SALU_CYCLE_1)
	s_mul_i32 s15, ttmp9, s15
	s_add_co_i32 s17, s17, s15
	s_wait_kmcnt 0x0
	v_cmp_neq_f64_e64 s27, s[8:9], 1.0
	s_lshl_b64 s[18:19], s[22:23], 4
	v_cmp_neq_f64_e64 s13, s[4:5], 0
	v_cmp_neq_f64_e64 s14, s[6:7], 0
	;; [unrolled: 1-line block ×4, first 2 shown]
	s_add_nc_u64 s[18:19], s[20:21], s[18:19]
	s_or_b32 s22, s13, s14
	s_delay_alu instid0(SALU_CYCLE_1) | instskip(SKIP_3) | instid1(SALU_CYCLE_1)
	s_xor_b32 s25, s22, -1
	s_cmp_eq_u32 s12, 0
	s_load_b128 s[12:15], s[0:1], 0x50
	s_cselect_b32 s26, ttmp9, s17
	v_lshl_or_b32 v2, s26, 6, v0
	s_delay_alu instid0(VALU_DEP_1) | instskip(SKIP_4) | instid1(SALU_CYCLE_1)
	v_mad_u32 v0, s28, s26, v2
	v_mul_lo_u32 v4, s16, v2
	s_add_nc_u64 s[16:17], s[0:1], 0x68
	s_wait_xcnt 0x0
	s_or_b32 s0, s22, s27
	s_or_b32 s1, s0, s29
	v_cmp_gt_i32_e64 s0, s28, v2
	s_delay_alu instid0(VALU_DEP_3) | instskip(NEXT) | instid1(VALU_DEP_3)
	v_ashrrev_i32_e32 v1, 31, v0
	v_ashrrev_i32_e32 v5, 31, v4
	s_wait_kmcnt 0x0
	s_delay_alu instid0(VALU_DEP_2)
	v_lshl_add_u64 v[0:1], v[0:1], 4, s[14:15]
	s_or_b32 s14, s23, s29
	s_ashr_i32 s29, s28, 31
	v_cndmask_b32_e64 v10, 0, 1, s14
	s_xor_b32 s27, s14, -1
	v_add_nc_u64_e32 v[6:7], 8, v[0:1]
	s_lshl_b64 s[14:15], s[28:29], 4
	s_branch .LBB31_4
.LBB31_2:                               ;   in Loop: Header=BB31_4 Depth=1
	s_wait_xcnt 0x0
	s_or_b32 exec_lo, exec_lo, s22
.LBB31_3:                               ;   in Loop: Header=BB31_4 Depth=1
	s_add_co_i32 s2, s2, 0x10000
	s_delay_alu instid0(SALU_CYCLE_1)
	s_cmp_lt_u32 s2, s24
	s_cbranch_scc0 .LBB31_24
.LBB31_4:                               ; =>This Loop Header: Depth=1
                                        ;     Child Loop BB31_15 Depth 2
	s_and_not1_b32 vcc_lo, exec_lo, s1
	s_cbranch_vccnz .LBB31_3
; %bb.5:                                ;   in Loop: Header=BB31_4 Depth=1
	s_mul_u64 s[20:21], s[12:13], s[2:3]
	s_and_not1_b32 vcc_lo, exec_lo, s25
	s_lshl_b64 s[20:21], s[20:21], 4
	s_delay_alu instid0(SALU_CYCLE_1)
	s_add_nc_u64 s[20:21], s[18:19], s[20:21]
	s_cbranch_vccnz .LBB31_10
; %bb.6:                                ;   in Loop: Header=BB31_4 Depth=1
	s_mov_b32 s22, 0
	s_mov_b32 s28, 0
                                        ; implicit-def: $vgpr2_vgpr3
	s_and_saveexec_b32 s23, s0
	s_cbranch_execz .LBB31_11
; %bb.7:                                ;   in Loop: Header=BB31_4 Depth=1
	v_mov_b64_e32 v[2:3], 0
	v_cmp_ne_u32_e32 vcc_lo, 1, v10
	v_mov_b64_e32 v[0:1], 0
	s_cbranch_vccnz .LBB31_9
; %bb.8:                                ;   in Loop: Header=BB31_4 Depth=1
	v_lshl_add_u64 v[0:1], v[4:5], 4, s[20:21]
	global_load_b128 v[12:15], v[0:1], off
	s_wait_loadcnt 0x0
	s_wait_xcnt 0x0
	v_mul_f64_e32 v[0:1], s[10:11], v[14:15]
	v_mul_f64_e32 v[2:3], s[8:9], v[14:15]
	s_delay_alu instid0(VALU_DEP_2) | instskip(NEXT) | instid1(VALU_DEP_2)
	v_fma_f64 v[0:1], s[8:9], v[12:13], -v[0:1]
	v_fmac_f64_e32 v[2:3], s[10:11], v[12:13]
.LBB31_9:                               ;   in Loop: Header=BB31_4 Depth=1
	s_mov_b32 s28, exec_lo
	s_or_b32 exec_lo, exec_lo, s23
	s_delay_alu instid0(SALU_CYCLE_1)
	s_and_b32 vcc_lo, exec_lo, s22
	s_cbranch_vccnz .LBB31_12
	s_branch .LBB31_22
.LBB31_10:                              ;   in Loop: Header=BB31_4 Depth=1
	s_mov_b32 s28, 0
                                        ; implicit-def: $vgpr2_vgpr3
	s_cbranch_execnz .LBB31_12
	s_branch .LBB31_22
.LBB31_11:                              ;   in Loop: Header=BB31_4 Depth=1
	s_or_b32 exec_lo, exec_lo, s23
	s_delay_alu instid0(SALU_CYCLE_1)
	s_and_b32 vcc_lo, exec_lo, s22
	s_cbranch_vccz .LBB31_22
.LBB31_12:                              ;   in Loop: Header=BB31_4 Depth=1
                                        ; implicit-def: $vgpr2_vgpr3
	s_and_saveexec_b32 s29, s0
	s_cbranch_execz .LBB31_21
; %bb.13:                               ;   in Loop: Header=BB31_4 Depth=1
	s_load_b32 s22, s[16:17], 0x0
	v_mov_b64_e32 v[0:1], 0
	v_mov_b64_e32 v[8:9], 0
	s_wait_kmcnt 0x0
	s_cmp_ge_i32 s26, s22
	s_cbranch_scc1 .LBB31_16
; %bb.14:                               ;   in Loop: Header=BB31_4 Depth=1
	s_mov_b32 s23, s3
	v_mov_b64_e32 v[0:1], 0
	s_mul_u64 s[30:31], s[14:15], s[22:23]
	v_mov_b64_e32 v[8:9], 0
	v_mad_nc_u64_u32 v[2:3], s30, s2, v[6:7]
	s_mov_b32 s23, s26
	s_delay_alu instid0(VALU_DEP_1)
	v_mad_u32 v3, s31, s2, v3
.LBB31_15:                              ;   Parent Loop BB31_4 Depth=1
                                        ; =>  This Inner Loop Header: Depth=2
	global_load_b128 v[12:15], v[2:3], off offset:-8
	s_wait_xcnt 0x0
	v_add_nc_u64_e32 v[2:3], s[14:15], v[2:3]
	s_add_co_i32 s23, s23, 1
	s_delay_alu instid0(SALU_CYCLE_1)
	s_cmp_ge_i32 s23, s22
	s_wait_loadcnt 0x0
	v_add_f64_e32 v[8:9], v[8:9], v[12:13]
	v_add_f64_e32 v[0:1], v[0:1], v[14:15]
	s_cbranch_scc0 .LBB31_15
.LBB31_16:                              ;   in Loop: Header=BB31_4 Depth=1
	s_delay_alu instid0(VALU_DEP_1) | instskip(SKIP_3) | instid1(VALU_DEP_2)
	v_mul_f64_e32 v[12:13], s[6:7], v[0:1]
	v_mul_f64_e32 v[2:3], s[4:5], v[0:1]
	s_and_b32 vcc_lo, exec_lo, s27
	s_mov_b32 s22, -1
	v_fma_f64 v[0:1], s[4:5], v[8:9], -v[12:13]
	s_delay_alu instid0(VALU_DEP_2)
	v_fmac_f64_e32 v[2:3], s[6:7], v[8:9]
	s_cbranch_vccz .LBB31_18
; %bb.17:                               ;   in Loop: Header=BB31_4 Depth=1
	s_mov_b32 s22, 0
.LBB31_18:                              ;   in Loop: Header=BB31_4 Depth=1
	s_delay_alu instid0(SALU_CYCLE_1)
	s_and_not1_b32 vcc_lo, exec_lo, s22
	s_cbranch_vccnz .LBB31_20
; %bb.19:                               ;   in Loop: Header=BB31_4 Depth=1
	v_lshl_add_u64 v[8:9], v[4:5], 4, s[20:21]
	global_load_b128 v[12:15], v[8:9], off
	s_wait_loadcnt 0x0
	s_wait_xcnt 0x0
	v_mul_f64_e32 v[8:9], s[10:11], v[14:15]
	v_mul_f64_e32 v[14:15], s[8:9], v[14:15]
	s_delay_alu instid0(VALU_DEP_2) | instskip(NEXT) | instid1(VALU_DEP_2)
	v_fma_f64 v[8:9], s[8:9], v[12:13], -v[8:9]
	v_fmac_f64_e32 v[14:15], s[10:11], v[12:13]
	s_delay_alu instid0(VALU_DEP_2) | instskip(NEXT) | instid1(VALU_DEP_2)
	v_add_f64_e32 v[0:1], v[0:1], v[8:9]
	v_add_f64_e32 v[2:3], v[2:3], v[14:15]
.LBB31_20:                              ;   in Loop: Header=BB31_4 Depth=1
	s_or_b32 s28, s28, exec_lo
.LBB31_21:                              ;   in Loop: Header=BB31_4 Depth=1
	s_or_b32 exec_lo, exec_lo, s29
.LBB31_22:                              ;   in Loop: Header=BB31_4 Depth=1
	s_and_saveexec_b32 s22, s28
	s_cbranch_execz .LBB31_2
; %bb.23:                               ;   in Loop: Header=BB31_4 Depth=1
	v_lshl_add_u64 v[8:9], v[4:5], 4, s[20:21]
	global_store_b128 v[8:9], v[0:3], off
	s_branch .LBB31_2
.LBB31_24:
	s_endpgm
	.section	.rodata,"a",@progbits
	.p2align	6, 0x0
	.amdhsa_kernel _ZL36rocblas_hemvn_kernel_lower_block_sumILi64Ei19rocblas_complex_numIdEPS1_S1_EviT1_lS3_lT2_lT0_lPT3_i
		.amdhsa_group_segment_fixed_size 0
		.amdhsa_private_segment_fixed_size 0
		.amdhsa_kernarg_size 360
		.amdhsa_user_sgpr_count 2
		.amdhsa_user_sgpr_dispatch_ptr 0
		.amdhsa_user_sgpr_queue_ptr 0
		.amdhsa_user_sgpr_kernarg_segment_ptr 1
		.amdhsa_user_sgpr_dispatch_id 0
		.amdhsa_user_sgpr_kernarg_preload_length 0
		.amdhsa_user_sgpr_kernarg_preload_offset 0
		.amdhsa_user_sgpr_private_segment_size 0
		.amdhsa_wavefront_size32 1
		.amdhsa_uses_dynamic_stack 0
		.amdhsa_enable_private_segment 0
		.amdhsa_system_sgpr_workgroup_id_x 1
		.amdhsa_system_sgpr_workgroup_id_y 0
		.amdhsa_system_sgpr_workgroup_id_z 1
		.amdhsa_system_sgpr_workgroup_info 0
		.amdhsa_system_vgpr_workitem_id 0
		.amdhsa_next_free_vgpr 16
		.amdhsa_next_free_sgpr 32
		.amdhsa_named_barrier_count 0
		.amdhsa_reserve_vcc 1
		.amdhsa_float_round_mode_32 0
		.amdhsa_float_round_mode_16_64 0
		.amdhsa_float_denorm_mode_32 3
		.amdhsa_float_denorm_mode_16_64 3
		.amdhsa_fp16_overflow 0
		.amdhsa_memory_ordered 1
		.amdhsa_forward_progress 1
		.amdhsa_inst_pref_size 7
		.amdhsa_round_robin_scheduling 0
		.amdhsa_exception_fp_ieee_invalid_op 0
		.amdhsa_exception_fp_denorm_src 0
		.amdhsa_exception_fp_ieee_div_zero 0
		.amdhsa_exception_fp_ieee_overflow 0
		.amdhsa_exception_fp_ieee_underflow 0
		.amdhsa_exception_fp_ieee_inexact 0
		.amdhsa_exception_int_div_zero 0
	.end_amdhsa_kernel
	.section	.text._ZL36rocblas_hemvn_kernel_lower_block_sumILi64Ei19rocblas_complex_numIdEPS1_S1_EviT1_lS3_lT2_lT0_lPT3_i,"axG",@progbits,_ZL36rocblas_hemvn_kernel_lower_block_sumILi64Ei19rocblas_complex_numIdEPS1_S1_EviT1_lS3_lT2_lT0_lPT3_i,comdat
.Lfunc_end31:
	.size	_ZL36rocblas_hemvn_kernel_lower_block_sumILi64Ei19rocblas_complex_numIdEPS1_S1_EviT1_lS3_lT2_lT0_lPT3_i, .Lfunc_end31-_ZL36rocblas_hemvn_kernel_lower_block_sumILi64Ei19rocblas_complex_numIdEPS1_S1_EviT1_lS3_lT2_lT0_lPT3_i
                                        ; -- End function
	.set _ZL36rocblas_hemvn_kernel_lower_block_sumILi64Ei19rocblas_complex_numIdEPS1_S1_EviT1_lS3_lT2_lT0_lPT3_i.num_vgpr, 16
	.set _ZL36rocblas_hemvn_kernel_lower_block_sumILi64Ei19rocblas_complex_numIdEPS1_S1_EviT1_lS3_lT2_lT0_lPT3_i.num_agpr, 0
	.set _ZL36rocblas_hemvn_kernel_lower_block_sumILi64Ei19rocblas_complex_numIdEPS1_S1_EviT1_lS3_lT2_lT0_lPT3_i.numbered_sgpr, 32
	.set _ZL36rocblas_hemvn_kernel_lower_block_sumILi64Ei19rocblas_complex_numIdEPS1_S1_EviT1_lS3_lT2_lT0_lPT3_i.num_named_barrier, 0
	.set _ZL36rocblas_hemvn_kernel_lower_block_sumILi64Ei19rocblas_complex_numIdEPS1_S1_EviT1_lS3_lT2_lT0_lPT3_i.private_seg_size, 0
	.set _ZL36rocblas_hemvn_kernel_lower_block_sumILi64Ei19rocblas_complex_numIdEPS1_S1_EviT1_lS3_lT2_lT0_lPT3_i.uses_vcc, 1
	.set _ZL36rocblas_hemvn_kernel_lower_block_sumILi64Ei19rocblas_complex_numIdEPS1_S1_EviT1_lS3_lT2_lT0_lPT3_i.uses_flat_scratch, 0
	.set _ZL36rocblas_hemvn_kernel_lower_block_sumILi64Ei19rocblas_complex_numIdEPS1_S1_EviT1_lS3_lT2_lT0_lPT3_i.has_dyn_sized_stack, 0
	.set _ZL36rocblas_hemvn_kernel_lower_block_sumILi64Ei19rocblas_complex_numIdEPS1_S1_EviT1_lS3_lT2_lT0_lPT3_i.has_recursion, 0
	.set _ZL36rocblas_hemvn_kernel_lower_block_sumILi64Ei19rocblas_complex_numIdEPS1_S1_EviT1_lS3_lT2_lT0_lPT3_i.has_indirect_call, 0
	.section	.AMDGPU.csdata,"",@progbits
; Kernel info:
; codeLenInByte = 820
; TotalNumSgprs: 34
; NumVgprs: 16
; ScratchSize: 0
; MemoryBound: 0
; FloatMode: 240
; IeeeMode: 1
; LDSByteSize: 0 bytes/workgroup (compile time only)
; SGPRBlocks: 0
; VGPRBlocks: 0
; NumSGPRsForWavesPerEU: 34
; NumVGPRsForWavesPerEU: 16
; NamedBarCnt: 0
; Occupancy: 16
; WaveLimiterHint : 1
; COMPUTE_PGM_RSRC2:SCRATCH_EN: 0
; COMPUTE_PGM_RSRC2:USER_SGPR: 2
; COMPUTE_PGM_RSRC2:TRAP_HANDLER: 0
; COMPUTE_PGM_RSRC2:TGID_X_EN: 1
; COMPUTE_PGM_RSRC2:TGID_Y_EN: 0
; COMPUTE_PGM_RSRC2:TGID_Z_EN: 1
; COMPUTE_PGM_RSRC2:TIDIG_COMP_CNT: 0
	.section	.text._ZL26rocblas_hemvn_kernel_upperILb1ELi64ELi4ELi33ELi32ELi16ElPK19rocblas_complex_numIfEPKS3_PS1_EviT6_lT7_lT5_lS8_lS9_lS7_lT8_i,"axG",@progbits,_ZL26rocblas_hemvn_kernel_upperILb1ELi64ELi4ELi33ELi32ELi16ElPK19rocblas_complex_numIfEPKS3_PS1_EviT6_lT7_lT5_lS8_lS9_lS7_lT8_i,comdat
	.globl	_ZL26rocblas_hemvn_kernel_upperILb1ELi64ELi4ELi33ELi32ELi16ElPK19rocblas_complex_numIfEPKS3_PS1_EviT6_lT7_lT5_lS8_lS9_lS7_lT8_i ; -- Begin function _ZL26rocblas_hemvn_kernel_upperILb1ELi64ELi4ELi33ELi32ELi16ElPK19rocblas_complex_numIfEPKS3_PS1_EviT6_lT7_lT5_lS8_lS9_lS7_lT8_i
	.p2align	8
	.type	_ZL26rocblas_hemvn_kernel_upperILb1ELi64ELi4ELi33ELi32ELi16ElPK19rocblas_complex_numIfEPKS3_PS1_EviT6_lT7_lT5_lS8_lS9_lS7_lT8_i,@function
_ZL26rocblas_hemvn_kernel_upperILb1ELi64ELi4ELi33ELi32ELi16ElPK19rocblas_complex_numIfEPKS3_PS1_EviT6_lT7_lT5_lS8_lS9_lS7_lT8_i: ; @_ZL26rocblas_hemvn_kernel_upperILb1ELi64ELi4ELi33ELi32ELi16ElPK19rocblas_complex_numIfEPKS3_PS1_EviT6_lT7_lT5_lS8_lS9_lS7_lT8_i
; %bb.0:
	s_clause 0x1
	s_load_b64 s[2:3], s[0:1], 0x84
	s_load_b32 s33, s[0:1], 0x70
	s_bfe_u32 s4, ttmp6, 0x40014
	s_lshr_b32 s5, ttmp7, 16
	s_add_co_i32 s4, s4, 1
	s_bfe_u32 s6, ttmp6, 0x40008
	s_mul_i32 s7, s5, s4
	s_getreg_b32 s4, hwreg(HW_REG_IB_STS2, 6, 4)
	s_add_co_i32 s6, s6, s7
	s_mov_b32 s35, 0
	s_wait_kmcnt 0x0
	s_lshr_b32 s7, s2, 16
	s_and_b32 s2, s2, 0xffff
	s_and_b32 s3, s3, 0xffff
	s_mul_i32 s2, s7, s2
	s_cmp_eq_u32 s4, 0
	s_mul_i32 s2, s2, s3
	s_cselect_b32 s34, s5, s6
	s_cmp_lg_u32 s2, 0x100
	s_cselect_b32 s2, -1, 0
	s_cmp_ge_u32 s34, s33
	s_cselect_b32 s3, -1, 0
	s_delay_alu instid0(SALU_CYCLE_1) | instskip(NEXT) | instid1(SALU_CYCLE_1)
	s_or_b32 s2, s2, s3
	s_and_b32 vcc_lo, exec_lo, s2
	s_cbranch_vccnz .LBB32_164
; %bb.1:
	s_load_b32 s2, s[0:1], 0x0
	s_add_nc_u64 s[6:7], s[0:1], 0x78
	s_clause 0x2
	s_load_b256 s[24:31], s[0:1], 0x8
	s_load_b64 s[22:23], s[0:1], 0x28
	s_load_b128 s[36:39], s[0:1], 0x38
	s_load_b32 s44, s[6:7], 0x0
	s_clause 0x2
	s_load_b64 s[8:9], s[0:1], 0x68
	s_load_b64 s[46:47], s[0:1], 0x48
	s_load_b128 s[40:43], s[0:1], 0x58
	s_wait_xcnt 0x0
	s_bfe_u32 s1, ttmp6, 0x4000c
	s_and_b32 s0, ttmp6, 15
	s_add_co_i32 s1, s1, 1
	v_and_b32_e32 v178, 0x3ff, v0
	s_mul_i32 s1, ttmp9, s1
	v_bfe_u32 v1, v0, 10, 10
	s_add_co_i32 s0, s0, s1
	v_dual_mov_b32 v59, 0 :: v_dual_bitop2_b32 v56, 31, v0 bitop3:0x40
	s_mov_b32 s45, s35
	s_delay_alu instid0(VALU_DEP_2) | instskip(NEXT) | instid1(VALU_DEP_2)
	v_lshl_add_u32 v36, v1, 6, v178
	v_dual_lshlrev_b32 v186, 2, v1 :: v_dual_bitop2_b32 v42, 32, v56 bitop3:0x54
	s_delay_alu instid0(VALU_DEP_3) | instskip(SKIP_1) | instid1(VALU_DEP_4)
	v_mov_b32_e32 v57, v59
	v_mov_b64_e32 v[102:103], 0
	v_lshrrev_b32_e32 v37, 5, v36
	v_lshlrev_b32_e32 v179, 3, v56
	s_wait_kmcnt 0x0
	s_ashr_i32 s3, s2, 31
	s_cmp_eq_u32 s4, 0
	v_and_b32_e32 v6, 0x7fe0, v36
	s_cselect_b32 s48, ttmp9, s0
	s_lshr_b32 s0, s3, 26
	s_add_co_i32 s1, s44, -1
	s_add_co_i32 s0, s2, s0
	s_lshl_b32 s76, s48, 6
	s_and_not1_b32 s0, s0, 63
	v_add_nc_u32_e32 v35, 16, v37
	s_sub_co_i32 s80, s2, s0
	s_cmp_eq_u32 s48, s1
	v_dual_add_nc_u32 v38, 24, v37 :: v_dual_lshlrev_b32 v2, 2, v37
	s_cselect_b32 s50, s80, 0
	v_lshl_or_b32 v3, v56, 8, v179
	s_cmp_lg_u32 s50, 0
	s_delay_alu instid0(VALU_DEP_2)
	v_dual_lshlrev_b32 v58, 5, v1 :: v_dual_bitop2_b32 v4, 1, v2 bitop3:0x54
	s_cselect_b32 s81, -1, 0
	s_cmp_eq_u32 s50, 0
	v_add_nc_u32_e32 v181, v3, v6
	s_cselect_b32 s1, -1, 0
	s_ashr_i32 s49, s48, 31
	v_mul_u32_u24_e32 v3, 33, v56
	s_mul_u64 s[4:5], s[2:3], s[48:49]
	v_cmp_le_u32_e64 s6, v2, v56
	s_lshl_b64 s[4:5], s[4:5], 3
	v_cmp_eq_u32_e64 s7, v2, v56
	s_add_nc_u64 s[54:55], s[8:9], s[4:5]
	v_dual_lshlrev_b32 v41, 3, v37 :: v_dual_bitop2_b32 v5, 2, v2 bitop3:0x54
	v_cmp_ge_u32_e64 s8, v2, v56
	v_dual_lshlrev_b32 v182, 3, v3 :: v_dual_bitop2_b32 v7, 3, v2 bitop3:0x54
	v_add_nc_u64_e32 v[2:3], 0x100, v[58:59]
	v_mul_u32_u24_e32 v40, 0x108, v4
	v_cmp_eq_u32_e64 s9, v4, v56
	v_cmp_le_u32_e64 s10, v5, v56
	v_cmp_eq_u32_e64 s11, v5, v56
	v_add_nc_u64_e32 v[4:5], 0x110, v[58:59]
	v_mad_nc_u64_u32 v[62:63], s22, v37, v[56:57]
	v_mul_u64_e32 v[2:3], s[22:23], v[2:3]
	v_add_nc_u32_e32 v183, 0x2380, v6
	v_add_nc_u32_e32 v184, v182, v41
	v_cmp_le_u32_e64 s12, v7, v56
	v_cmp_eq_u32_e64 s13, v7, v56
	v_mul_u64_e32 v[4:5], s[22:23], v[4:5]
	v_add_nc_u64_e32 v[6:7], 0x108, v[58:59]
	v_add_nc_u64_e32 v[8:9], 0x118, v[58:59]
	;; [unrolled: 1-line block ×14, first 2 shown]
	v_dual_add_nc_u32 v60, s76, v178 :: v_dual_lshlrev_b32 v64, 3, v178
	v_mul_u64_e32 v[6:7], s[22:23], v[6:7]
	v_mul_u64_e32 v[8:9], s[22:23], v[8:9]
	;; [unrolled: 1-line block ×14, first 2 shown]
	v_mad_u32 v63, s23, v37, v63
	v_dual_ashrrev_i32 v61, 31, v60 :: v_dual_add_nc_u32 v34, 8, v37
	s_sub_co_i32 s19, s50, 32
	s_mul_u64 s[52:53], s[44:45], s[2:3]
	v_cmp_gt_i32_e64 s4, s50, v35
	s_delay_alu instid0(VALU_DEP_2)
	v_mul_u64_e32 v[98:99], s[46:47], v[60:61]
	v_cmp_gt_i32_e64 s3, s50, v34
	v_cmp_gt_i32_e64 s17, s19, v34
	;; [unrolled: 1-line block ×4, first 2 shown]
	v_lshlrev_b64_e32 v[34:35], 3, v[62:63]
	v_mul_u32_u24_e32 v180, 0x108, v37
	v_mul_u32_u24_e32 v39, 0x420, v37
	v_cmp_gt_i32_e64 s16, s19, v37
	v_cmp_eq_u32_e64 s20, 1, v37
	v_mul_i32_i24_e32 v185, 0xffffffe8, v37
	v_cmp_gt_i32_e32 vcc_lo, s50, v178
	v_sub_nc_u64_e32 v[66:67], v[2:3], v[34:35]
	v_and_b32_e32 v2, 48, v0
	v_lshrrev_b32_e32 v37, 4, v36
	v_sub_nc_u64_e32 v[68:69], v[4:5], v[34:35]
	v_dual_mov_b32 v65, v59 :: v_dual_bitop2_b32 v0, 15, v0 bitop3:0x40
	s_delay_alu instid0(VALU_DEP_3) | instskip(SKIP_3) | instid1(VALU_DEP_3)
	v_dual_lshlrev_b32 v2, 3, v2 :: v_dual_lshlrev_b32 v3, 5, v37
	v_or_b32_e32 v4, 0x78, v64
	s_or_b32 s68, s1, vcc_lo
	v_cmp_eq_u32_e64 s0, 0, v1
	v_mad_u32_u24 v188, 0x218, v0, v2
	v_mad_u32_u24 v187, 0x218, v0, v3
	;; [unrolled: 1-line block ×3, first 2 shown]
	v_mul_i32_i24_e32 v0, 0xffffffe8, v37
	s_add_co_i32 s21, s48, 1
	v_sub_nc_u64_e32 v[70:71], v[6:7], v[34:35]
	v_sub_nc_u64_e32 v[72:73], v[8:9], v[34:35]
	;; [unrolled: 1-line block ×15, first 2 shown]
	s_xor_b32 s82, s68, -1
	s_ashr_i32 s77, s76, 31
	s_ashr_i32 s51, s50, 31
	s_lshl_b64 s[58:59], s[22:23], 6
	s_lshl_b64 s[60:61], s[22:23], 7
	;; [unrolled: 1-line block ×3, first 2 shown]
	v_cmp_gt_i32_e64 s1, s50, v56
	v_cmp_gt_i32_e64 s5, s50, v38
	v_cmp_gt_u32_e64 s14, 32, v36
	v_cmp_gt_i32_e64 s15, s50, v42
	v_cmp_gt_i32_e64 s19, s19, v38
	s_cmp_lt_u32 s21, s44
	v_cmp_gt_u32_e64 s21, 64, v36
	v_mad_u32_u24 v190, 0x860, v1, v64
	v_mad_u32_u24 v191, 0x218, v1, v64
	v_add_nc_u32_e32 v192, 0x2380, v41
	v_dual_add_nc_u32 v193, v187, v0 :: v_dual_add_nc_u32 v198, 8, v181
	v_dual_add_nc_u32 v194, v179, v39 :: v_dual_add_nc_u32 v195, v179, v40
	v_add_nc_u32_e32 v196, 0x2380, v64
	v_mad_u32_u24 v197, 0x108, v56, v179
	v_dual_add_nc_u32 v199, 16, v181 :: v_dual_add_nc_u32 v200, 24, v181
	v_add_nc_u32_e32 v201, 0x2180, v64
	v_add_nc_u32_e32 v202, 0x2180, v58
	v_dual_add_nc_u32 v206, 16, v186 :: v_dual_bitop2_b32 v203, 1, v186 bitop3:0x54
	v_dual_add_nc_u32 v207, 17, v186 :: v_dual_bitop2_b32 v204, 2, v186 bitop3:0x54
	;; [unrolled: 1-line block ×3, first 2 shown]
	v_dual_add_nc_u32 v209, 19, v186 :: v_dual_add_nc_u32 v210, 32, v186
	v_dual_add_nc_u32 v211, 33, v186 :: v_dual_add_nc_u32 v212, 34, v186
	;; [unrolled: 1-line block ×4, first 2 shown]
	v_add_nc_u32_e32 v216, 51, v186
	s_mul_u64 s[66:67], s[46:47], s[76:77]
	s_mul_u64 s[56:57], s[22:23], s[76:77]
	;; [unrolled: 1-line block ×3, first 2 shown]
	s_sub_nc_u64 s[66:67], 0, s[66:67]
	s_cselect_b32 s45, -1, 0
	s_add_co_i32 s49, s44, -2
	s_and_b32 s83, s0, s68
	s_sub_nc_u64 s[68:69], 0, s[50:51]
	s_add_co_i32 s84, s76, 64
	s_lshl_b64 s[70:71], s[22:23], 9
	s_mov_b64 s[72:73], 0xffffffffffffff00
	s_mov_b64 s[74:75], 0xfffffffffffffef8
	s_lshl_b64 s[38:39], s[38:39], 3
	s_lshl_b64 s[30:31], s[30:31], 3
	s_lshl_b64 s[76:77], s[76:77], 3
	s_branch .LBB32_4
.LBB32_2:                               ;   in Loop: Header=BB32_4 Depth=1
	s_wait_xcnt 0x0
	s_or_b32 exec_lo, exec_lo, s78
.LBB32_3:                               ;   in Loop: Header=BB32_4 Depth=1
	s_add_co_i32 s34, s34, 0x10000
	s_delay_alu instid0(SALU_CYCLE_1)
	s_cmp_lt_u32 s34, s33
	s_cbranch_scc0 .LBB32_164
.LBB32_4:                               ; =>This Loop Header: Depth=1
                                        ;     Child Loop BB32_106 Depth 2
	s_mul_u64 s[22:23], s[26:27], s[34:35]
	s_delay_alu instid0(SALU_CYCLE_1) | instskip(NEXT) | instid1(SALU_CYCLE_1)
	s_lshl_b64 s[22:23], s[22:23], 3
	s_add_nc_u64 s[22:23], s[24:25], s[22:23]
	global_load_b64 v[0:1], v59, s[22:23]
	s_wait_xcnt 0x0
	s_mov_b32 s22, -1
	s_wait_loadcnt 0x0
	v_or_b32_e32 v0, v0, v1
	s_delay_alu instid0(VALU_DEP_1) | instskip(NEXT) | instid1(VALU_DEP_1)
	v_and_b32_e32 v0, 0x7fffffff, v0
	v_cmp_ne_u32_e32 vcc_lo, 0, v0
	s_cbranch_vccz .LBB32_6
; %bb.5:                                ;   in Loop: Header=BB32_4 Depth=1
	s_and_not1_b32 vcc_lo, exec_lo, s22
	s_cbranch_vccnz .LBB32_3
	s_branch .LBB32_7
.LBB32_6:                               ;   in Loop: Header=BB32_4 Depth=1
	s_mul_u64 s[22:23], s[42:43], s[34:35]
	s_delay_alu instid0(SALU_CYCLE_1) | instskip(NEXT) | instid1(SALU_CYCLE_1)
	s_lshl_b64 s[22:23], s[22:23], 3
	s_add_nc_u64 s[22:23], s[40:41], s[22:23]
	global_load_b64 v[0:1], v59, s[22:23]
	s_wait_loadcnt 0x0
	v_cmp_eq_f32_e32 vcc_lo, 1.0, v0
	s_wait_xcnt 0x0
	v_cmp_eq_f32_e64 s22, 0, v1
	s_and_b32 s22, vcc_lo, s22
	s_delay_alu instid0(SALU_CYCLE_1)
	s_and_not1_b32 vcc_lo, exec_lo, s22
	s_cbranch_execnz .LBB32_3
.LBB32_7:                               ;   in Loop: Header=BB32_4 Depth=1
	s_lshl_b64 s[22:23], s[34:35], 3
	s_delay_alu instid0(SALU_CYCLE_1)
	s_add_nc_u64 s[78:79], s[36:37], s[22:23]
	s_add_nc_u64 s[22:23], s[28:29], s[22:23]
	s_clause 0x1
	global_load_b64 v[2:3], v59, s[78:79]
	global_load_b64 v[0:1], v59, s[22:23]
	s_wait_loadcnt 0x1
	v_add_nc_u64_e32 v[2:3], s[38:39], v[2:3]
	s_delay_alu instid0(VALU_DEP_1)
	v_lshl_add_u64 v[12:13], v[98:99], 3, v[2:3]
	s_wait_xcnt 0x0
	s_and_saveexec_b32 s22, s0
	s_cbranch_execz .LBB32_12
; %bb.8:                                ;   in Loop: Header=BB32_4 Depth=1
	s_and_saveexec_b32 s23, s82
	s_delay_alu instid0(SALU_CYCLE_1)
	s_xor_b32 s23, exec_lo, s23
; %bb.9:                                ;   in Loop: Header=BB32_4 Depth=1
	ds_store_b64 v196, v[102:103]
; %bb.10:                               ;   in Loop: Header=BB32_4 Depth=1
	s_and_not1_saveexec_b32 s23, s23
	s_cbranch_execz .LBB32_12
; %bb.11:                               ;   in Loop: Header=BB32_4 Depth=1
	flat_load_b64 v[2:3], v[12:13]
	s_wait_loadcnt_dscnt 0x0
	ds_store_b64 v196, v[2:3]
.LBB32_12:                              ;   in Loop: Header=BB32_4 Depth=1
	s_wait_xcnt 0x0
	s_or_b32 exec_lo, exec_lo, s22
	s_wait_loadcnt 0x0
	v_add_nc_u64_e32 v[0:1], s[30:31], v[0:1]
	s_and_b32 vcc_lo, exec_lo, s81
	s_mov_b32 s22, -1
	s_delay_alu instid0(VALU_DEP_1) | instskip(NEXT) | instid1(VALU_DEP_1)
	v_add_nc_u64_e32 v[0:1], s[76:77], v[0:1]
	v_lshl_add_u64 v[0:1], v[62:63], 3, v[0:1]
	s_delay_alu instid0(VALU_DEP_1)
	v_lshl_add_u64 v[2:3], s[56:57], 3, v[0:1]
                                        ; implicit-def: $vgpr0_vgpr1
	s_cbranch_vccz .LBB32_22
; %bb.13:                               ;   in Loop: Header=BB32_4 Depth=1
	s_delay_alu instid0(VALU_DEP_1) | instskip(SKIP_2) | instid1(VALU_DEP_3)
	v_lshl_add_u64 v[0:1], v[100:101], 3, v[2:3]
	v_dual_mov_b32 v6, 0 :: v_dual_mov_b32 v4, 0
	v_mov_b32_e32 v5, 0
	v_lshl_add_u64 v[0:1], s[50:51], 3, v[0:1]
	s_delay_alu instid0(VALU_DEP_1) | instskip(NEXT) | instid1(VALU_DEP_1)
	v_add_nc_u64_e32 v[0:1], -8, v[0:1]
	v_dual_cndmask_b32 v1, v1, v3, s1 :: v_dual_cndmask_b32 v0, v0, v2, s1
	s_and_saveexec_b32 s22, s2
	s_cbranch_execz .LBB32_15
; %bb.14:                               ;   in Loop: Header=BB32_4 Depth=1
	flat_load_b64 v[4:5], v[0:1]
.LBB32_15:                              ;   in Loop: Header=BB32_4 Depth=1
	s_wait_xcnt 0x0
	s_or_b32 exec_lo, exec_lo, s22
	v_dual_mov_b32 v7, 0 :: v_dual_add_nc_u32 v10, v179, v180
	s_wait_loadcnt_dscnt 0x0
	ds_store_b64 v10, v[4:5]
	s_and_saveexec_b32 s22, s3
	s_cbranch_execz .LBB32_17
; %bb.16:                               ;   in Loop: Header=BB32_4 Depth=1
	v_add_nc_u64_e32 v[4:5], s[58:59], v[0:1]
	flat_load_b64 v[6:7], v[4:5]
.LBB32_17:                              ;   in Loop: Header=BB32_4 Depth=1
	s_wait_xcnt 0x0
	s_or_b32 exec_lo, exec_lo, s22
	v_dual_mov_b32 v4, 0 :: v_dual_mov_b32 v8, 0
	v_mov_b32_e32 v9, 0
	s_wait_loadcnt_dscnt 0x0
	ds_store_b64 v10, v[6:7] offset:2112
	s_and_saveexec_b32 s22, s4
	s_cbranch_execz .LBB32_19
; %bb.18:                               ;   in Loop: Header=BB32_4 Depth=1
	v_add_nc_u64_e32 v[6:7], s[60:61], v[0:1]
	flat_load_b64 v[8:9], v[6:7]
.LBB32_19:                              ;   in Loop: Header=BB32_4 Depth=1
	s_wait_xcnt 0x0
	s_or_b32 exec_lo, exec_lo, s22
	v_mov_b32_e32 v5, 0
	s_wait_loadcnt_dscnt 0x0
	ds_store_b64 v10, v[8:9] offset:4224
	s_and_saveexec_b32 s22, s5
	s_cbranch_execz .LBB32_21
; %bb.20:                               ;   in Loop: Header=BB32_4 Depth=1
	v_add_nc_u64_e32 v[4:5], s[62:63], v[0:1]
	flat_load_b64 v[4:5], v[4:5]
.LBB32_21:                              ;   in Loop: Header=BB32_4 Depth=1
	s_wait_xcnt 0x0
	s_or_b32 exec_lo, exec_lo, s22
	v_lshlrev_b32_e32 v58, 3, v56
	s_mov_b32 s22, 0
	s_wait_loadcnt_dscnt 0x0
	ds_store_b64 v10, v[4:5] offset:6336
	v_add_nc_u64_e32 v[0:1], v[0:1], v[58:59]
	s_delay_alu instid0(VALU_DEP_1) | instskip(NEXT) | instid1(VALU_DEP_1)
	v_lshl_add_u64 v[0:1], s[68:69], 3, v[0:1]
	v_add_nc_u64_e32 v[0:1], 8, v[0:1]
	s_delay_alu instid0(VALU_DEP_1)
	v_dual_cndmask_b32 v1, v1, v3, s1 :: v_dual_cndmask_b32 v0, v0, v2, s1
.LBB32_22:                              ;   in Loop: Header=BB32_4 Depth=1
	v_add_nc_u32_e32 v16, v179, v180
	s_and_b32 vcc_lo, exec_lo, s22
	s_cbranch_vccz .LBB32_24
; %bb.23:                               ;   in Loop: Header=BB32_4 Depth=1
	v_add_nc_u64_e32 v[0:1], s[58:59], v[2:3]
	s_delay_alu instid0(VALU_DEP_1) | instskip(NEXT) | instid1(VALU_DEP_1)
	v_add_nc_u64_e32 v[4:5], s[58:59], v[0:1]
	v_add_nc_u64_e32 v[6:7], s[58:59], v[4:5]
	s_clause 0x3
	flat_load_b64 v[8:9], v[2:3]
	flat_load_b64 v[10:11], v[0:1]
	;; [unrolled: 1-line block ×4, first 2 shown]
	s_wait_xcnt 0x2
	v_mov_b64_e32 v[0:1], v[2:3]
	s_wait_loadcnt_dscnt 0x303
	ds_store_b64 v16, v[8:9]
	s_wait_loadcnt_dscnt 0x203
	ds_store_b64 v16, v[10:11] offset:2112
	s_wait_loadcnt_dscnt 0x103
	ds_store_b64 v16, v[4:5] offset:4224
	;; [unrolled: 2-line block ×3, first 2 shown]
.LBB32_24:                              ;   in Loop: Header=BB32_4 Depth=1
	s_mov_b32 s22, 0
	s_wait_dscnt 0x0
	s_barrier_signal -1
	s_barrier_wait -1
	s_wait_xcnt 0x0
	s_and_saveexec_b32 s23, s6
	s_delay_alu instid0(SALU_CYCLE_1)
	s_xor_b32 s23, exec_lo, s23
; %bb.25:                               ;   in Loop: Header=BB32_4 Depth=1
	s_and_b32 s22, s7, exec_lo
; %bb.26:                               ;   in Loop: Header=BB32_4 Depth=1
	s_or_saveexec_b32 s23, s23
	v_dual_mov_b32 v2, 0 :: v_dual_mov_b32 v3, v197
	s_xor_b32 exec_lo, exec_lo, s23
	s_cbranch_execz .LBB32_28
; %bb.27:                               ;   in Loop: Header=BB32_4 Depth=1
	ds_load_b64 v[4:5], v194
	v_mov_b32_e32 v3, v181
	s_or_b32 s22, s22, exec_lo
	s_wait_dscnt 0x0
	v_xor_b32_e32 v2, 0x80000000, v5
	ds_store_b32 v181, v4
.LBB32_28:                              ;   in Loop: Header=BB32_4 Depth=1
	s_or_b32 exec_lo, exec_lo, s23
	s_and_saveexec_b32 s23, s22
; %bb.29:                               ;   in Loop: Header=BB32_4 Depth=1
	ds_store_b32 v3, v2 offset:4
; %bb.30:                               ;   in Loop: Header=BB32_4 Depth=1
	s_or_b32 exec_lo, exec_lo, s23
	s_mov_b32 s22, 0
                                        ; implicit-def: $vgpr2
	s_and_saveexec_b32 s23, s8
	s_delay_alu instid0(SALU_CYCLE_1)
	s_xor_b32 s23, exec_lo, s23
	s_cbranch_execnz .LBB32_160
; %bb.31:                               ;   in Loop: Header=BB32_4 Depth=1
	s_or_saveexec_b32 s23, s23
	v_mov_b32_e32 v3, v198
	s_xor_b32 exec_lo, exec_lo, s23
	s_cbranch_execnz .LBB32_161
.LBB32_32:                              ;   in Loop: Header=BB32_4 Depth=1
	s_or_b32 exec_lo, exec_lo, s23
	s_and_saveexec_b32 s23, s22
.LBB32_33:                              ;   in Loop: Header=BB32_4 Depth=1
	ds_store_b32 v3, v2 offset:4
.LBB32_34:                              ;   in Loop: Header=BB32_4 Depth=1
	s_or_b32 exec_lo, exec_lo, s23
	s_mov_b32 s22, 0
	s_and_saveexec_b32 s23, s10
	s_delay_alu instid0(SALU_CYCLE_1)
	s_xor_b32 s23, exec_lo, s23
; %bb.35:                               ;   in Loop: Header=BB32_4 Depth=1
	s_and_b32 s22, s11, exec_lo
; %bb.36:                               ;   in Loop: Header=BB32_4 Depth=1
	s_or_saveexec_b32 s23, s23
	v_dual_mov_b32 v2, 0 :: v_dual_mov_b32 v3, v197
	s_xor_b32 exec_lo, exec_lo, s23
	s_cbranch_execz .LBB32_38
; %bb.37:                               ;   in Loop: Header=BB32_4 Depth=1
	ds_load_b64 v[4:5], v195 offset:264
	v_mov_b32_e32 v3, v199
	s_or_b32 s22, s22, exec_lo
	s_wait_dscnt 0x0
	v_xor_b32_e32 v2, 0x80000000, v5
	ds_store_b32 v199, v4
.LBB32_38:                              ;   in Loop: Header=BB32_4 Depth=1
	s_or_b32 exec_lo, exec_lo, s23
	s_and_saveexec_b32 s23, s22
; %bb.39:                               ;   in Loop: Header=BB32_4 Depth=1
	ds_store_b32 v3, v2 offset:4
; %bb.40:                               ;   in Loop: Header=BB32_4 Depth=1
	s_or_b32 exec_lo, exec_lo, s23
	s_mov_b32 s22, 0
	s_and_saveexec_b32 s23, s12
	s_delay_alu instid0(SALU_CYCLE_1)
	s_xor_b32 s23, exec_lo, s23
; %bb.41:                               ;   in Loop: Header=BB32_4 Depth=1
	s_and_b32 s22, s13, exec_lo
; %bb.42:                               ;   in Loop: Header=BB32_4 Depth=1
	s_or_saveexec_b32 s23, s23
	v_dual_mov_b32 v2, 0 :: v_dual_mov_b32 v3, v197
	s_xor_b32 exec_lo, exec_lo, s23
	s_cbranch_execz .LBB32_44
; %bb.43:                               ;   in Loop: Header=BB32_4 Depth=1
	ds_load_b64 v[4:5], v195 offset:528
	v_mov_b32_e32 v3, v200
	s_or_b32 s22, s22, exec_lo
	s_wait_dscnt 0x0
	v_xor_b32_e32 v2, 0x80000000, v5
	ds_store_b32 v200, v4
.LBB32_44:                              ;   in Loop: Header=BB32_4 Depth=1
	s_or_b32 exec_lo, exec_lo, s23
	s_and_saveexec_b32 s23, s22
; %bb.45:                               ;   in Loop: Header=BB32_4 Depth=1
	ds_store_b32 v3, v2 offset:4
; %bb.46:                               ;   in Loop: Header=BB32_4 Depth=1
	s_or_b32 exec_lo, exec_lo, s23
	s_wait_dscnt 0x0
	s_barrier_signal -1
	s_barrier_wait -1
	ds_load_b64 v[10:11], v194
	ds_load_b128 v[2:5], v183
	ds_load_2addr_b64 v[6:9], v195 offset1:33
	ds_load_b128 v[18:21], v183 offset:16
	ds_load_b64 v[14:15], v195 offset:528
	v_mov_b64_e32 v[104:105], 0
	s_wait_dscnt 0x0
	s_barrier_signal -1
	s_barrier_wait -1
	v_pk_mul_f32 v[22:23], v[2:3], v[10:11] op_sel:[1,1] op_sel_hi:[0,1]
	v_dual_mov_b32 v24, v5 :: v_dual_mov_b32 v25, v4
	v_pk_mul_f32 v[26:27], v[18:19], v[8:9] op_sel:[1,1] op_sel_hi:[0,1]
	v_dual_mov_b32 v30, v21 :: v_dual_mov_b32 v31, v20
	s_delay_alu instid0(VALU_DEP_4) | instskip(NEXT) | instid1(VALU_DEP_4)
	v_pk_fma_f32 v[28:29], v[2:3], v[10:11], v[22:23] op_sel_hi:[1,0,1]
	v_pk_mul_f32 v[24:25], v[24:25], v[6:7] op_sel:[0,1]
	v_pk_fma_f32 v[2:3], v[2:3], v[10:11], v[22:23] neg_lo:[0,0,1] neg_hi:[0,0,1]
	v_pk_fma_f32 v[22:23], v[18:19], v[8:9], v[26:27] op_sel_hi:[1,0,1]
	s_delay_alu instid0(VALU_DEP_3)
	v_pk_fma_f32 v[10:11], v[4:5], v[6:7], v[24:25] op_sel_hi:[1,0,1]
	v_mov_b32_e32 v3, v29
	v_pk_fma_f32 v[4:5], v[4:5], v[6:7], v[24:25] neg_lo:[0,0,1] neg_hi:[0,0,1]
	v_pk_mul_f32 v[28:29], v[30:31], v[14:15] op_sel:[0,1]
	v_pk_fma_f32 v[6:7], v[18:19], v[8:9], v[26:27] neg_lo:[0,0,1] neg_hi:[0,0,1]
	v_mov_b32_e32 v5, v11
	v_pk_add_f32 v[2:3], v[2:3], 0 op_sel_hi:[1,0]
	s_delay_alu instid0(VALU_DEP_4) | instskip(SKIP_1) | instid1(VALU_DEP_3)
	v_pk_fma_f32 v[8:9], v[20:21], v[14:15], v[28:29] op_sel_hi:[1,0,1]
	v_mov_b32_e32 v7, v23
	v_pk_add_f32 v[2:3], v[2:3], v[4:5]
	v_pk_fma_f32 v[4:5], v[20:21], v[14:15], v[28:29] neg_lo:[0,0,1] neg_hi:[0,0,1]
	s_delay_alu instid0(VALU_DEP_4) | instskip(NEXT) | instid1(VALU_DEP_3)
	v_mov_b32_e32 v5, v9
	v_pk_add_f32 v[2:3], v[2:3], v[6:7]
	s_delay_alu instid0(VALU_DEP_1)
	v_pk_add_f32 v[2:3], v[2:3], v[4:5]
	ds_store_b64 v184, v[2:3]
	s_wait_dscnt 0x0
	s_barrier_signal -1
	s_barrier_wait -1
	s_and_saveexec_b32 s22, s14
	s_cbranch_execz .LBB32_48
; %bb.47:                               ;   in Loop: Header=BB32_4 Depth=1
	ds_load_2addr_b64 v[2:5], v182 offset1:7
	ds_load_2addr_b64 v[6:9], v182 offset0:1 offset1:2
	ds_load_2addr_b64 v[18:21], v182 offset0:3 offset1:4
	;; [unrolled: 1-line block ×3, first 2 shown]
	s_wait_dscnt 0x2
	v_dual_add_f32 v2, v6, v2 :: v_dual_add_f32 v3, v7, v3
	s_delay_alu instid0(VALU_DEP_1) | instskip(SKIP_1) | instid1(VALU_DEP_1)
	v_dual_add_f32 v2, v8, v2 :: v_dual_add_f32 v3, v9, v3
	s_wait_dscnt 0x1
	v_dual_add_f32 v2, v2, v18 :: v_dual_add_f32 v3, v3, v19
	s_delay_alu instid0(VALU_DEP_1) | instskip(SKIP_1) | instid1(VALU_DEP_1)
	v_dual_add_f32 v2, v2, v20 :: v_dual_add_f32 v3, v3, v21
	s_wait_dscnt 0x0
	v_dual_add_f32 v2, v2, v22 :: v_dual_add_f32 v3, v3, v23
	s_delay_alu instid0(VALU_DEP_1) | instskip(NEXT) | instid1(VALU_DEP_1)
	v_dual_add_f32 v2, v2, v24 :: v_dual_add_f32 v3, v3, v25
	v_pk_add_f32 v[104:105], v[2:3], v[4:5]
.LBB32_48:                              ;   in Loop: Header=BB32_4 Depth=1
	s_or_b32 exec_lo, exec_lo, s22
	v_lshl_add_u64 v[4:5], s[64:65], 3, v[0:1]
	s_and_b32 vcc_lo, exec_lo, s81
	s_mov_b32 s22, -1
	s_barrier_signal -1
	s_delay_alu instid0(VALU_DEP_1)
	v_add_nc_u64_e32 v[2:3], 0x100, v[4:5]
	s_barrier_wait -1
                                        ; implicit-def: $vgpr0_vgpr1
	s_cbranch_vccz .LBB32_58
; %bb.49:                               ;   in Loop: Header=BB32_4 Depth=1
	v_lshl_add_u64 v[0:1], v[100:101], 3, v[4:5]
	v_dual_mov_b32 v8, 0 :: v_dual_mov_b32 v6, 0
	v_mov_b32_e32 v7, 0
	s_delay_alu instid0(VALU_DEP_3) | instskip(NEXT) | instid1(VALU_DEP_1)
	v_lshl_add_u64 v[0:1], s[50:51], 3, v[0:1]
	v_add_nc_u64_e32 v[0:1], -8, v[0:1]
	s_delay_alu instid0(VALU_DEP_1)
	v_dual_cndmask_b32 v1, v1, v3, s15 :: v_dual_cndmask_b32 v0, v0, v2, s15
	s_and_saveexec_b32 s22, s16
	s_cbranch_execz .LBB32_51
; %bb.50:                               ;   in Loop: Header=BB32_4 Depth=1
	flat_load_b64 v[6:7], v[0:1]
.LBB32_51:                              ;   in Loop: Header=BB32_4 Depth=1
	s_wait_xcnt 0x0
	s_or_b32 exec_lo, exec_lo, s22
	v_mov_b32_e32 v9, 0
	s_wait_loadcnt_dscnt 0x0
	ds_store_b64 v16, v[6:7]
	s_and_saveexec_b32 s22, s17
	s_cbranch_execz .LBB32_53
; %bb.52:                               ;   in Loop: Header=BB32_4 Depth=1
	v_add_nc_u64_e32 v[6:7], s[58:59], v[0:1]
	flat_load_b64 v[8:9], v[6:7]
.LBB32_53:                              ;   in Loop: Header=BB32_4 Depth=1
	s_wait_xcnt 0x0
	s_or_b32 exec_lo, exec_lo, s22
	v_dual_mov_b32 v6, 0 :: v_dual_mov_b32 v10, 0
	v_mov_b32_e32 v11, 0
	s_wait_loadcnt_dscnt 0x0
	ds_store_b64 v16, v[8:9] offset:2112
	s_and_saveexec_b32 s22, s18
	s_cbranch_execz .LBB32_55
; %bb.54:                               ;   in Loop: Header=BB32_4 Depth=1
	v_add_nc_u64_e32 v[8:9], s[60:61], v[0:1]
	flat_load_b64 v[10:11], v[8:9]
.LBB32_55:                              ;   in Loop: Header=BB32_4 Depth=1
	s_wait_xcnt 0x0
	s_or_b32 exec_lo, exec_lo, s22
	v_mov_b32_e32 v7, 0
	s_wait_loadcnt_dscnt 0x0
	ds_store_b64 v16, v[10:11] offset:4224
	s_and_saveexec_b32 s22, s19
	s_cbranch_execz .LBB32_57
; %bb.56:                               ;   in Loop: Header=BB32_4 Depth=1
	v_add_nc_u64_e32 v[6:7], s[62:63], v[0:1]
	flat_load_b64 v[6:7], v[6:7]
.LBB32_57:                              ;   in Loop: Header=BB32_4 Depth=1
	s_wait_xcnt 0x0
	s_or_b32 exec_lo, exec_lo, s22
	v_lshlrev_b32_e32 v58, 3, v56
	s_mov_b32 s22, 0
	s_wait_loadcnt_dscnt 0x0
	ds_store_b64 v16, v[6:7] offset:6336
	v_add_nc_u64_e32 v[0:1], v[0:1], v[58:59]
	s_delay_alu instid0(VALU_DEP_1) | instskip(NEXT) | instid1(VALU_DEP_1)
	v_lshl_add_u64 v[0:1], s[68:69], 3, v[0:1]
	v_add_nc_u64_e32 v[0:1], 0x108, v[0:1]
	s_delay_alu instid0(VALU_DEP_1)
	v_dual_cndmask_b32 v1, v1, v3, s15 :: v_dual_cndmask_b32 v0, v0, v2, s15
.LBB32_58:                              ;   in Loop: Header=BB32_4 Depth=1
	s_and_b32 vcc_lo, exec_lo, s22
	s_cbranch_vccz .LBB32_60
; %bb.59:                               ;   in Loop: Header=BB32_4 Depth=1
	v_add_nc_u64_e32 v[0:1], s[58:59], v[4:5]
	s_delay_alu instid0(VALU_DEP_1) | instskip(NEXT) | instid1(VALU_DEP_1)
	v_add_nc_u64_e32 v[6:7], s[58:59], v[0:1]
	v_add_nc_u64_e32 v[8:9], s[58:59], v[6:7]
	s_clause 0x3
	flat_load_b64 v[4:5], v[4:5] offset:256
	flat_load_b64 v[10:11], v[0:1] offset:256
	flat_load_b64 v[6:7], v[6:7] offset:256
	flat_load_b64 v[8:9], v[8:9] offset:256
	s_wait_xcnt 0x2
	v_mov_b64_e32 v[0:1], v[2:3]
	s_wait_loadcnt_dscnt 0x303
	ds_store_b64 v16, v[4:5]
	s_wait_loadcnt_dscnt 0x203
	ds_store_b64 v16, v[10:11] offset:2112
	s_wait_loadcnt_dscnt 0x103
	ds_store_b64 v16, v[6:7] offset:4224
	;; [unrolled: 2-line block ×3, first 2 shown]
.LBB32_60:                              ;   in Loop: Header=BB32_4 Depth=1
	s_mov_b32 s22, 0
	s_wait_dscnt 0x0
	s_barrier_signal -1
	s_barrier_wait -1
	s_wait_xcnt 0x0
	s_and_saveexec_b32 s23, s6
	s_delay_alu instid0(SALU_CYCLE_1)
	s_xor_b32 s23, exec_lo, s23
; %bb.61:                               ;   in Loop: Header=BB32_4 Depth=1
	s_and_b32 s22, s7, exec_lo
; %bb.62:                               ;   in Loop: Header=BB32_4 Depth=1
	s_or_saveexec_b32 s23, s23
	v_dual_mov_b32 v2, 0 :: v_dual_mov_b32 v3, v197
	s_xor_b32 exec_lo, exec_lo, s23
	s_cbranch_execz .LBB32_64
; %bb.63:                               ;   in Loop: Header=BB32_4 Depth=1
	ds_load_b64 v[4:5], v194
	v_mov_b32_e32 v3, v181
	s_or_b32 s22, s22, exec_lo
	s_wait_dscnt 0x0
	v_xor_b32_e32 v2, 0x80000000, v5
	ds_store_b32 v181, v4
.LBB32_64:                              ;   in Loop: Header=BB32_4 Depth=1
	s_or_b32 exec_lo, exec_lo, s23
	s_and_saveexec_b32 s23, s22
; %bb.65:                               ;   in Loop: Header=BB32_4 Depth=1
	ds_store_b32 v3, v2 offset:4
; %bb.66:                               ;   in Loop: Header=BB32_4 Depth=1
	s_or_b32 exec_lo, exec_lo, s23
	s_mov_b32 s22, 0
                                        ; implicit-def: $vgpr2
	s_and_saveexec_b32 s23, s8
	s_delay_alu instid0(SALU_CYCLE_1)
	s_xor_b32 s23, exec_lo, s23
	s_cbranch_execnz .LBB32_162
; %bb.67:                               ;   in Loop: Header=BB32_4 Depth=1
	s_or_saveexec_b32 s23, s23
	v_mov_b32_e32 v3, v198
	s_xor_b32 exec_lo, exec_lo, s23
	s_cbranch_execnz .LBB32_163
.LBB32_68:                              ;   in Loop: Header=BB32_4 Depth=1
	s_or_b32 exec_lo, exec_lo, s23
	s_and_saveexec_b32 s23, s22
.LBB32_69:                              ;   in Loop: Header=BB32_4 Depth=1
	ds_store_b32 v3, v2 offset:4
.LBB32_70:                              ;   in Loop: Header=BB32_4 Depth=1
	s_or_b32 exec_lo, exec_lo, s23
	s_mov_b32 s22, 0
	s_and_saveexec_b32 s23, s10
	s_delay_alu instid0(SALU_CYCLE_1)
	s_xor_b32 s23, exec_lo, s23
; %bb.71:                               ;   in Loop: Header=BB32_4 Depth=1
	s_and_b32 s22, s11, exec_lo
; %bb.72:                               ;   in Loop: Header=BB32_4 Depth=1
	s_or_saveexec_b32 s23, s23
	v_dual_mov_b32 v2, 0 :: v_dual_mov_b32 v3, v197
	s_xor_b32 exec_lo, exec_lo, s23
	s_cbranch_execz .LBB32_74
; %bb.73:                               ;   in Loop: Header=BB32_4 Depth=1
	ds_load_b64 v[4:5], v195 offset:264
	v_mov_b32_e32 v3, v199
	s_or_b32 s22, s22, exec_lo
	s_wait_dscnt 0x0
	v_xor_b32_e32 v2, 0x80000000, v5
	ds_store_b32 v199, v4
.LBB32_74:                              ;   in Loop: Header=BB32_4 Depth=1
	s_or_b32 exec_lo, exec_lo, s23
	s_and_saveexec_b32 s23, s22
; %bb.75:                               ;   in Loop: Header=BB32_4 Depth=1
	ds_store_b32 v3, v2 offset:4
; %bb.76:                               ;   in Loop: Header=BB32_4 Depth=1
	s_or_b32 exec_lo, exec_lo, s23
	s_mov_b32 s22, 0
	s_and_saveexec_b32 s23, s12
	s_delay_alu instid0(SALU_CYCLE_1)
	s_xor_b32 s23, exec_lo, s23
; %bb.77:                               ;   in Loop: Header=BB32_4 Depth=1
	s_and_b32 s22, s13, exec_lo
; %bb.78:                               ;   in Loop: Header=BB32_4 Depth=1
	s_or_saveexec_b32 s23, s23
	v_dual_mov_b32 v2, 0 :: v_dual_mov_b32 v3, v197
	s_xor_b32 exec_lo, exec_lo, s23
	s_cbranch_execz .LBB32_80
; %bb.79:                               ;   in Loop: Header=BB32_4 Depth=1
	ds_load_b64 v[4:5], v195 offset:528
	v_mov_b32_e32 v3, v200
	s_or_b32 s22, s22, exec_lo
	s_wait_dscnt 0x0
	v_xor_b32_e32 v2, 0x80000000, v5
	ds_store_b32 v200, v4
.LBB32_80:                              ;   in Loop: Header=BB32_4 Depth=1
	s_or_b32 exec_lo, exec_lo, s23
	s_and_saveexec_b32 s23, s22
; %bb.81:                               ;   in Loop: Header=BB32_4 Depth=1
	ds_store_b32 v3, v2 offset:4
; %bb.82:                               ;   in Loop: Header=BB32_4 Depth=1
	s_or_b32 exec_lo, exec_lo, s23
	s_wait_dscnt 0x0
	s_barrier_signal -1
	s_barrier_wait -1
	ds_load_b64 v[10:11], v194
	ds_load_b128 v[2:5], v183 offset:256
	ds_load_2addr_b64 v[6:9], v195 offset1:33
	ds_load_b128 v[18:21], v183 offset:272
	ds_load_b64 v[14:15], v195 offset:528
	s_wait_dscnt 0x0
	s_barrier_signal -1
	s_barrier_wait -1
	v_pk_mul_f32 v[22:23], v[2:3], v[10:11] op_sel:[1,1] op_sel_hi:[0,1]
	v_dual_mov_b32 v24, v5 :: v_dual_mov_b32 v25, v4
	v_pk_mul_f32 v[26:27], v[18:19], v[8:9] op_sel:[1,1] op_sel_hi:[0,1]
	v_dual_mov_b32 v30, v21 :: v_dual_mov_b32 v31, v20
	s_delay_alu instid0(VALU_DEP_4) | instskip(NEXT) | instid1(VALU_DEP_4)
	v_pk_fma_f32 v[28:29], v[2:3], v[10:11], v[22:23] op_sel_hi:[1,0,1]
	v_pk_mul_f32 v[24:25], v[24:25], v[6:7] op_sel:[0,1]
	v_pk_fma_f32 v[2:3], v[2:3], v[10:11], v[22:23] neg_lo:[0,0,1] neg_hi:[0,0,1]
	v_pk_fma_f32 v[22:23], v[18:19], v[8:9], v[26:27] op_sel_hi:[1,0,1]
	s_delay_alu instid0(VALU_DEP_3)
	v_pk_fma_f32 v[10:11], v[4:5], v[6:7], v[24:25] op_sel_hi:[1,0,1]
	v_mov_b32_e32 v3, v29
	v_pk_fma_f32 v[4:5], v[4:5], v[6:7], v[24:25] neg_lo:[0,0,1] neg_hi:[0,0,1]
	v_pk_mul_f32 v[28:29], v[30:31], v[14:15] op_sel:[0,1]
	v_pk_fma_f32 v[6:7], v[18:19], v[8:9], v[26:27] neg_lo:[0,0,1] neg_hi:[0,0,1]
	v_mov_b32_e32 v5, v11
	v_pk_add_f32 v[2:3], v[2:3], 0 op_sel_hi:[1,0]
	s_delay_alu instid0(VALU_DEP_4) | instskip(SKIP_1) | instid1(VALU_DEP_3)
	v_pk_fma_f32 v[8:9], v[20:21], v[14:15], v[28:29] op_sel_hi:[1,0,1]
	v_mov_b32_e32 v7, v23
	v_pk_add_f32 v[2:3], v[2:3], v[4:5]
	v_pk_fma_f32 v[4:5], v[20:21], v[14:15], v[28:29] neg_lo:[0,0,1] neg_hi:[0,0,1]
	s_delay_alu instid0(VALU_DEP_4) | instskip(NEXT) | instid1(VALU_DEP_3)
	v_mov_b32_e32 v5, v9
	v_pk_add_f32 v[2:3], v[2:3], v[6:7]
	s_delay_alu instid0(VALU_DEP_1)
	v_pk_add_f32 v[2:3], v[2:3], v[4:5]
	ds_store_b64 v184, v[2:3]
	s_wait_dscnt 0x0
	s_barrier_signal -1
	s_barrier_wait -1
	s_and_saveexec_b32 s22, s20
	s_cbranch_execz .LBB32_84
; %bb.83:                               ;   in Loop: Header=BB32_4 Depth=1
	ds_load_2addr_b64 v[2:5], v182 offset1:7
	ds_load_2addr_b64 v[6:9], v182 offset0:1 offset1:2
	ds_load_2addr_b64 v[18:21], v182 offset0:3 offset1:4
	;; [unrolled: 1-line block ×3, first 2 shown]
	s_wait_dscnt 0x2
	v_dual_add_f32 v2, v6, v2 :: v_dual_add_f32 v3, v7, v3
	s_delay_alu instid0(VALU_DEP_1) | instskip(SKIP_1) | instid1(VALU_DEP_1)
	v_dual_add_f32 v2, v8, v2 :: v_dual_add_f32 v3, v9, v3
	s_wait_dscnt 0x1
	v_dual_add_f32 v2, v2, v18 :: v_dual_add_f32 v3, v3, v19
	s_delay_alu instid0(VALU_DEP_1) | instskip(SKIP_1) | instid1(VALU_DEP_1)
	v_dual_add_f32 v2, v2, v20 :: v_dual_add_f32 v3, v3, v21
	s_wait_dscnt 0x0
	v_dual_add_f32 v2, v2, v22 :: v_dual_add_f32 v3, v3, v23
	s_delay_alu instid0(VALU_DEP_1) | instskip(NEXT) | instid1(VALU_DEP_1)
	v_pk_add_f32 v[2:3], v[2:3], v[24:25]
	v_pk_add_f32 v[104:105], v[2:3], v[4:5]
.LBB32_84:                              ;   in Loop: Header=BB32_4 Depth=1
	s_or_b32 exec_lo, exec_lo, s22
	v_add_nc_u64_e32 v[2:3], s[72:73], v[0:1]
	s_and_b32 vcc_lo, exec_lo, s81
	s_mov_b32 s22, -1
	s_barrier_signal -1
	s_barrier_wait -1
                                        ; implicit-def: $vgpr14_vgpr15
	s_cbranch_vccz .LBB32_94
; %bb.85:                               ;   in Loop: Header=BB32_4 Depth=1
	v_lshl_add_u64 v[4:5], v[100:101], 3, v[0:1]
	v_dual_mov_b32 v8, 0 :: v_dual_mov_b32 v6, 0
	v_mov_b32_e32 v7, 0
	s_delay_alu instid0(VALU_DEP_3) | instskip(NEXT) | instid1(VALU_DEP_1)
	v_lshl_add_u64 v[4:5], s[50:51], 3, v[4:5]
	v_add_nc_u64_e32 v[4:5], s[74:75], v[4:5]
	s_delay_alu instid0(VALU_DEP_1)
	v_dual_cndmask_b32 v5, v5, v3, s1 :: v_dual_cndmask_b32 v4, v4, v2, s1
	s_and_saveexec_b32 s22, s16
	s_cbranch_execz .LBB32_87
; %bb.86:                               ;   in Loop: Header=BB32_4 Depth=1
	flat_load_b64 v[6:7], v[4:5]
.LBB32_87:                              ;   in Loop: Header=BB32_4 Depth=1
	s_wait_xcnt 0x0
	s_or_b32 exec_lo, exec_lo, s22
	v_mov_b32_e32 v9, 0
	s_wait_loadcnt_dscnt 0x0
	ds_store_b64 v16, v[6:7]
	s_and_saveexec_b32 s22, s17
	s_cbranch_execz .LBB32_89
; %bb.88:                               ;   in Loop: Header=BB32_4 Depth=1
	v_add_nc_u64_e32 v[6:7], s[58:59], v[4:5]
	flat_load_b64 v[8:9], v[6:7]
.LBB32_89:                              ;   in Loop: Header=BB32_4 Depth=1
	s_wait_xcnt 0x0
	s_or_b32 exec_lo, exec_lo, s22
	v_dual_mov_b32 v6, 0 :: v_dual_mov_b32 v10, 0
	v_mov_b32_e32 v11, 0
	s_wait_loadcnt_dscnt 0x0
	ds_store_b64 v16, v[8:9] offset:2112
	s_and_saveexec_b32 s22, s18
	s_cbranch_execz .LBB32_91
; %bb.90:                               ;   in Loop: Header=BB32_4 Depth=1
	v_add_nc_u64_e32 v[8:9], s[60:61], v[4:5]
	flat_load_b64 v[10:11], v[8:9]
.LBB32_91:                              ;   in Loop: Header=BB32_4 Depth=1
	s_wait_xcnt 0x0
	s_or_b32 exec_lo, exec_lo, s22
	v_mov_b32_e32 v7, 0
	s_wait_loadcnt_dscnt 0x0
	ds_store_b64 v16, v[10:11] offset:4224
	s_and_saveexec_b32 s22, s19
	s_cbranch_execz .LBB32_93
; %bb.92:                               ;   in Loop: Header=BB32_4 Depth=1
	v_add_nc_u64_e32 v[6:7], s[62:63], v[4:5]
	flat_load_b64 v[6:7], v[6:7]
.LBB32_93:                              ;   in Loop: Header=BB32_4 Depth=1
	s_wait_xcnt 0x0
	s_or_b32 exec_lo, exec_lo, s22
	v_lshlrev_b32_e32 v58, 3, v56
	s_mov_b32 s22, 0
	s_wait_loadcnt_dscnt 0x0
	ds_store_b64 v16, v[6:7] offset:6336
	v_add_nc_u64_e32 v[4:5], v[4:5], v[58:59]
	s_delay_alu instid0(VALU_DEP_1) | instskip(NEXT) | instid1(VALU_DEP_1)
	v_lshl_add_u64 v[4:5], s[68:69], 3, v[4:5]
	v_add_nc_u64_e32 v[4:5], 8, v[4:5]
	s_delay_alu instid0(VALU_DEP_1)
	v_dual_cndmask_b32 v15, v5, v3, s1 :: v_dual_cndmask_b32 v14, v4, v2, s1
.LBB32_94:                              ;   in Loop: Header=BB32_4 Depth=1
	s_and_b32 vcc_lo, exec_lo, s22
	s_cbranch_vccz .LBB32_96
; %bb.95:                               ;   in Loop: Header=BB32_4 Depth=1
	v_add_nc_u64_e32 v[4:5], s[58:59], v[0:1]
	v_mov_b64_e32 v[14:15], v[2:3]
	s_delay_alu instid0(VALU_DEP_2) | instskip(NEXT) | instid1(VALU_DEP_1)
	v_add_nc_u64_e32 v[6:7], s[58:59], v[4:5]
	v_add_nc_u64_e32 v[8:9], s[58:59], v[6:7]
	s_clause 0x3
	flat_load_b64 v[0:1], v[0:1] offset:-256
	flat_load_b64 v[4:5], v[4:5] offset:-256
	;; [unrolled: 1-line block ×4, first 2 shown]
	s_wait_loadcnt_dscnt 0x303
	ds_store_b64 v16, v[0:1]
	s_wait_loadcnt_dscnt 0x203
	ds_store_b64 v16, v[4:5] offset:2112
	s_wait_loadcnt_dscnt 0x103
	ds_store_b64 v16, v[6:7] offset:4224
	;; [unrolled: 2-line block ×3, first 2 shown]
.LBB32_96:                              ;   in Loop: Header=BB32_4 Depth=1
	s_wait_xcnt 0x3
	v_dual_add_nc_u32 v0, v181, v185 :: v_dual_add_nc_u32 v1, v183, v185
	s_wait_dscnt 0x0
	s_barrier_signal -1
	s_barrier_wait -1
	s_wait_xcnt 0x2
	ds_load_b64 v[4:5], v0
	s_wait_xcnt 0x1
	ds_load_b64 v[6:7], v1
	ds_load_2addr_b64 v[20:23], v184 offset0:8 offset1:16
	ds_load_2addr_b64 v[24:27], v192 offset0:8 offset1:16
	ds_load_b64 v[28:29], v184 offset:192
	ds_load_b64 v[30:31], v192 offset:192
	ds_load_2addr_b64 v[0:3], v195 offset1:33
	ds_load_b64 v[18:19], v194
	ds_load_b64 v[16:17], v195 offset:528
	s_wait_dscnt 0x7
	s_wait_xcnt 0x0
	v_pk_mul_f32 v[8:9], v[4:5], v[6:7] op_sel:[1,1] op_sel_hi:[1,0]
	s_wait_dscnt 0x5
	v_pk_mul_f32 v[10:11], v[20:21], v[24:25] op_sel:[1,1] op_sel_hi:[1,0]
	v_pk_mul_f32 v[34:35], v[22:23], v[26:27] op_sel:[1,1] op_sel_hi:[1,0]
	s_delay_alu instid0(VALU_DEP_3) | instskip(SKIP_1) | instid1(VALU_DEP_4)
	v_pk_fma_f32 v[32:33], v[4:5], v[6:7], v[8:9] op_sel_hi:[0,1,1] neg_lo:[0,0,1] neg_hi:[0,0,1]
	v_pk_fma_f32 v[4:5], v[4:5], v[6:7], v[8:9]
	v_pk_fma_f32 v[36:37], v[20:21], v[24:25], v[10:11] op_sel_hi:[0,1,1] neg_lo:[0,0,1] neg_hi:[0,0,1]
	v_pk_fma_f32 v[20:21], v[20:21], v[24:25], v[10:11]
	v_pk_fma_f32 v[24:25], v[22:23], v[26:27], v[34:35] op_sel_hi:[0,1,1] neg_lo:[0,0,1] neg_hi:[0,0,1]
	v_mov_b32_e32 v5, v33
	s_wait_dscnt 0x3
	v_pk_mul_f32 v[32:33], v[28:29], v[30:31] op_sel:[1,1] op_sel_hi:[1,0]
	v_mov_b32_e32 v21, v37
	v_pk_fma_f32 v[22:23], v[22:23], v[26:27], v[34:35]
	v_mov_b32_e32 v23, v25
	v_pk_add_f32 v[36:37], v[4:5], 0 op_sel_hi:[1,0]
	ds_load_b128 v[8:11], v183 offset:256
	ds_load_b128 v[4:7], v183 offset:272
	v_pk_fma_f32 v[24:25], v[28:29], v[30:31], v[32:33] op_sel_hi:[0,1,1] neg_lo:[0,0,1] neg_hi:[0,0,1]
	v_pk_fma_f32 v[26:27], v[28:29], v[30:31], v[32:33]
	s_wait_dscnt 0x0
	v_pk_add_f32 v[20:21], v[36:37], v[20:21]
	s_barrier_signal -1
	v_mov_b32_e32 v27, v25
	s_barrier_wait -1
	s_delay_alu instid0(VALU_DEP_2) | instskip(NEXT) | instid1(VALU_DEP_1)
	v_pk_add_f32 v[20:21], v[20:21], v[22:23]
	v_pk_add_f32 v[20:21], v[20:21], v[26:27]
	ds_store_b64 v184, v[20:21]
	s_wait_dscnt 0x0
	s_barrier_signal -1
	s_barrier_wait -1
	s_and_saveexec_b32 s22, s20
	s_cbranch_execz .LBB32_98
; %bb.97:                               ;   in Loop: Header=BB32_4 Depth=1
	ds_load_2addr_b64 v[20:23], v182 offset1:1
	ds_load_2addr_b64 v[24:27], v182 offset0:2 offset1:3
	ds_load_2addr_b64 v[28:31], v182 offset0:4 offset1:5
	s_wait_dscnt 0x2
	v_pk_add_f32 v[20:21], v[104:105], v[20:21]
	s_delay_alu instid0(VALU_DEP_1) | instskip(SKIP_1) | instid1(VALU_DEP_1)
	v_pk_add_f32 v[20:21], v[20:21], v[22:23]
	s_wait_dscnt 0x1
	v_pk_add_f32 v[24:25], v[20:21], v[24:25]
	ds_load_2addr_b64 v[20:23], v182 offset0:6 offset1:7
	v_pk_add_f32 v[24:25], v[24:25], v[26:27]
	s_wait_dscnt 0x1
	s_delay_alu instid0(VALU_DEP_1) | instskip(NEXT) | instid1(VALU_DEP_1)
	v_pk_add_f32 v[24:25], v[24:25], v[28:29]
	v_pk_add_f32 v[24:25], v[24:25], v[30:31]
	s_wait_dscnt 0x0
	s_delay_alu instid0(VALU_DEP_1) | instskip(NEXT) | instid1(VALU_DEP_1)
	v_pk_add_f32 v[20:21], v[24:25], v[20:21]
	v_pk_add_f32 v[104:105], v[20:21], v[22:23]
.LBB32_98:                              ;   in Loop: Header=BB32_4 Depth=1
	s_or_b32 exec_lo, exec_lo, s22
	v_pk_mul_f32 v[20:21], v[8:9], v[18:19] op_sel:[1,1] op_sel_hi:[0,1]
	v_dual_mov_b32 v22, v11 :: v_dual_mov_b32 v23, v10
	v_pk_mul_f32 v[24:25], v[4:5], v[2:3] op_sel:[1,1] op_sel_hi:[0,1]
	v_dual_mov_b32 v28, v7 :: v_dual_mov_b32 v29, v6
	s_delay_alu instid0(VALU_DEP_4) | instskip(NEXT) | instid1(VALU_DEP_4)
	v_pk_fma_f32 v[26:27], v[8:9], v[18:19], v[20:21] op_sel_hi:[1,0,1]
	v_pk_mul_f32 v[22:23], v[22:23], v[0:1] op_sel:[0,1]
	v_pk_fma_f32 v[8:9], v[8:9], v[18:19], v[20:21] neg_lo:[0,0,1] neg_hi:[0,0,1]
	v_pk_fma_f32 v[20:21], v[4:5], v[2:3], v[24:25] op_sel_hi:[1,0,1]
	v_pk_fma_f32 v[2:3], v[4:5], v[2:3], v[24:25] neg_lo:[0,0,1] neg_hi:[0,0,1]
	s_delay_alu instid0(VALU_DEP_4)
	v_pk_fma_f32 v[18:19], v[10:11], v[0:1], v[22:23] op_sel_hi:[1,0,1]
	v_mov_b32_e32 v9, v27
	v_pk_fma_f32 v[0:1], v[10:11], v[0:1], v[22:23] neg_lo:[0,0,1] neg_hi:[0,0,1]
	v_pk_mul_f32 v[26:27], v[28:29], v[16:17] op_sel:[0,1]
	s_barrier_signal -1
	v_mov_b32_e32 v1, v19
	v_pk_add_f32 v[8:9], v[8:9], 0 op_sel_hi:[1,0]
	s_barrier_wait -1
	v_pk_fma_f32 v[4:5], v[6:7], v[16:17], v[26:27] op_sel_hi:[1,0,1]
	v_mov_b32_e32 v3, v21
	v_pk_fma_f32 v[6:7], v[6:7], v[16:17], v[26:27] neg_lo:[0,0,1] neg_hi:[0,0,1]
	v_pk_add_f32 v[0:1], v[8:9], v[0:1]
	s_delay_alu instid0(VALU_DEP_4) | instskip(NEXT) | instid1(VALU_DEP_2)
	v_mov_b32_e32 v7, v5
	v_pk_add_f32 v[0:1], v[0:1], v[2:3]
	s_delay_alu instid0(VALU_DEP_1)
	v_pk_add_f32 v[0:1], v[0:1], v[6:7]
	ds_store_b64 v184, v[0:1]
	s_wait_dscnt 0x0
	s_barrier_signal -1
	s_barrier_wait -1
	s_and_saveexec_b32 s22, s14
	s_cbranch_execz .LBB32_100
; %bb.99:                               ;   in Loop: Header=BB32_4 Depth=1
	ds_load_2addr_b64 v[0:3], v182 offset1:1
	ds_load_2addr_b64 v[4:7], v182 offset0:2 offset1:3
	ds_load_2addr_b64 v[8:11], v182 offset0:4 offset1:5
	s_wait_dscnt 0x2
	v_pk_add_f32 v[0:1], v[104:105], v[0:1]
	s_delay_alu instid0(VALU_DEP_1) | instskip(SKIP_1) | instid1(VALU_DEP_1)
	v_pk_add_f32 v[0:1], v[0:1], v[2:3]
	s_wait_dscnt 0x1
	v_pk_add_f32 v[4:5], v[0:1], v[4:5]
	ds_load_2addr_b64 v[0:3], v182 offset0:6 offset1:7
	v_pk_add_f32 v[4:5], v[4:5], v[6:7]
	s_wait_dscnt 0x1
	s_delay_alu instid0(VALU_DEP_1) | instskip(NEXT) | instid1(VALU_DEP_1)
	v_pk_add_f32 v[4:5], v[4:5], v[8:9]
	v_pk_add_f32 v[4:5], v[4:5], v[10:11]
	s_wait_dscnt 0x0
	s_delay_alu instid0(VALU_DEP_1) | instskip(NEXT) | instid1(VALU_DEP_1)
	v_pk_add_f32 v[0:1], v[4:5], v[0:1]
	v_pk_add_f32 v[104:105], v[0:1], v[2:3]
.LBB32_100:                             ;   in Loop: Header=BB32_4 Depth=1
	s_or_b32 exec_lo, exec_lo, s22
	s_mul_u64 s[22:23], s[52:53], s[34:35]
	s_and_not1_b32 vcc_lo, exec_lo, s45
	s_lshl_b64 s[22:23], s[22:23], 3
	s_delay_alu instid0(SALU_CYCLE_1)
	s_add_nc_u64 s[22:23], s[54:55], s[22:23]
	s_barrier_signal -1
	s_barrier_wait -1
	s_cbranch_vccnz .LBB32_158
; %bb.101:                              ;   in Loop: Header=BB32_4 Depth=1
	v_add_nc_u64_e32 v[106:107], v[14:15], v[66:67]
	v_add_nc_u64_e32 v[108:109], v[14:15], v[68:69]
	;; [unrolled: 1-line block ×16, first 2 shown]
	v_lshl_add_u64 v[138:139], s[66:67], 3, v[12:13]
	s_mov_b32 s78, s84
	s_mov_b32 s85, s48
	s_delay_alu instid0(SALU_CYCLE_1)
	s_cmp_eq_u32 s49, s85
	s_cselect_b32 s86, s80, 0
	s_and_saveexec_b32 s87, s0
	s_cbranch_execz .LBB32_106
.LBB32_102:                             ;   in Loop: Header=BB32_4 Depth=1
	v_cmp_le_i32_e32 vcc_lo, s86, v178
	s_cmp_lg_u32 s86, 0
	s_cselect_b32 s79, -1, 0
	s_delay_alu instid0(SALU_CYCLE_1) | instskip(NEXT) | instid1(SALU_CYCLE_1)
	s_and_b32 s79, s79, vcc_lo
	s_and_saveexec_b32 s88, s79
	s_delay_alu instid0(SALU_CYCLE_1)
	s_xor_b32 s79, exec_lo, s88
; %bb.103:                              ;   in Loop: Header=BB32_4 Depth=1
	ds_store_b64 v201, v[102:103]
; %bb.104:                              ;   in Loop: Header=BB32_4 Depth=1
	s_and_not1_saveexec_b32 s79, s79
	s_cbranch_execz .LBB32_106
; %bb.105:                              ;   in Loop: Header=BB32_4 Depth=1
	s_ashr_i32 s79, s78, 31
	s_delay_alu instid0(SALU_CYCLE_1) | instskip(NEXT) | instid1(SALU_CYCLE_1)
	s_mul_u64 s[88:89], s[46:47], s[78:79]
	v_lshl_add_u64 v[0:1], s[88:89], 3, v[138:139]
	flat_load_b64 v[0:1], v[0:1]
	s_wait_loadcnt_dscnt 0x0
	ds_store_b64 v201, v[0:1]
.LBB32_106:                             ;   Parent Loop BB32_4 Depth=1
                                        ; =>  This Inner Loop Header: Depth=2
	s_wait_xcnt 0x0
	s_or_b32 exec_lo, exec_lo, s87
	s_cmp_eq_u32 s86, 0
	v_add_nc_u64_e32 v[0:1], v[106:107], v[64:65]
	s_cselect_b32 s79, -1, 0
	s_cmp_lg_u32 s86, 0
	s_wait_dscnt 0x0
	s_cselect_b32 s87, -1, 0
	s_barrier_signal -1
	s_and_b32 vcc_lo, exec_lo, s87
	s_barrier_wait -1
	s_cbranch_vccz .LBB32_114
; %bb.107:                              ;   in Loop: Header=BB32_106 Depth=2
	v_mov_b64_e32 v[140:141], 0
	v_mov_b64_e32 v[142:143], 0
	s_mov_b32 s88, exec_lo
	v_cmpx_gt_i32_e64 s86, v186
	s_cbranch_execz .LBB32_109
; %bb.108:                              ;   in Loop: Header=BB32_106 Depth=2
	flat_load_b64 v[142:143], v[0:1]
.LBB32_109:                             ;   in Loop: Header=BB32_106 Depth=2
	s_wait_xcnt 0x0
	s_or_b32 exec_lo, exec_lo, s88
	s_delay_alu instid0(SALU_CYCLE_1)
	s_mov_b32 s88, exec_lo
	v_cmpx_gt_i32_e64 s86, v203
	s_cbranch_execz .LBB32_111
; %bb.110:                              ;   in Loop: Header=BB32_106 Depth=2
	v_add_nc_u64_e32 v[2:3], v[110:111], v[64:65]
	flat_load_b64 v[140:141], v[2:3]
.LBB32_111:                             ;   in Loop: Header=BB32_106 Depth=2
	s_wait_xcnt 0x0
	s_or_b32 exec_lo, exec_lo, s88
	v_mov_b64_e32 v[144:145], 0
	s_mov_b32 s88, exec_lo
	v_cmpx_gt_i32_e64 s86, v204
	s_cbranch_execz .LBB32_113
; %bb.112:                              ;   in Loop: Header=BB32_106 Depth=2
	v_add_nc_u64_e32 v[2:3], v[108:109], v[64:65]
	flat_load_b64 v[144:145], v[2:3]
.LBB32_113:                             ;   in Loop: Header=BB32_106 Depth=2
	s_wait_xcnt 0x0
	s_or_b32 exec_lo, exec_lo, s88
	v_cmp_gt_i32_e64 s88, s86, v205
	s_branch .LBB32_116
.LBB32_114:                             ;   in Loop: Header=BB32_106 Depth=2
	s_mov_b32 s88, 0
                                        ; implicit-def: $vgpr144_vgpr145
                                        ; implicit-def: $vgpr140_vgpr141
                                        ; implicit-def: $vgpr142_vgpr143
	s_cbranch_execz .LBB32_116
; %bb.115:                              ;   in Loop: Header=BB32_106 Depth=2
	v_add_nc_u64_e32 v[2:3], v[110:111], v[64:65]
	v_add_nc_u64_e32 v[4:5], v[108:109], v[64:65]
	s_or_b32 s88, s88, exec_lo
	s_wait_loadcnt_dscnt 0x0
	flat_load_b64 v[142:143], v[0:1]
	flat_load_b64 v[140:141], v[2:3]
	;; [unrolled: 1-line block ×3, first 2 shown]
.LBB32_116:                             ;   in Loop: Header=BB32_106 Depth=2
	v_dual_mov_b32 v146, 0 :: v_dual_mov_b32 v148, 0
	s_wait_xcnt 0x0
	s_delay_alu instid0(VALU_DEP_2)
	s_and_saveexec_b32 s89, s88
	s_cbranch_execz .LBB32_118
; %bb.117:                              ;   in Loop: Header=BB32_106 Depth=2
	v_add_nc_u64_e32 v[0:1], v[112:113], v[64:65]
	flat_load_b64 v[146:147], v[0:1]
	s_wait_loadcnt_dscnt 0x0
	v_mov_b32_e32 v148, v147
.LBB32_118:                             ;   in Loop: Header=BB32_106 Depth=2
	s_wait_xcnt 0x0
	s_or_b32 exec_lo, exec_lo, s89
	ds_load_b64 v[4:5], v196
	ds_load_b128 v[0:3], v202
	v_cndmask_b32_e64 v40, 0, 1, s87
	s_and_not1_b32 vcc_lo, exec_lo, s87
	s_wait_loadcnt_dscnt 0x1
	v_pk_mul_f32 v[6:7], v[142:143], v[4:5] op_sel:[1,0]
	v_pk_mul_f32 v[8:9], v[140:141], v[4:5] op_sel:[1,0]
	;; [unrolled: 1-line block ×3, first 2 shown]
	v_pk_mul_f32 v[12:13], v[148:149], v[4:5] op_sel_hi:[0,1]
	s_delay_alu instid0(VALU_DEP_4)
	v_pk_fma_f32 v[14:15], v[142:143], v[4:5], v[6:7] op_sel:[0,0,1] op_sel_hi:[1,1,0]
	v_pk_fma_f32 v[6:7], v[142:143], v[4:5], v[6:7] op_sel:[0,0,1] op_sel_hi:[0,1,0] neg_lo:[0,0,1] neg_hi:[0,0,1]
	v_pk_fma_f32 v[16:17], v[140:141], v[4:5], v[8:9] op_sel:[0,0,1] op_sel_hi:[1,1,0]
	v_pk_fma_f32 v[8:9], v[140:141], v[4:5], v[8:9] op_sel:[0,0,1] op_sel_hi:[0,1,0] neg_lo:[0,0,1] neg_hi:[0,0,1]
	;; [unrolled: 2-line block ×3, first 2 shown]
	v_pk_fma_f32 v[20:21], v[146:147], v[4:5], v[12:13] op_sel:[0,0,1] op_sel_hi:[0,1,0] neg_lo:[0,0,1] neg_hi:[0,0,1]
	v_pk_fma_f32 v[12:13], v[146:147], v[4:5], v[12:13] op_sel:[0,0,1] op_sel_hi:[1,1,0]
	v_dual_mov_b32 v15, v7 :: v_dual_mov_b32 v17, v9
	s_delay_alu instid0(VALU_DEP_3)
	v_dual_mov_b32 v19, v11 :: v_dual_mov_b32 v13, v21
	ds_load_b128 v[4:7], v202 offset:16
	ds_store_2addr_b64 v190, v[14:15], v[16:17] offset1:67
	ds_store_2addr_b64 v190, v[18:19], v[12:13] offset0:134 offset1:201
	s_wait_dscnt 0x0
	s_barrier_signal -1
	s_barrier_wait -1
	ds_load_2addr_b64 v[20:23], v187 offset1:1
	ds_load_2addr_b64 v[16:19], v187 offset0:2 offset1:3
	v_add_nc_u64_e32 v[8:9], v[114:115], v[64:65]
	s_wait_dscnt 0x0
	s_barrier_signal -1
	s_barrier_wait -1
	s_cbranch_vccnz .LBB32_126
; %bb.119:                              ;   in Loop: Header=BB32_106 Depth=2
	v_mov_b64_e32 v[150:151], 0
	v_mov_b64_e32 v[152:153], 0
	s_mov_b32 s87, exec_lo
	v_cmpx_gt_i32_e64 s86, v206
	s_cbranch_execz .LBB32_121
; %bb.120:                              ;   in Loop: Header=BB32_106 Depth=2
	flat_load_b64 v[152:153], v[8:9]
.LBB32_121:                             ;   in Loop: Header=BB32_106 Depth=2
	s_wait_xcnt 0x0
	s_or_b32 exec_lo, exec_lo, s87
	s_delay_alu instid0(SALU_CYCLE_1)
	s_mov_b32 s87, exec_lo
	v_cmpx_gt_i32_e64 s86, v207
	s_cbranch_execz .LBB32_123
; %bb.122:                              ;   in Loop: Header=BB32_106 Depth=2
	v_add_nc_u64_e32 v[10:11], v[118:119], v[64:65]
	flat_load_b64 v[150:151], v[10:11]
.LBB32_123:                             ;   in Loop: Header=BB32_106 Depth=2
	s_wait_xcnt 0x0
	s_or_b32 exec_lo, exec_lo, s87
	v_mov_b64_e32 v[154:155], 0
	s_mov_b32 s87, exec_lo
	v_cmpx_gt_i32_e64 s86, v208
	s_cbranch_execz .LBB32_125
; %bb.124:                              ;   in Loop: Header=BB32_106 Depth=2
	v_add_nc_u64_e32 v[10:11], v[116:117], v[64:65]
	flat_load_b64 v[154:155], v[10:11]
.LBB32_125:                             ;   in Loop: Header=BB32_106 Depth=2
	s_wait_xcnt 0x0
	s_or_b32 exec_lo, exec_lo, s87
	v_cmp_gt_i32_e64 s87, s86, v209
	s_branch .LBB32_128
.LBB32_126:                             ;   in Loop: Header=BB32_106 Depth=2
	s_mov_b32 s87, 0
                                        ; implicit-def: $vgpr154_vgpr155
                                        ; implicit-def: $vgpr150_vgpr151
                                        ; implicit-def: $vgpr152_vgpr153
	s_cbranch_execz .LBB32_128
; %bb.127:                              ;   in Loop: Header=BB32_106 Depth=2
	v_add_nc_u64_e32 v[10:11], v[118:119], v[64:65]
	v_add_nc_u64_e32 v[12:13], v[116:117], v[64:65]
	s_or_b32 s87, s87, exec_lo
	s_wait_loadcnt_dscnt 0x0
	flat_load_b64 v[152:153], v[8:9]
	flat_load_b64 v[150:151], v[10:11]
	;; [unrolled: 1-line block ×3, first 2 shown]
.LBB32_128:                             ;   in Loop: Header=BB32_106 Depth=2
	v_dual_mov_b32 v156, 0 :: v_dual_mov_b32 v58, 0
	s_wait_xcnt 0x0
	s_delay_alu instid0(VALU_DEP_2)
	s_and_saveexec_b32 s88, s87
	s_cbranch_execz .LBB32_130
; %bb.129:                              ;   in Loop: Header=BB32_106 Depth=2
	v_add_nc_u64_e32 v[8:9], v[120:121], v[64:65]
	flat_load_b64 v[156:157], v[8:9]
	s_wait_loadcnt_dscnt 0x0
	v_mov_b32_e32 v58, v157
.LBB32_130:                             ;   in Loop: Header=BB32_106 Depth=2
	s_wait_xcnt 0x0
	s_or_b32 exec_lo, exec_lo, s88
	ds_load_b64 v[8:9], v196
	v_cmp_ne_u32_e32 vcc_lo, 1, v40
	s_and_b32 vcc_lo, exec_lo, vcc_lo
	s_wait_loadcnt_dscnt 0x0
	v_pk_mul_f32 v[10:11], v[152:153], v[8:9] op_sel:[1,1] op_sel_hi:[1,0]
	v_pk_mul_f32 v[12:13], v[150:151], v[8:9] op_sel:[1,1] op_sel_hi:[1,0]
	;; [unrolled: 1-line block ×4, first 2 shown]
	s_delay_alu instid0(VALU_DEP_4)
	v_pk_fma_f32 v[26:27], v[152:153], v[8:9], v[10:11]
	v_pk_fma_f32 v[10:11], v[152:153], v[8:9], v[10:11] op_sel_hi:[0,1,1] neg_lo:[0,0,1] neg_hi:[0,0,1]
	v_pk_fma_f32 v[28:29], v[150:151], v[8:9], v[12:13]
	v_pk_fma_f32 v[12:13], v[150:151], v[8:9], v[12:13] op_sel_hi:[0,1,1] neg_lo:[0,0,1] neg_hi:[0,0,1]
	;; [unrolled: 2-line block ×3, first 2 shown]
	v_pk_fma_f32 v[32:33], v[156:157], v[8:9], v[24:25] op_sel_hi:[0,1,1] neg_lo:[0,0,1] neg_hi:[0,0,1]
	v_pk_fma_f32 v[24:25], v[156:157], v[8:9], v[24:25]
	v_dual_mov_b32 v27, v11 :: v_dual_mov_b32 v29, v13
	s_delay_alu instid0(VALU_DEP_3)
	v_dual_mov_b32 v31, v15 :: v_dual_mov_b32 v25, v33
	ds_load_b128 v[12:15], v202 offset:128
	ds_load_b128 v[8:11], v202 offset:144
	ds_store_2addr_b64 v190, v[26:27], v[28:29] offset1:67
	ds_store_2addr_b64 v190, v[30:31], v[24:25] offset0:134 offset1:201
	s_wait_dscnt 0x0
	s_barrier_signal -1
	s_barrier_wait -1
	ds_load_2addr_b64 v[36:39], v187 offset1:1
	ds_load_2addr_b64 v[32:35], v187 offset0:2 offset1:3
	v_add_nc_u64_e32 v[24:25], v[122:123], v[64:65]
	s_wait_dscnt 0x0
	s_barrier_signal -1
	s_barrier_wait -1
	s_cbranch_vccnz .LBB32_138
; %bb.131:                              ;   in Loop: Header=BB32_106 Depth=2
	v_mov_b64_e32 v[158:159], 0
	v_mov_b64_e32 v[160:161], 0
	s_mov_b32 s87, exec_lo
	v_cmpx_gt_i32_e64 s86, v210
	s_cbranch_execz .LBB32_133
; %bb.132:                              ;   in Loop: Header=BB32_106 Depth=2
	flat_load_b64 v[160:161], v[24:25]
.LBB32_133:                             ;   in Loop: Header=BB32_106 Depth=2
	s_wait_xcnt 0x0
	s_or_b32 exec_lo, exec_lo, s87
	s_delay_alu instid0(SALU_CYCLE_1)
	s_mov_b32 s87, exec_lo
	v_cmpx_gt_i32_e64 s86, v211
	s_cbranch_execz .LBB32_135
; %bb.134:                              ;   in Loop: Header=BB32_106 Depth=2
	v_add_nc_u64_e32 v[26:27], v[126:127], v[64:65]
	flat_load_b64 v[158:159], v[26:27]
.LBB32_135:                             ;   in Loop: Header=BB32_106 Depth=2
	s_wait_xcnt 0x0
	s_or_b32 exec_lo, exec_lo, s87
	v_mov_b64_e32 v[162:163], 0
	s_mov_b32 s87, exec_lo
	v_cmpx_gt_i32_e64 s86, v212
	s_cbranch_execz .LBB32_137
; %bb.136:                              ;   in Loop: Header=BB32_106 Depth=2
	v_add_nc_u64_e32 v[26:27], v[124:125], v[64:65]
	flat_load_b64 v[162:163], v[26:27]
.LBB32_137:                             ;   in Loop: Header=BB32_106 Depth=2
	s_wait_xcnt 0x0
	s_or_b32 exec_lo, exec_lo, s87
	v_cmp_gt_i32_e64 s87, s86, v213
	s_branch .LBB32_140
.LBB32_138:                             ;   in Loop: Header=BB32_106 Depth=2
	s_mov_b32 s87, 0
                                        ; implicit-def: $vgpr162_vgpr163
                                        ; implicit-def: $vgpr158_vgpr159
                                        ; implicit-def: $vgpr160_vgpr161
	s_cbranch_execz .LBB32_140
; %bb.139:                              ;   in Loop: Header=BB32_106 Depth=2
	v_add_nc_u64_e32 v[26:27], v[126:127], v[64:65]
	v_add_nc_u64_e32 v[28:29], v[124:125], v[64:65]
	s_or_b32 s87, s87, exec_lo
	s_wait_loadcnt_dscnt 0x0
	flat_load_b64 v[160:161], v[24:25]
	flat_load_b64 v[158:159], v[26:27]
	;; [unrolled: 1-line block ×3, first 2 shown]
.LBB32_140:                             ;   in Loop: Header=BB32_106 Depth=2
	v_dual_mov_b32 v164, 0 :: v_dual_mov_b32 v166, 0
	s_wait_xcnt 0x0
	s_delay_alu instid0(VALU_DEP_2)
	s_and_saveexec_b32 s88, s87
	s_cbranch_execz .LBB32_142
; %bb.141:                              ;   in Loop: Header=BB32_106 Depth=2
	v_add_nc_u64_e32 v[24:25], v[128:129], v[64:65]
	flat_load_b64 v[164:165], v[24:25]
	s_wait_loadcnt_dscnt 0x0
	v_mov_b32_e32 v166, v165
.LBB32_142:                             ;   in Loop: Header=BB32_106 Depth=2
	s_wait_xcnt 0x0
	s_or_b32 exec_lo, exec_lo, s88
	ds_load_b64 v[24:25], v196
	v_cmp_ne_u32_e32 vcc_lo, 1, v40
	v_add_nc_u64_e32 v[40:41], v[130:131], v[64:65]
	s_and_b32 vcc_lo, exec_lo, vcc_lo
	s_wait_loadcnt_dscnt 0x0
	v_pk_mul_f32 v[26:27], v[160:161], v[24:25] op_sel:[1,0]
	v_pk_mul_f32 v[28:29], v[158:159], v[24:25] op_sel:[1,0]
	;; [unrolled: 1-line block ×3, first 2 shown]
	v_pk_mul_f32 v[42:43], v[166:167], v[24:25] op_sel_hi:[0,1]
	s_delay_alu instid0(VALU_DEP_4)
	v_pk_fma_f32 v[44:45], v[160:161], v[24:25], v[26:27] op_sel:[0,0,1] op_sel_hi:[1,1,0]
	v_pk_fma_f32 v[26:27], v[160:161], v[24:25], v[26:27] op_sel:[0,0,1] op_sel_hi:[0,1,0] neg_lo:[0,0,1] neg_hi:[0,0,1]
	v_pk_fma_f32 v[46:47], v[158:159], v[24:25], v[28:29] op_sel:[0,0,1] op_sel_hi:[1,1,0]
	v_pk_fma_f32 v[28:29], v[158:159], v[24:25], v[28:29] op_sel:[0,0,1] op_sel_hi:[0,1,0] neg_lo:[0,0,1] neg_hi:[0,0,1]
	;; [unrolled: 2-line block ×3, first 2 shown]
	v_pk_fma_f32 v[50:51], v[164:165], v[24:25], v[42:43] op_sel:[0,0,1] op_sel_hi:[0,1,0] neg_lo:[0,0,1] neg_hi:[0,0,1]
	v_pk_fma_f32 v[42:43], v[164:165], v[24:25], v[42:43] op_sel:[0,0,1] op_sel_hi:[1,1,0]
	v_dual_mov_b32 v45, v27 :: v_dual_mov_b32 v47, v29
	s_delay_alu instid0(VALU_DEP_3)
	v_dual_mov_b32 v49, v31 :: v_dual_mov_b32 v43, v51
	ds_load_b128 v[28:31], v202 offset:256
	ds_load_b128 v[24:27], v202 offset:272
	ds_store_2addr_b64 v190, v[44:45], v[46:47] offset1:67
	ds_store_2addr_b64 v190, v[48:49], v[42:43] offset0:134 offset1:201
	s_wait_dscnt 0x0
	s_barrier_signal -1
	s_barrier_wait -1
	ds_load_2addr_b64 v[52:55], v187 offset1:1
	ds_load_2addr_b64 v[48:51], v187 offset0:2 offset1:3
	s_wait_dscnt 0x0
	s_barrier_signal -1
	s_barrier_wait -1
	s_cbranch_vccnz .LBB32_150
; %bb.143:                              ;   in Loop: Header=BB32_106 Depth=2
	v_mov_b64_e32 v[168:169], 0
	v_mov_b64_e32 v[170:171], 0
	s_mov_b32 s87, exec_lo
	v_cmpx_gt_i32_e64 s86, v214
	s_cbranch_execz .LBB32_145
; %bb.144:                              ;   in Loop: Header=BB32_106 Depth=2
	flat_load_b64 v[170:171], v[40:41]
.LBB32_145:                             ;   in Loop: Header=BB32_106 Depth=2
	s_wait_xcnt 0x0
	s_or_b32 exec_lo, exec_lo, s87
	s_delay_alu instid0(SALU_CYCLE_1)
	s_mov_b32 s87, exec_lo
	v_cmpx_gt_i32_e64 s86, v215
	s_cbranch_execz .LBB32_147
; %bb.146:                              ;   in Loop: Header=BB32_106 Depth=2
	v_add_nc_u64_e32 v[42:43], v[134:135], v[64:65]
	flat_load_b64 v[168:169], v[42:43]
.LBB32_147:                             ;   in Loop: Header=BB32_106 Depth=2
	s_wait_xcnt 0x0
	s_or_b32 exec_lo, exec_lo, s87
	v_mov_b64_e32 v[172:173], 0
	s_mov_b32 s87, exec_lo
	v_cmpx_gt_i32_e64 s86, v57
	s_cbranch_execz .LBB32_149
; %bb.148:                              ;   in Loop: Header=BB32_106 Depth=2
	v_add_nc_u64_e32 v[42:43], v[132:133], v[64:65]
	flat_load_b64 v[172:173], v[42:43]
.LBB32_149:                             ;   in Loop: Header=BB32_106 Depth=2
	s_wait_xcnt 0x0
	s_or_b32 exec_lo, exec_lo, s87
	v_cmp_gt_i32_e64 s87, s86, v216
	s_branch .LBB32_152
.LBB32_150:                             ;   in Loop: Header=BB32_106 Depth=2
	s_mov_b32 s87, 0
                                        ; implicit-def: $vgpr172_vgpr173
                                        ; implicit-def: $vgpr168_vgpr169
                                        ; implicit-def: $vgpr170_vgpr171
	s_cbranch_execz .LBB32_152
; %bb.151:                              ;   in Loop: Header=BB32_106 Depth=2
	v_add_nc_u64_e32 v[42:43], v[134:135], v[64:65]
	v_add_nc_u64_e32 v[44:45], v[132:133], v[64:65]
	s_or_b32 s87, s87, exec_lo
	s_wait_loadcnt_dscnt 0x0
	flat_load_b64 v[170:171], v[40:41]
	flat_load_b64 v[168:169], v[42:43]
	flat_load_b64 v[172:173], v[44:45]
.LBB32_152:                             ;   in Loop: Header=BB32_106 Depth=2
	v_dual_mov_b32 v174, 0 :: v_dual_mov_b32 v176, 0
	s_wait_xcnt 0x0
	s_delay_alu instid0(VALU_DEP_2)
	s_and_saveexec_b32 s88, s87
	s_cbranch_execz .LBB32_154
; %bb.153:                              ;   in Loop: Header=BB32_106 Depth=2
	v_add_nc_u64_e32 v[40:41], v[136:137], v[64:65]
	flat_load_b64 v[174:175], v[40:41]
	s_wait_loadcnt_dscnt 0x0
	v_mov_b32_e32 v176, v175
.LBB32_154:                             ;   in Loop: Header=BB32_106 Depth=2
	s_wait_xcnt 0x0
	s_or_b32 exec_lo, exec_lo, s88
	ds_load_b64 v[44:45], v196
	ds_load_b128 v[40:43], v202 offset:384
	v_pk_add_f32 v[36:37], v[36:37], 0 op_sel_hi:[1,0]
	v_pk_add_f32 v[20:21], v[20:21], 0 op_sel_hi:[1,0]
	;; [unrolled: 1-line block ×3, first 2 shown]
	v_cmp_gt_i32_e32 vcc_lo, s86, v178
	s_delay_alu instid0(VALU_DEP_4) | instskip(NEXT) | instid1(VALU_DEP_4)
	v_pk_add_f32 v[36:37], v[36:37], v[38:39]
	v_pk_add_f32 v[20:21], v[20:21], v[22:23]
	s_delay_alu instid0(VALU_DEP_4) | instskip(SKIP_1) | instid1(VALU_DEP_3)
	v_pk_add_f32 v[52:53], v[52:53], v[54:55]
	s_or_b32 s79, s79, vcc_lo
	v_pk_add_f32 v[32:33], v[36:37], v[32:33]
	s_delay_alu instid0(VALU_DEP_3) | instskip(NEXT) | instid1(VALU_DEP_3)
	v_pk_add_f32 v[16:17], v[20:21], v[16:17]
	v_pk_add_f32 v[38:39], v[52:53], v[48:49]
	s_and_b32 s86, s21, s79
	s_delay_alu instid0(VALU_DEP_3) | instskip(NEXT) | instid1(VALU_DEP_3)
	v_pk_add_f32 v[32:33], v[32:33], v[34:35]
	v_pk_add_f32 v[16:17], v[16:17], v[18:19]
	s_wait_loadcnt_dscnt 0x1
	v_pk_mul_f32 v[46:47], v[170:171], v[44:45] op_sel:[1,0]
	v_pk_mul_f32 v[218:219], v[168:169], v[44:45] op_sel:[1,0]
	;; [unrolled: 1-line block ×3, first 2 shown]
	v_pk_mul_f32 v[222:223], v[176:177], v[44:45] op_sel_hi:[0,1]
	s_delay_alu instid0(VALU_DEP_4)
	v_pk_fma_f32 v[224:225], v[170:171], v[44:45], v[46:47] op_sel:[0,0,1] op_sel_hi:[1,1,0]
	v_pk_fma_f32 v[46:47], v[170:171], v[44:45], v[46:47] op_sel:[0,0,1] op_sel_hi:[0,1,0] neg_lo:[0,0,1] neg_hi:[0,0,1]
	v_pk_fma_f32 v[226:227], v[168:169], v[44:45], v[218:219] op_sel:[0,0,1] op_sel_hi:[1,1,0]
	v_pk_fma_f32 v[218:219], v[168:169], v[44:45], v[218:219] op_sel:[0,0,1] op_sel_hi:[0,1,0] neg_lo:[0,0,1] neg_hi:[0,0,1]
	v_pk_fma_f32 v[228:229], v[172:173], v[44:45], v[220:221] op_sel:[0,0,1] op_sel_hi:[1,1,0]
	v_pk_fma_f32 v[220:221], v[172:173], v[44:45], v[220:221] op_sel:[0,0,1] op_sel_hi:[0,1,0] neg_lo:[0,0,1] neg_hi:[0,0,1]
	v_pk_fma_f32 v[230:231], v[174:175], v[44:45], v[222:223] op_sel:[0,0,1] op_sel_hi:[0,1,0] neg_lo:[0,0,1] neg_hi:[0,0,1]
	v_pk_fma_f32 v[222:223], v[174:175], v[44:45], v[222:223] op_sel:[0,0,1] op_sel_hi:[1,1,0]
	v_dual_mov_b32 v225, v47 :: v_dual_mov_b32 v227, v219
	s_delay_alu instid0(VALU_DEP_3)
	v_dual_mov_b32 v229, v221 :: v_dual_mov_b32 v223, v231
	ds_load_b128 v[44:47], v202 offset:400
	ds_store_2addr_b64 v190, v[224:225], v[226:227] offset1:67
	ds_store_2addr_b64 v190, v[228:229], v[222:223] offset0:134 offset1:201
	s_wait_dscnt 0x0
	s_barrier_signal -1
	s_barrier_wait -1
	ds_load_2addr_b64 v[218:221], v187 offset1:1
	ds_load_2addr_b64 v[222:225], v187 offset0:2 offset1:3
	s_wait_dscnt 0x0
	s_barrier_signal -1
	s_barrier_wait -1
	v_pk_add_f32 v[218:219], v[218:219], 0 op_sel_hi:[1,0]
	s_delay_alu instid0(VALU_DEP_1) | instskip(NEXT) | instid1(VALU_DEP_1)
	v_pk_add_f32 v[22:23], v[218:219], v[220:221]
	v_pk_add_f32 v[20:21], v[22:23], v[222:223]
	;; [unrolled: 1-line block ×3, first 2 shown]
	s_delay_alu instid0(VALU_DEP_2)
	v_pk_add_f32 v[18:19], v[20:21], v[224:225]
	ds_store_2addr_b64 v193, v[16:17], v[32:33] offset1:16
	ds_store_2addr_b64 v193, v[22:23], v[18:19] offset0:32 offset1:48
	s_wait_dscnt 0x0
	s_barrier_signal -1
	s_barrier_wait -1
	s_and_saveexec_b32 s79, s86
	s_cbranch_execz .LBB32_156
; %bb.155:                              ;   in Loop: Header=BB32_106 Depth=2
	ds_load_b64 v[36:37], v188
	ds_load_2addr_b64 v[16:19], v188 offset0:1 offset1:2
	ds_load_2addr_b64 v[20:23], v188 offset0:3 offset1:4
	;; [unrolled: 1-line block ×3, first 2 shown]
	s_wait_dscnt 0x2
	v_dual_add_f32 v16, v16, v36 :: v_dual_add_f32 v17, v17, v37
	s_delay_alu instid0(VALU_DEP_1) | instskip(SKIP_3) | instid1(VALU_DEP_1)
	v_dual_add_f32 v36, v18, v16 :: v_dual_add_f32 v37, v19, v17
	ds_load_2addr_b64 v[16:19], v188 offset0:7 offset1:8
	s_wait_dscnt 0x2
	v_dual_add_f32 v20, v36, v20 :: v_dual_add_f32 v21, v37, v21
	v_dual_add_f32 v36, v20, v22 :: v_dual_add_f32 v37, v21, v23
	ds_load_2addr_b64 v[20:23], v188 offset0:9 offset1:10
	s_wait_dscnt 0x2
	v_pk_add_f32 v[32:33], v[36:37], v[32:33]
	s_delay_alu instid0(VALU_DEP_1) | instskip(SKIP_3) | instid1(VALU_DEP_1)
	v_pk_add_f32 v[36:37], v[32:33], v[34:35]
	ds_load_2addr_b64 v[32:35], v188 offset0:11 offset1:12
	s_wait_dscnt 0x2
	v_pk_add_f32 v[16:17], v[36:37], v[16:17]
	v_pk_add_f32 v[16:17], v[16:17], v[18:19]
	s_wait_dscnt 0x1
	s_delay_alu instid0(VALU_DEP_1)
	v_pk_add_f32 v[20:21], v[16:17], v[20:21]
	ds_load_2addr_b64 v[16:19], v188 offset0:13 offset1:14
	v_pk_add_f32 v[20:21], v[20:21], v[22:23]
	ds_load_b64 v[22:23], v189
	s_wait_dscnt 0x2
	v_pk_add_f32 v[20:21], v[20:21], v[32:33]
	s_delay_alu instid0(VALU_DEP_1) | instskip(SKIP_1) | instid1(VALU_DEP_1)
	v_pk_add_f32 v[20:21], v[20:21], v[34:35]
	s_wait_dscnt 0x1
	v_pk_add_f32 v[16:17], v[20:21], v[16:17]
	s_delay_alu instid0(VALU_DEP_1) | instskip(SKIP_2) | instid1(VALU_DEP_2)
	v_pk_add_f32 v[16:17], v[16:17], v[18:19]
	v_add_nc_u32_e32 v18, s78, v178
	s_wait_dscnt 0x0
	v_pk_add_f32 v[16:17], v[16:17], v[22:23]
	global_store_b64 v18, v[16:17], s[22:23] scale_offset
.LBB32_156:                             ;   in Loop: Header=BB32_106 Depth=2
	s_wait_xcnt 0x0
	s_or_b32 exec_lo, exec_lo, s79
	v_dual_mov_b32 v16, v142 :: v_dual_mov_b32 v17, v142
	v_dual_mov_b32 v142, v143 :: v_dual_mov_b32 v18, v140
	;; [unrolled: 1-line block ×4, first 2 shown]
	s_delay_alu instid0(VALU_DEP_3) | instskip(SKIP_1) | instid1(VALU_DEP_4)
	v_pk_mul_f32 v[20:21], v[142:143], v[0:1]
	v_dual_mov_b32 v144, v145 :: v_dual_mov_b32 v147, v146
	v_pk_mul_f32 v[34:35], v[140:141], v[2:3]
	v_dual_mov_b32 v175, v174 :: v_dual_mov_b32 v177, v176
	s_delay_alu instid0(VALU_DEP_4)
	v_pk_fma_f32 v[32:33], v[16:17], v[0:1], v[20:21] op_sel:[0,0,1] op_sel_hi:[1,1,0]
	v_pk_fma_f32 v[0:1], v[16:17], v[0:1], v[20:21] op_sel:[0,0,1] op_sel_hi:[1,1,0] neg_lo:[0,0,1] neg_hi:[0,0,1]
	v_mov_b32_e32 v149, v148
	v_pk_fma_f32 v[16:17], v[18:19], v[2:3], v[34:35] op_sel:[0,0,1] op_sel_hi:[1,1,0]
	v_pk_mul_f32 v[20:21], v[144:145], v[4:5]
	v_mov_b32_e32 v1, v33
	v_pk_fma_f32 v[2:3], v[18:19], v[2:3], v[34:35] op_sel:[0,0,1] op_sel_hi:[1,1,0] neg_lo:[0,0,1] neg_hi:[0,0,1]
	v_pk_mul_f32 v[32:33], v[148:149], v[6:7]
	v_mov_b32_e32 v3, v17
	v_pk_fma_f32 v[16:17], v[22:23], v[4:5], v[20:21] op_sel:[0,0,1] op_sel_hi:[1,1,0]
	v_pk_add_f32 v[0:1], v[104:105], v[0:1]
	v_pk_fma_f32 v[4:5], v[22:23], v[4:5], v[20:21] op_sel:[0,0,1] op_sel_hi:[1,1,0] neg_lo:[0,0,1] neg_hi:[0,0,1]
	v_pk_fma_f32 v[18:19], v[146:147], v[6:7], v[32:33] op_sel:[0,0,1] op_sel_hi:[1,1,0]
	s_delay_alu instid0(VALU_DEP_4) | instskip(NEXT) | instid1(VALU_DEP_4)
	v_dual_mov_b32 v16, v15 :: v_dual_mov_b32 v5, v17
	v_pk_add_f32 v[0:1], v[0:1], v[2:3]
	v_pk_fma_f32 v[2:3], v[146:147], v[6:7], v[32:33] op_sel:[0,0,1] op_sel_hi:[1,1,0] neg_lo:[0,0,1] neg_hi:[0,0,1]
	v_pk_mul_f32 v[6:7], v[152:153], v[12:13] op_sel:[1,1] op_sel_hi:[0,1]
	v_mov_b32_e32 v3, v19
	v_pk_mul_f32 v[16:17], v[150:151], v[16:17] op_sel:[1,0] op_sel_hi:[0,0]
	v_pk_add_f32 v[0:1], v[0:1], v[4:5]
	v_add_nc_u64_e32 v[106:107], s[70:71], v[106:107]
	v_pk_fma_f32 v[4:5], v[152:153], v[12:13], v[6:7] op_sel_hi:[1,0,1]
	v_dual_mov_b32 v157, v58 :: v_dual_mov_b32 v4, v160
	s_delay_alu instid0(VALU_DEP_4) | instskip(SKIP_1) | instid1(VALU_DEP_4)
	v_pk_add_f32 v[0:1], v[0:1], v[2:3]
	v_pk_fma_f32 v[2:3], v[152:153], v[12:13], v[6:7] neg_lo:[0,0,1] neg_hi:[0,0,1]
	v_mov_b32_e32 v3, v5
	v_pk_fma_f32 v[6:7], v[150:151], v[14:15], v[16:17] op_sel_hi:[1,0,1]
	v_pk_fma_f32 v[12:13], v[150:151], v[14:15], v[16:17] neg_lo:[0,0,1] neg_hi:[0,0,1]
	v_dual_mov_b32 v5, v160 :: v_dual_mov_b32 v160, v161
	s_delay_alu instid0(VALU_DEP_4) | instskip(SKIP_3) | instid1(VALU_DEP_3)
	v_pk_add_f32 v[0:1], v[0:1], v[2:3]
	v_pk_mul_f32 v[2:3], v[154:155], v[8:9] op_sel:[1,1] op_sel_hi:[0,1]
	v_dual_mov_b32 v13, v7 :: v_dual_mov_b32 v6, v11
	v_dual_mov_b32 v14, v158 :: v_dual_mov_b32 v165, v164
	v_pk_fma_f32 v[16:17], v[154:155], v[8:9], v[2:3] op_sel_hi:[1,0,1]
	v_pk_fma_f32 v[2:3], v[154:155], v[8:9], v[2:3] neg_lo:[0,0,1] neg_hi:[0,0,1]
	v_mov_b32_e32 v15, v158
	v_pk_add_f32 v[0:1], v[0:1], v[12:13]
	v_pk_mul_f32 v[6:7], v[156:157], v[6:7] op_sel:[1,0] op_sel_hi:[0,0]
	v_dual_mov_b32 v3, v17 :: v_dual_mov_b32 v158, v159
	v_mov_b32_e32 v8, v162
	v_add_nc_u64_e32 v[108:109], s[70:71], v[108:109]
	s_delay_alu instid0(VALU_DEP_4) | instskip(NEXT) | instid1(VALU_DEP_4)
	v_pk_fma_f32 v[12:13], v[156:157], v[10:11], v[6:7] op_sel_hi:[1,0,1]
	v_pk_add_f32 v[0:1], v[0:1], v[2:3]
	v_pk_mul_f32 v[2:3], v[160:161], v[28:29]
	v_pk_fma_f32 v[6:7], v[156:157], v[10:11], v[6:7] neg_lo:[0,0,1] neg_hi:[0,0,1]
	s_delay_alu instid0(VALU_DEP_4) | instskip(SKIP_1) | instid1(VALU_DEP_4)
	v_dual_mov_b32 v9, v162 :: v_dual_mov_b32 v7, v13
	v_mov_b32_e32 v162, v163
	v_pk_fma_f32 v[10:11], v[4:5], v[28:29], v[2:3] op_sel:[0,0,1] op_sel_hi:[1,1,0]
	v_pk_fma_f32 v[2:3], v[4:5], v[28:29], v[2:3] op_sel:[0,0,1] op_sel_hi:[1,1,0] neg_lo:[0,0,1] neg_hi:[0,0,1]
	v_mov_b32_e32 v167, v166
	v_pk_add_f32 v[0:1], v[0:1], v[6:7]
	v_pk_mul_f32 v[6:7], v[158:159], v[30:31]
	v_dual_mov_b32 v3, v11 :: v_dual_mov_b32 v4, v170
	v_mov_b32_e32 v5, v170
	v_add_nc_u64_e32 v[110:111], s[70:71], v[110:111]
	s_delay_alu instid0(VALU_DEP_4) | instskip(NEXT) | instid1(VALU_DEP_4)
	v_pk_fma_f32 v[10:11], v[14:15], v[30:31], v[6:7] op_sel:[0,0,1] op_sel_hi:[1,1,0]
	v_pk_add_f32 v[0:1], v[0:1], v[2:3]
	v_pk_mul_f32 v[2:3], v[162:163], v[24:25]
	v_pk_fma_f32 v[6:7], v[14:15], v[30:31], v[6:7] op_sel:[0,0,1] op_sel_hi:[1,1,0] neg_lo:[0,0,1] neg_hi:[0,0,1]
	s_delay_alu instid0(VALU_DEP_4) | instskip(SKIP_1) | instid1(VALU_DEP_4)
	v_dual_mov_b32 v170, v171 :: v_dual_mov_b32 v7, v11
	v_dual_mov_b32 v10, v168 :: v_dual_mov_b32 v11, v168
	v_pk_fma_f32 v[12:13], v[8:9], v[24:25], v[2:3] op_sel:[0,0,1] op_sel_hi:[1,1,0]
	v_pk_fma_f32 v[2:3], v[8:9], v[24:25], v[2:3] op_sel:[0,0,1] op_sel_hi:[1,1,0] neg_lo:[0,0,1] neg_hi:[0,0,1]
	v_mov_b32_e32 v168, v169
	v_pk_add_f32 v[0:1], v[0:1], v[6:7]
	v_pk_mul_f32 v[6:7], v[166:167], v[26:27]
	v_dual_mov_b32 v3, v13 :: v_dual_mov_b32 v8, v172
	v_mov_b32_e32 v9, v172
	v_add_nc_u64_e32 v[112:113], s[70:71], v[112:113]
	s_delay_alu instid0(VALU_DEP_4) | instskip(NEXT) | instid1(VALU_DEP_4)
	v_pk_fma_f32 v[12:13], v[164:165], v[26:27], v[6:7] op_sel:[0,0,1] op_sel_hi:[1,1,0]
	v_pk_add_f32 v[0:1], v[0:1], v[2:3]
	v_pk_fma_f32 v[2:3], v[164:165], v[26:27], v[6:7] op_sel:[0,0,1] op_sel_hi:[1,1,0] neg_lo:[0,0,1] neg_hi:[0,0,1]
	v_pk_mul_f32 v[6:7], v[170:171], v[40:41]
	s_delay_alu instid0(VALU_DEP_4) | instskip(SKIP_2) | instid1(VALU_DEP_4)
	v_dual_mov_b32 v172, v173 :: v_dual_mov_b32 v3, v13
	v_pk_mul_f32 v[12:13], v[168:169], v[42:43]
	v_add_nc_u64_e32 v[114:115], s[70:71], v[114:115]
	v_pk_fma_f32 v[14:15], v[4:5], v[40:41], v[6:7] op_sel:[0,0,1] op_sel_hi:[1,1,0]
	v_pk_fma_f32 v[4:5], v[4:5], v[40:41], v[6:7] op_sel:[0,0,1] op_sel_hi:[1,1,0] neg_lo:[0,0,1] neg_hi:[0,0,1]
	v_pk_add_f32 v[0:1], v[0:1], v[2:3]
	v_pk_fma_f32 v[2:3], v[10:11], v[42:43], v[12:13] op_sel:[0,0,1] op_sel_hi:[1,1,0]
	v_pk_mul_f32 v[16:17], v[172:173], v[44:45]
	v_mov_b32_e32 v5, v15
	v_pk_fma_f32 v[6:7], v[10:11], v[42:43], v[12:13] op_sel:[0,0,1] op_sel_hi:[1,1,0] neg_lo:[0,0,1] neg_hi:[0,0,1]
	v_pk_mul_f32 v[10:11], v[176:177], v[46:47]
	v_mov_b32_e32 v7, v3
	v_pk_fma_f32 v[2:3], v[8:9], v[44:45], v[16:17] op_sel:[0,0,1] op_sel_hi:[1,1,0]
	v_pk_add_f32 v[0:1], v[0:1], v[4:5]
	v_pk_fma_f32 v[4:5], v[8:9], v[44:45], v[16:17] op_sel:[0,0,1] op_sel_hi:[1,1,0] neg_lo:[0,0,1] neg_hi:[0,0,1]
	v_add_nc_u64_e32 v[116:117], s[70:71], v[116:117]
	v_add_nc_u64_e32 v[118:119], s[70:71], v[118:119]
	v_mov_b32_e32 v5, v3
	v_pk_fma_f32 v[2:3], v[174:175], v[46:47], v[10:11] op_sel:[0,0,1] op_sel_hi:[1,1,0]
	v_pk_add_f32 v[0:1], v[0:1], v[6:7]
	v_pk_fma_f32 v[6:7], v[174:175], v[46:47], v[10:11] op_sel:[0,0,1] op_sel_hi:[1,1,0] neg_lo:[0,0,1] neg_hi:[0,0,1]
	v_add_nc_u64_e32 v[120:121], s[70:71], v[120:121]
	v_add_nc_u64_e32 v[122:123], s[70:71], v[122:123]
	v_mov_b32_e32 v7, v3
	v_pk_add_f32 v[0:1], v[0:1], v[4:5]
	v_add_nc_u64_e32 v[124:125], s[70:71], v[124:125]
	v_add_nc_u64_e32 v[126:127], s[70:71], v[126:127]
	;; [unrolled: 1-line block ×7, first 2 shown]
	v_pk_add_f32 v[104:105], v[0:1], v[6:7]
	s_add_co_i32 s79, s85, 1
	s_add_co_i32 s85, s85, 2
	;; [unrolled: 1-line block ×3, first 2 shown]
	s_cmp_ge_u32 s85, s44
	s_wait_storecnt 0x0
	s_barrier_signal -1
	s_barrier_wait -1
	s_cbranch_scc1 .LBB32_158
; %bb.157:                              ;   in Loop: Header=BB32_106 Depth=2
	s_mov_b32 s85, s79
	s_delay_alu instid0(SALU_CYCLE_1)
	s_cmp_eq_u32 s49, s85
	s_cselect_b32 s86, s80, 0
	s_and_saveexec_b32 s87, s0
	s_cbranch_execnz .LBB32_102
	s_branch .LBB32_106
.LBB32_158:                             ;   in Loop: Header=BB32_4 Depth=1
	ds_store_b64 v191, v[104:105]
	s_wait_dscnt 0x0
	s_barrier_signal -1
	s_barrier_wait -1
	s_and_saveexec_b32 s78, s83
	s_cbranch_execz .LBB32_2
; %bb.159:                              ;   in Loop: Header=BB32_4 Depth=1
	ds_load_2addr_b64 v[0:3], v64 offset1:67
	ds_load_2addr_b64 v[4:7], v64 offset0:134 offset1:201
	s_wait_dscnt 0x1
	v_pk_add_f32 v[0:1], v[2:3], v[0:1]
	v_lshl_add_u64 v[2:3], v[60:61], 3, s[22:23]
	s_wait_dscnt 0x0
	s_delay_alu instid0(VALU_DEP_2) | instskip(NEXT) | instid1(VALU_DEP_1)
	v_pk_add_f32 v[0:1], v[4:5], v[0:1]
	v_pk_add_f32 v[0:1], v[0:1], v[6:7]
	global_store_b64 v[2:3], v[0:1], off
	s_branch .LBB32_2
.LBB32_160:                             ;   in Loop: Header=BB32_4 Depth=1
	ds_load_b64 v[4:5], v195
	s_mov_b32 s22, exec_lo
	s_wait_dscnt 0x0
	v_xor_b32_e32 v2, 0x80000000, v5
	ds_store_b32 v198, v4
	s_or_saveexec_b32 s23, s23
	v_mov_b32_e32 v3, v198
	s_xor_b32 exec_lo, exec_lo, s23
	s_cbranch_execz .LBB32_32
.LBB32_161:                             ;   in Loop: Header=BB32_4 Depth=1
	v_dual_mov_b32 v2, 0 :: v_dual_mov_b32 v3, v197
	s_and_not1_b32 s22, s22, exec_lo
	s_and_b32 s78, s9, exec_lo
	s_delay_alu instid0(SALU_CYCLE_1)
	s_or_b32 s22, s22, s78
	s_or_b32 exec_lo, exec_lo, s23
	s_and_saveexec_b32 s23, s22
	s_cbranch_execnz .LBB32_33
	s_branch .LBB32_34
.LBB32_162:                             ;   in Loop: Header=BB32_4 Depth=1
	ds_load_b64 v[4:5], v195
	s_mov_b32 s22, exec_lo
	s_wait_dscnt 0x0
	v_xor_b32_e32 v2, 0x80000000, v5
	ds_store_b32 v198, v4
	s_or_saveexec_b32 s23, s23
	v_mov_b32_e32 v3, v198
	s_xor_b32 exec_lo, exec_lo, s23
	s_cbranch_execz .LBB32_68
.LBB32_163:                             ;   in Loop: Header=BB32_4 Depth=1
	v_dual_mov_b32 v2, 0 :: v_dual_mov_b32 v3, v197
	s_and_not1_b32 s22, s22, exec_lo
	s_and_b32 s78, s9, exec_lo
	s_delay_alu instid0(SALU_CYCLE_1)
	s_or_b32 s22, s22, s78
	s_or_b32 exec_lo, exec_lo, s23
	s_and_saveexec_b32 s23, s22
	s_cbranch_execnz .LBB32_69
	s_branch .LBB32_70
.LBB32_164:
	s_sendmsg sendmsg(MSG_DEALLOC_VGPRS)
	s_endpgm
	.section	.rodata,"a",@progbits
	.p2align	6, 0x0
	.amdhsa_kernel _ZL26rocblas_hemvn_kernel_upperILb1ELi64ELi4ELi33ELi32ELi16ElPK19rocblas_complex_numIfEPKS3_PS1_EviT6_lT7_lT5_lS8_lS9_lS7_lT8_i
		.amdhsa_group_segment_fixed_size 9600
		.amdhsa_private_segment_fixed_size 0
		.amdhsa_kernarg_size 376
		.amdhsa_user_sgpr_count 2
		.amdhsa_user_sgpr_dispatch_ptr 0
		.amdhsa_user_sgpr_queue_ptr 0
		.amdhsa_user_sgpr_kernarg_segment_ptr 1
		.amdhsa_user_sgpr_dispatch_id 0
		.amdhsa_user_sgpr_kernarg_preload_length 0
		.amdhsa_user_sgpr_kernarg_preload_offset 0
		.amdhsa_user_sgpr_private_segment_size 0
		.amdhsa_wavefront_size32 1
		.amdhsa_uses_dynamic_stack 0
		.amdhsa_enable_private_segment 0
		.amdhsa_system_sgpr_workgroup_id_x 1
		.amdhsa_system_sgpr_workgroup_id_y 0
		.amdhsa_system_sgpr_workgroup_id_z 1
		.amdhsa_system_sgpr_workgroup_info 0
		.amdhsa_system_vgpr_workitem_id 1
		.amdhsa_next_free_vgpr 232
		.amdhsa_next_free_sgpr 90
		.amdhsa_named_barrier_count 0
		.amdhsa_reserve_vcc 1
		.amdhsa_float_round_mode_32 0
		.amdhsa_float_round_mode_16_64 0
		.amdhsa_float_denorm_mode_32 3
		.amdhsa_float_denorm_mode_16_64 3
		.amdhsa_fp16_overflow 0
		.amdhsa_memory_ordered 1
		.amdhsa_forward_progress 1
		.amdhsa_inst_pref_size 73
		.amdhsa_round_robin_scheduling 0
		.amdhsa_exception_fp_ieee_invalid_op 0
		.amdhsa_exception_fp_denorm_src 0
		.amdhsa_exception_fp_ieee_div_zero 0
		.amdhsa_exception_fp_ieee_overflow 0
		.amdhsa_exception_fp_ieee_underflow 0
		.amdhsa_exception_fp_ieee_inexact 0
		.amdhsa_exception_int_div_zero 0
	.end_amdhsa_kernel
	.section	.text._ZL26rocblas_hemvn_kernel_upperILb1ELi64ELi4ELi33ELi32ELi16ElPK19rocblas_complex_numIfEPKS3_PS1_EviT6_lT7_lT5_lS8_lS9_lS7_lT8_i,"axG",@progbits,_ZL26rocblas_hemvn_kernel_upperILb1ELi64ELi4ELi33ELi32ELi16ElPK19rocblas_complex_numIfEPKS3_PS1_EviT6_lT7_lT5_lS8_lS9_lS7_lT8_i,comdat
.Lfunc_end32:
	.size	_ZL26rocblas_hemvn_kernel_upperILb1ELi64ELi4ELi33ELi32ELi16ElPK19rocblas_complex_numIfEPKS3_PS1_EviT6_lT7_lT5_lS8_lS9_lS7_lT8_i, .Lfunc_end32-_ZL26rocblas_hemvn_kernel_upperILb1ELi64ELi4ELi33ELi32ELi16ElPK19rocblas_complex_numIfEPKS3_PS1_EviT6_lT7_lT5_lS8_lS9_lS7_lT8_i
                                        ; -- End function
	.set _ZL26rocblas_hemvn_kernel_upperILb1ELi64ELi4ELi33ELi32ELi16ElPK19rocblas_complex_numIfEPKS3_PS1_EviT6_lT7_lT5_lS8_lS9_lS7_lT8_i.num_vgpr, 232
	.set _ZL26rocblas_hemvn_kernel_upperILb1ELi64ELi4ELi33ELi32ELi16ElPK19rocblas_complex_numIfEPKS3_PS1_EviT6_lT7_lT5_lS8_lS9_lS7_lT8_i.num_agpr, 0
	.set _ZL26rocblas_hemvn_kernel_upperILb1ELi64ELi4ELi33ELi32ELi16ElPK19rocblas_complex_numIfEPKS3_PS1_EviT6_lT7_lT5_lS8_lS9_lS7_lT8_i.numbered_sgpr, 90
	.set _ZL26rocblas_hemvn_kernel_upperILb1ELi64ELi4ELi33ELi32ELi16ElPK19rocblas_complex_numIfEPKS3_PS1_EviT6_lT7_lT5_lS8_lS9_lS7_lT8_i.num_named_barrier, 0
	.set _ZL26rocblas_hemvn_kernel_upperILb1ELi64ELi4ELi33ELi32ELi16ElPK19rocblas_complex_numIfEPKS3_PS1_EviT6_lT7_lT5_lS8_lS9_lS7_lT8_i.private_seg_size, 0
	.set _ZL26rocblas_hemvn_kernel_upperILb1ELi64ELi4ELi33ELi32ELi16ElPK19rocblas_complex_numIfEPKS3_PS1_EviT6_lT7_lT5_lS8_lS9_lS7_lT8_i.uses_vcc, 1
	.set _ZL26rocblas_hemvn_kernel_upperILb1ELi64ELi4ELi33ELi32ELi16ElPK19rocblas_complex_numIfEPKS3_PS1_EviT6_lT7_lT5_lS8_lS9_lS7_lT8_i.uses_flat_scratch, 1
	.set _ZL26rocblas_hemvn_kernel_upperILb1ELi64ELi4ELi33ELi32ELi16ElPK19rocblas_complex_numIfEPKS3_PS1_EviT6_lT7_lT5_lS8_lS9_lS7_lT8_i.has_dyn_sized_stack, 0
	.set _ZL26rocblas_hemvn_kernel_upperILb1ELi64ELi4ELi33ELi32ELi16ElPK19rocblas_complex_numIfEPKS3_PS1_EviT6_lT7_lT5_lS8_lS9_lS7_lT8_i.has_recursion, 0
	.set _ZL26rocblas_hemvn_kernel_upperILb1ELi64ELi4ELi33ELi32ELi16ElPK19rocblas_complex_numIfEPKS3_PS1_EviT6_lT7_lT5_lS8_lS9_lS7_lT8_i.has_indirect_call, 0
	.section	.AMDGPU.csdata,"",@progbits
; Kernel info:
; codeLenInByte = 9308
; TotalNumSgprs: 92
; NumVgprs: 232
; ScratchSize: 0
; MemoryBound: 1
; FloatMode: 240
; IeeeMode: 1
; LDSByteSize: 9600 bytes/workgroup (compile time only)
; SGPRBlocks: 0
; VGPRBlocks: 14
; NumSGPRsForWavesPerEU: 92
; NumVGPRsForWavesPerEU: 232
; NamedBarCnt: 0
; Occupancy: 4
; WaveLimiterHint : 1
; COMPUTE_PGM_RSRC2:SCRATCH_EN: 0
; COMPUTE_PGM_RSRC2:USER_SGPR: 2
; COMPUTE_PGM_RSRC2:TRAP_HANDLER: 0
; COMPUTE_PGM_RSRC2:TGID_X_EN: 1
; COMPUTE_PGM_RSRC2:TGID_Y_EN: 0
; COMPUTE_PGM_RSRC2:TGID_Z_EN: 1
; COMPUTE_PGM_RSRC2:TIDIG_COMP_CNT: 1
	.section	.text._ZL36rocblas_hemvn_kernel_upper_block_sumILi64ElPK19rocblas_complex_numIfEPKPS1_S1_EviT1_lS7_lT2_lT0_lPT3_i,"axG",@progbits,_ZL36rocblas_hemvn_kernel_upper_block_sumILi64ElPK19rocblas_complex_numIfEPKPS1_S1_EviT1_lS7_lT2_lT0_lPT3_i,comdat
	.globl	_ZL36rocblas_hemvn_kernel_upper_block_sumILi64ElPK19rocblas_complex_numIfEPKPS1_S1_EviT1_lS7_lT2_lT0_lPT3_i ; -- Begin function _ZL36rocblas_hemvn_kernel_upper_block_sumILi64ElPK19rocblas_complex_numIfEPKPS1_S1_EviT1_lS7_lT2_lT0_lPT3_i
	.p2align	8
	.type	_ZL36rocblas_hemvn_kernel_upper_block_sumILi64ElPK19rocblas_complex_numIfEPKPS1_S1_EviT1_lS7_lT2_lT0_lPT3_i,@function
_ZL36rocblas_hemvn_kernel_upper_block_sumILi64ElPK19rocblas_complex_numIfEPKPS1_S1_EviT1_lS7_lT2_lT0_lPT3_i: ; @_ZL36rocblas_hemvn_kernel_upper_block_sumILi64ElPK19rocblas_complex_numIfEPKPS1_S1_EviT1_lS7_lT2_lT0_lPT3_i
; %bb.0:
	s_load_b32 s3, s[0:1], 0x50
	s_bfe_u32 s2, ttmp6, 0x40014
	s_lshr_b32 s4, ttmp7, 16
	s_add_co_i32 s2, s2, 1
	s_bfe_u32 s6, ttmp6, 0x40008
	s_mul_i32 s5, s4, s2
	s_getreg_b32 s2, hwreg(HW_REG_IB_STS2, 6, 4)
	s_add_co_i32 s6, s6, s5
	s_cmp_eq_u32 s2, 0
	s_mov_b32 s13, 0
	s_cselect_b32 s12, s4, s6
	s_wait_kmcnt 0x0
	s_cmp_ge_u32 s12, s3
	s_cbranch_scc1 .LBB33_21
; %bb.1:
	s_bfe_u32 s4, ttmp6, 0x4000c
	s_clause 0x1
	s_load_b128 s[20:23], s[0:1], 0x30
	s_load_b32 s18, s[0:1], 0x0
	s_add_co_i32 s4, s4, 1
	s_and_b32 s5, ttmp6, 15
	s_mul_i32 s4, ttmp9, s4
	s_add_nc_u64 s[16:17], s[0:1], 0x58
	s_add_co_i32 s5, s5, s4
	s_cmp_eq_u32 s2, 0
	v_mov_b32_e32 v16, 0
	s_cselect_b32 s25, ttmp9, s5
	s_delay_alu instid0(SALU_CYCLE_1) | instskip(NEXT) | instid1(VALU_DEP_1)
	v_lshl_or_b32 v2, s25, 6, v0
	v_ashrrev_i32_e32 v3, 31, v2
	s_wait_kmcnt 0x0
	v_cmp_gt_i32_e64 s2, s18, v2
	s_delay_alu instid0(VALU_DEP_2)
	v_mul_u64_e32 v[0:1], s[22:23], v[2:3]
	s_clause 0x2
	s_load_b64 s[22:23], s[0:1], 0x48
	s_load_b64 s[14:15], s[0:1], 0x28
	s_load_b256 s[4:11], s[0:1], 0x8
	s_ashr_i32 s19, s18, 31
	s_cmp_gt_i32 s25, -1
	s_cselect_b32 s24, -1, 0
	s_add_co_i32 s25, s25, 1
	s_lshl_b64 s[18:19], s[18:19], 3
	s_lshl_b64 s[20:21], s[20:21], 3
	s_wait_kmcnt 0x0
	v_lshl_add_u64 v[2:3], v[2:3], 3, s[22:23]
	s_branch .LBB33_5
.LBB33_2:                               ;   in Loop: Header=BB33_5 Depth=1
	flat_store_b64 v[14:15], v[12:13]
.LBB33_3:                               ;   in Loop: Header=BB33_5 Depth=1
	s_wait_xcnt 0x0
	s_or_b32 exec_lo, exec_lo, s1
.LBB33_4:                               ;   in Loop: Header=BB33_5 Depth=1
	s_add_co_i32 s12, s12, 0x10000
	s_delay_alu instid0(SALU_CYCLE_1)
	s_cmp_lt_u32 s12, s3
	s_cbranch_scc0 .LBB33_21
.LBB33_5:                               ; =>This Loop Header: Depth=1
                                        ;     Child Loop BB33_16 Depth 2
	s_mul_u64 s[0:1], s[6:7], s[12:13]
	s_delay_alu instid0(SALU_CYCLE_1) | instskip(NEXT) | instid1(SALU_CYCLE_1)
	s_lshl_b64 s[0:1], s[0:1], 3
	s_add_nc_u64 s[0:1], s[4:5], s[0:1]
	global_load_b64 v[4:5], v16, s[0:1]
	s_wait_xcnt 0x0
	s_mul_u64 s[0:1], s[10:11], s[12:13]
	s_delay_alu instid0(SALU_CYCLE_1) | instskip(NEXT) | instid1(SALU_CYCLE_1)
	s_lshl_b64 s[0:1], s[0:1], 3
	s_add_nc_u64 s[0:1], s[8:9], s[0:1]
	global_load_b64 v[6:7], v16, s[0:1]
	s_wait_loadcnt 0x1
	v_or_b32_e32 v8, v4, v5
	s_delay_alu instid0(VALU_DEP_1)
	v_and_b32_e32 v8, 0x7fffffff, v8
	s_wait_loadcnt 0x0
	v_cmp_eq_f32_e32 vcc_lo, 1.0, v6
	s_wait_xcnt 0x0
	v_cmp_eq_f32_e64 s1, 0, v7
	v_cmp_eq_u32_e64 s0, 0, v8
	s_and_b32 s1, vcc_lo, s1
	s_delay_alu instid0(SALU_CYCLE_1) | instskip(NEXT) | instid1(SALU_CYCLE_1)
	s_and_b32 s1, s0, s1
	s_and_b32 vcc_lo, exec_lo, s1
	s_cbranch_vccnz .LBB33_4
; %bb.6:                                ;   in Loop: Header=BB33_5 Depth=1
	s_lshl_b64 s[22:23], s[12:13], 3
	s_and_not1_b32 vcc_lo, exec_lo, s0
	s_add_nc_u64 s[22:23], s[14:15], s[22:23]
	s_mov_b32 s0, -1
	s_load_b64 s[22:23], s[22:23], 0x0
	s_wait_kmcnt 0x0
	s_wait_xcnt 0x0
	s_add_nc_u64 s[22:23], s[22:23], s[20:21]
	s_cbranch_vccnz .LBB33_12
; %bb.7:                                ;   in Loop: Header=BB33_5 Depth=1
	s_and_saveexec_b32 s1, s2
	s_cbranch_execz .LBB33_11
; %bb.8:                                ;   in Loop: Header=BB33_5 Depth=1
	v_cmp_neq_f32_e32 vcc_lo, 0, v6
	v_cmp_neq_f32_e64 s0, 0, v7
	v_dual_mov_b32 v8, 0 :: v_dual_mov_b32 v9, 0
	s_or_b32 s0, vcc_lo, s0
	s_delay_alu instid0(SALU_CYCLE_1)
	s_and_not1_b32 vcc_lo, exec_lo, s0
	s_cbranch_vccnz .LBB33_10
; %bb.9:                                ;   in Loop: Header=BB33_5 Depth=1
	v_lshl_add_u64 v[8:9], v[0:1], 3, s[22:23]
	flat_load_b64 v[8:9], v[8:9]
	s_wait_loadcnt_dscnt 0x0
	v_pk_mul_f32 v[10:11], v[8:9], v[6:7] op_sel:[1,1] op_sel_hi:[1,0]
	s_delay_alu instid0(VALU_DEP_1) | instskip(SKIP_2) | instid1(VALU_DEP_2)
	v_pk_fma_f32 v[12:13], v[8:9], v[6:7], v[10:11] op_sel_hi:[0,1,1]
	s_wait_xcnt 0x0
	v_pk_fma_f32 v[8:9], v[8:9], v[6:7], v[10:11] neg_lo:[0,0,1] neg_hi:[0,0,1]
	v_mov_b32_e32 v9, v13
.LBB33_10:                              ;   in Loop: Header=BB33_5 Depth=1
	v_lshl_add_u64 v[10:11], v[0:1], 3, s[22:23]
	flat_store_b64 v[10:11], v[8:9]
.LBB33_11:                              ;   in Loop: Header=BB33_5 Depth=1
	s_wait_xcnt 0x0
	s_or_b32 exec_lo, exec_lo, s1
	s_mov_b32 s0, 0
.LBB33_12:                              ;   in Loop: Header=BB33_5 Depth=1
	s_delay_alu instid0(SALU_CYCLE_1)
	s_and_not1_b32 vcc_lo, exec_lo, s0
	s_cbranch_vccnz .LBB33_4
; %bb.13:                               ;   in Loop: Header=BB33_5 Depth=1
	s_and_saveexec_b32 s1, s2
	s_cbranch_execz .LBB33_3
; %bb.14:                               ;   in Loop: Header=BB33_5 Depth=1
	v_mov_b32_e32 v9, 0
	s_and_not1_b32 vcc_lo, exec_lo, s24
	s_delay_alu instid0(VALU_DEP_1)
	v_mov_b32_e32 v8, v9
	s_cbranch_vccnz .LBB33_17
; %bb.15:                               ;   in Loop: Header=BB33_5 Depth=1
	s_load_b32 s26, s[16:17], 0x0
	s_mov_b32 s27, s13
	v_mov_b32_e32 v8, 0
	s_mov_b32 s0, s25
	s_delay_alu instid0(VALU_DEP_1) | instskip(SKIP_2) | instid1(SALU_CYCLE_1)
	v_mov_b32_e32 v9, v8
	s_wait_kmcnt 0x0
	s_mul_u64 s[26:27], s[18:19], s[26:27]
	v_mad_nc_u64_u32 v[10:11], s26, s12, v[2:3]
	s_delay_alu instid0(VALU_DEP_1)
	v_mad_u32 v11, s27, s12, v11
.LBB33_16:                              ;   Parent Loop BB33_5 Depth=1
                                        ; =>  This Inner Loop Header: Depth=2
	global_load_b64 v[12:13], v[10:11], off
	s_wait_xcnt 0x0
	v_add_nc_u64_e32 v[10:11], s[18:19], v[10:11]
	s_add_co_i32 s0, s0, -1
	s_delay_alu instid0(SALU_CYCLE_1)
	s_cmp_eq_u32 s0, 0
	s_wait_loadcnt 0x0
	v_pk_add_f32 v[8:9], v[8:9], v[12:13]
	s_cbranch_scc0 .LBB33_16
.LBB33_17:                              ;   in Loop: Header=BB33_5 Depth=1
	v_cmp_neq_f32_e32 vcc_lo, 0, v6
	v_cmp_neq_f32_e64 s0, 0, v7
	s_delay_alu instid0(VALU_DEP_3) | instskip(SKIP_1) | instid1(SALU_CYCLE_1)
	v_pk_mul_f32 v[10:11], v[8:9], v[4:5] op_sel:[1,1] op_sel_hi:[1,0]
                                        ; implicit-def: $vgpr13
	s_or_b32 s0, vcc_lo, s0
	s_and_not1_b32 vcc_lo, exec_lo, s0
	s_mov_b32 s0, -1
	s_cbranch_vccz .LBB33_19
; %bb.18:                               ;   in Loop: Header=BB33_5 Depth=1
	v_pk_mul_f32 v[14:15], v[8:9], v[4:5] op_sel_hi:[0,1]
	v_pk_fma_f32 v[12:13], v[8:9], v[4:5], v[10:11] op_sel_hi:[0,1,1]
	s_mov_b32 s0, 0
	s_delay_alu instid0(VALU_DEP_2)
	v_sub_f32_e32 v12, v14, v10
.LBB33_19:                              ;   in Loop: Header=BB33_5 Depth=1
	v_lshl_add_u64 v[14:15], v[0:1], 3, s[22:23]
	s_and_not1_b32 vcc_lo, exec_lo, s0
	s_cbranch_vccnz .LBB33_2
; %bb.20:                               ;   in Loop: Header=BB33_5 Depth=1
	flat_load_b64 v[12:13], v[14:15]
	v_pk_fma_f32 v[22:23], v[8:9], v[4:5], v[10:11] op_sel_hi:[0,1,1]
	v_pk_fma_f32 v[4:5], v[8:9], v[4:5], v[10:11] neg_lo:[0,0,1] neg_hi:[0,0,1]
	s_delay_alu instid0(VALU_DEP_2) | instskip(SKIP_2) | instid1(VALU_DEP_1)
	v_mov_b32_e32 v5, v23
	s_wait_loadcnt_dscnt 0x0
	v_pk_mul_f32 v[18:19], v[12:13], v[6:7] op_sel:[1,1] op_sel_hi:[1,0]
	v_pk_fma_f32 v[20:21], v[12:13], v[6:7], v[18:19] op_sel_hi:[0,1,1]
	v_pk_fma_f32 v[6:7], v[12:13], v[6:7], v[18:19] neg_lo:[0,0,1] neg_hi:[0,0,1]
	s_delay_alu instid0(VALU_DEP_2) | instskip(NEXT) | instid1(VALU_DEP_1)
	v_mov_b32_e32 v7, v21
	v_pk_add_f32 v[12:13], v[4:5], v[6:7]
	s_branch .LBB33_2
.LBB33_21:
	s_endpgm
	.section	.rodata,"a",@progbits
	.p2align	6, 0x0
	.amdhsa_kernel _ZL36rocblas_hemvn_kernel_upper_block_sumILi64ElPK19rocblas_complex_numIfEPKPS1_S1_EviT1_lS7_lT2_lT0_lPT3_i
		.amdhsa_group_segment_fixed_size 0
		.amdhsa_private_segment_fixed_size 0
		.amdhsa_kernarg_size 344
		.amdhsa_user_sgpr_count 2
		.amdhsa_user_sgpr_dispatch_ptr 0
		.amdhsa_user_sgpr_queue_ptr 0
		.amdhsa_user_sgpr_kernarg_segment_ptr 1
		.amdhsa_user_sgpr_dispatch_id 0
		.amdhsa_user_sgpr_kernarg_preload_length 0
		.amdhsa_user_sgpr_kernarg_preload_offset 0
		.amdhsa_user_sgpr_private_segment_size 0
		.amdhsa_wavefront_size32 1
		.amdhsa_uses_dynamic_stack 0
		.amdhsa_enable_private_segment 0
		.amdhsa_system_sgpr_workgroup_id_x 1
		.amdhsa_system_sgpr_workgroup_id_y 0
		.amdhsa_system_sgpr_workgroup_id_z 1
		.amdhsa_system_sgpr_workgroup_info 0
		.amdhsa_system_vgpr_workitem_id 0
		.amdhsa_next_free_vgpr 24
		.amdhsa_next_free_sgpr 28
		.amdhsa_named_barrier_count 0
		.amdhsa_reserve_vcc 1
		.amdhsa_float_round_mode_32 0
		.amdhsa_float_round_mode_16_64 0
		.amdhsa_float_denorm_mode_32 3
		.amdhsa_float_denorm_mode_16_64 3
		.amdhsa_fp16_overflow 0
		.amdhsa_memory_ordered 1
		.amdhsa_forward_progress 1
		.amdhsa_inst_pref_size 7
		.amdhsa_round_robin_scheduling 0
		.amdhsa_exception_fp_ieee_invalid_op 0
		.amdhsa_exception_fp_denorm_src 0
		.amdhsa_exception_fp_ieee_div_zero 0
		.amdhsa_exception_fp_ieee_overflow 0
		.amdhsa_exception_fp_ieee_underflow 0
		.amdhsa_exception_fp_ieee_inexact 0
		.amdhsa_exception_int_div_zero 0
	.end_amdhsa_kernel
	.section	.text._ZL36rocblas_hemvn_kernel_upper_block_sumILi64ElPK19rocblas_complex_numIfEPKPS1_S1_EviT1_lS7_lT2_lT0_lPT3_i,"axG",@progbits,_ZL36rocblas_hemvn_kernel_upper_block_sumILi64ElPK19rocblas_complex_numIfEPKPS1_S1_EviT1_lS7_lT2_lT0_lPT3_i,comdat
.Lfunc_end33:
	.size	_ZL36rocblas_hemvn_kernel_upper_block_sumILi64ElPK19rocblas_complex_numIfEPKPS1_S1_EviT1_lS7_lT2_lT0_lPT3_i, .Lfunc_end33-_ZL36rocblas_hemvn_kernel_upper_block_sumILi64ElPK19rocblas_complex_numIfEPKPS1_S1_EviT1_lS7_lT2_lT0_lPT3_i
                                        ; -- End function
	.set _ZL36rocblas_hemvn_kernel_upper_block_sumILi64ElPK19rocblas_complex_numIfEPKPS1_S1_EviT1_lS7_lT2_lT0_lPT3_i.num_vgpr, 24
	.set _ZL36rocblas_hemvn_kernel_upper_block_sumILi64ElPK19rocblas_complex_numIfEPKPS1_S1_EviT1_lS7_lT2_lT0_lPT3_i.num_agpr, 0
	.set _ZL36rocblas_hemvn_kernel_upper_block_sumILi64ElPK19rocblas_complex_numIfEPKPS1_S1_EviT1_lS7_lT2_lT0_lPT3_i.numbered_sgpr, 28
	.set _ZL36rocblas_hemvn_kernel_upper_block_sumILi64ElPK19rocblas_complex_numIfEPKPS1_S1_EviT1_lS7_lT2_lT0_lPT3_i.num_named_barrier, 0
	.set _ZL36rocblas_hemvn_kernel_upper_block_sumILi64ElPK19rocblas_complex_numIfEPKPS1_S1_EviT1_lS7_lT2_lT0_lPT3_i.private_seg_size, 0
	.set _ZL36rocblas_hemvn_kernel_upper_block_sumILi64ElPK19rocblas_complex_numIfEPKPS1_S1_EviT1_lS7_lT2_lT0_lPT3_i.uses_vcc, 1
	.set _ZL36rocblas_hemvn_kernel_upper_block_sumILi64ElPK19rocblas_complex_numIfEPKPS1_S1_EviT1_lS7_lT2_lT0_lPT3_i.uses_flat_scratch, 0
	.set _ZL36rocblas_hemvn_kernel_upper_block_sumILi64ElPK19rocblas_complex_numIfEPKPS1_S1_EviT1_lS7_lT2_lT0_lPT3_i.has_dyn_sized_stack, 0
	.set _ZL36rocblas_hemvn_kernel_upper_block_sumILi64ElPK19rocblas_complex_numIfEPKPS1_S1_EviT1_lS7_lT2_lT0_lPT3_i.has_recursion, 0
	.set _ZL36rocblas_hemvn_kernel_upper_block_sumILi64ElPK19rocblas_complex_numIfEPKPS1_S1_EviT1_lS7_lT2_lT0_lPT3_i.has_indirect_call, 0
	.section	.AMDGPU.csdata,"",@progbits
; Kernel info:
; codeLenInByte = 896
; TotalNumSgprs: 30
; NumVgprs: 24
; ScratchSize: 0
; MemoryBound: 0
; FloatMode: 240
; IeeeMode: 1
; LDSByteSize: 0 bytes/workgroup (compile time only)
; SGPRBlocks: 0
; VGPRBlocks: 1
; NumSGPRsForWavesPerEU: 30
; NumVGPRsForWavesPerEU: 24
; NamedBarCnt: 0
; Occupancy: 16
; WaveLimiterHint : 1
; COMPUTE_PGM_RSRC2:SCRATCH_EN: 0
; COMPUTE_PGM_RSRC2:USER_SGPR: 2
; COMPUTE_PGM_RSRC2:TRAP_HANDLER: 0
; COMPUTE_PGM_RSRC2:TGID_X_EN: 1
; COMPUTE_PGM_RSRC2:TGID_Y_EN: 0
; COMPUTE_PGM_RSRC2:TGID_Z_EN: 1
; COMPUTE_PGM_RSRC2:TIDIG_COMP_CNT: 0
	.section	.text._ZL26rocblas_hemvn_kernel_upperILb1ELi64ELi4ELi33ELi32ELi16EiPK19rocblas_complex_numIfEPKS3_PS1_EviT6_lT7_lT5_lS8_lS9_lS7_lT8_i,"axG",@progbits,_ZL26rocblas_hemvn_kernel_upperILb1ELi64ELi4ELi33ELi32ELi16EiPK19rocblas_complex_numIfEPKS3_PS1_EviT6_lT7_lT5_lS8_lS9_lS7_lT8_i,comdat
	.globl	_ZL26rocblas_hemvn_kernel_upperILb1ELi64ELi4ELi33ELi32ELi16EiPK19rocblas_complex_numIfEPKS3_PS1_EviT6_lT7_lT5_lS8_lS9_lS7_lT8_i ; -- Begin function _ZL26rocblas_hemvn_kernel_upperILb1ELi64ELi4ELi33ELi32ELi16EiPK19rocblas_complex_numIfEPKS3_PS1_EviT6_lT7_lT5_lS8_lS9_lS7_lT8_i
	.p2align	8
	.type	_ZL26rocblas_hemvn_kernel_upperILb1ELi64ELi4ELi33ELi32ELi16EiPK19rocblas_complex_numIfEPKS3_PS1_EviT6_lT7_lT5_lS8_lS9_lS7_lT8_i,@function
_ZL26rocblas_hemvn_kernel_upperILb1ELi64ELi4ELi33ELi32ELi16EiPK19rocblas_complex_numIfEPKS3_PS1_EviT6_lT7_lT5_lS8_lS9_lS7_lT8_i: ; @_ZL26rocblas_hemvn_kernel_upperILb1ELi64ELi4ELi33ELi32ELi16EiPK19rocblas_complex_numIfEPKS3_PS1_EviT6_lT7_lT5_lS8_lS9_lS7_lT8_i
; %bb.0:
	s_clause 0x1
	s_load_b64 s[2:3], s[0:1], 0x84
	s_load_b32 s33, s[0:1], 0x70
	s_bfe_u32 s4, ttmp6, 0x40014
	s_lshr_b32 s5, ttmp7, 16
	s_add_co_i32 s4, s4, 1
	s_bfe_u32 s6, ttmp6, 0x40008
	s_mul_i32 s7, s5, s4
	s_getreg_b32 s4, hwreg(HW_REG_IB_STS2, 6, 4)
	s_add_co_i32 s6, s6, s7
	s_mov_b32 s35, 0
	s_wait_kmcnt 0x0
	s_lshr_b32 s7, s2, 16
	s_and_b32 s2, s2, 0xffff
	s_and_b32 s3, s3, 0xffff
	s_mul_i32 s2, s7, s2
	s_cmp_eq_u32 s4, 0
	s_mul_i32 s2, s2, s3
	s_cselect_b32 s34, s5, s6
	s_cmp_lg_u32 s2, 0x100
	s_cselect_b32 s2, -1, 0
	s_cmp_ge_u32 s34, s33
	s_cselect_b32 s3, -1, 0
	s_delay_alu instid0(SALU_CYCLE_1) | instskip(NEXT) | instid1(SALU_CYCLE_1)
	s_or_b32 s2, s2, s3
	s_and_b32 vcc_lo, exec_lo, s2
	s_cbranch_vccnz .LBB34_164
; %bb.1:
	s_clause 0x1
	s_load_b32 s2, s[0:1], 0x0
	s_load_b32 s70, s[0:1], 0x28
	s_add_nc_u64 s[6:7], s[0:1], 0x78
	s_load_b32 s44, s[6:7], 0x0
	s_clause 0x4
	s_load_b256 s[24:31], s[0:1], 0x8
	s_load_b128 s[36:39], s[0:1], 0x38
	s_load_b32 s72, s[0:1], 0x48
	s_load_b64 s[8:9], s[0:1], 0x68
	s_load_b128 s[40:43], s[0:1], 0x58
	s_wait_xcnt 0x0
	s_bfe_u32 s1, ttmp6, 0x4000c
	s_and_b32 s0, ttmp6, 15
	s_add_co_i32 s1, s1, 1
	v_and_b32_e32 v194, 0x3ff, v0
	s_mul_i32 s1, ttmp9, s1
	v_bfe_u32 v1, v0, 10, 10
	s_add_co_i32 s0, s0, s1
	s_mov_b32 s45, s35
	v_lshlrev_b32_e32 v195, 3, v194
	v_mov_b64_e32 v[110:111], 0
	v_lshl_add_u32 v4, v1, 6, v194
	v_lshl_add_u32 v204, v1, 5, 0x2180
	v_mov_b32_e32 v65, 0
	v_mad_u32_u24 v205, 0x860, v1, v195
	v_mad_u32_u24 v209, 0x218, v1, v195
	s_wait_kmcnt 0x0
	s_ashr_i32 s3, s2, 31
	s_ashr_i32 s71, s70, 31
	s_cmp_eq_u32 s4, 0
	v_lshrrev_b32_e32 v3, 5, v4
	s_cselect_b32 s46, ttmp9, s0
	s_lshr_b32 s0, s3, 26
	s_lshl_b32 s22, s46, 6
	s_delay_alu instid0(SALU_CYCLE_1) | instskip(SKIP_3) | instid1(VALU_DEP_1)
	v_dual_add_nc_u32 v58, s22, v194 :: v_dual_bitop2_b32 v56, 31, v0 bitop3:0x40
	s_add_co_i32 s0, s2, s0
	s_add_co_i32 s1, s44, -1
	s_and_not1_b32 s0, s0, 63
	v_dual_lshlrev_b32 v196, 3, v56 :: v_dual_add_nc_u32 v2, 8, v3
	s_sub_co_i32 s80, s2, s0
	s_cmp_eq_u32 s46, s1
	v_and_b32_e32 v9, 0x7fe0, v4
	s_cselect_b32 s48, s80, 0
	v_lshl_or_b32 v8, v56, 8, v196
	s_cmp_lg_u32 s48, 0
	v_lshlrev_b32_e32 v7, 2, v3
	s_cselect_b32 s81, -1, 0
	s_cmp_eq_u32 s48, 0
	v_add_nc_u32_e32 v198, v8, v9
	s_cselect_b32 s1, -1, 0
	s_ashr_i32 s47, s46, 31
	v_or_b32_e32 v8, 2, v7
	s_mul_u64 s[4:5], s[2:3], s[46:47]
	v_cmp_le_u32_e64 s6, v7, v56
	s_lshl_b64 s[4:5], s[4:5], 3
	v_cmp_eq_u32_e64 s7, v7, v56
	s_add_nc_u64 s[52:53], s[8:9], s[4:5]
	v_cmp_ge_u32_e64 s8, v7, v56
	v_cmp_le_u32_e64 s10, v8, v56
	v_cmp_eq_u32_e64 s11, v8, v56
	v_lshlrev_b32_e32 v8, 3, v3
	v_or_b32_e32 v10, 1, v7
	v_dual_lshlrev_b32 v202, 2, v1 :: v_dual_bitop2_b32 v7, 3, v7 bitop3:0x54
	s_sub_co_i32 s19, s48, 32
	s_mul_u64 s[50:51], s[44:45], s[2:3]
	v_cmp_gt_i32_e64 s3, s48, v2
	v_cmp_gt_i32_e64 s17, s19, v2
	v_mad_u32 v2, s70, v202, v194
	v_dual_add_nc_u32 v5, 16, v3 :: v_dual_add_nc_u32 v6, 24, v3
	v_mul_lo_u32 v60, s72, v58
	v_mad_u32 v62, s70, v3, v56
	v_cmp_le_u32_e64 s12, v7, v56
	s_delay_alu instid0(VALU_DEP_4)
	v_cmp_gt_i32_e64 s4, s48, v5
	v_cmp_eq_u32_e64 s13, v7, v56
	v_or_b32_e32 v7, 32, v56
	v_cmp_gt_i32_e64 s18, s19, v5
	v_lshrrev_b32_e32 v5, 4, v4
	v_cmp_gt_i32_e64 s2, s48, v3
	v_mul_u32_u24_e32 v197, 0x108, v3
	v_cmp_gt_i32_e64 s5, s48, v6
	v_mul_u32_u24_e32 v11, 0x420, v3
	v_cmp_gt_i32_e64 s15, s48, v7
	v_cmp_gt_i32_e64 s16, s19, v3
	;; [unrolled: 1-line block ×3, first 2 shown]
	v_cmp_eq_u32_e64 s20, 1, v3
	v_mul_i32_i24_e32 v203, 0xffffffe8, v3
	v_dual_ashrrev_i32 v3, 31, v2 :: v_dual_bitop2_b32 v6, 15, v0 bitop3:0x40
	v_dual_lshlrev_b32 v7, 5, v5 :: v_dual_bitop2_b32 v0, 48, v0 bitop3:0x40
	v_dual_ashrrev_i32 v59, 31, v58 :: v_dual_ashrrev_i32 v61, 31, v60
	v_dual_ashrrev_i32 v63, 31, v62 :: v_dual_mov_b32 v57, v65
	s_delay_alu instid0(VALU_DEP_3)
	v_mad_u32_u24 v206, 0x218, v6, v7
	v_mul_i32_i24_e32 v7, 0xffffffe8, v5
	v_lshlrev_b32_e32 v0, 3, v0
	v_cmp_gt_i32_e32 vcc_lo, s48, v194
	v_cmp_eq_u32_e64 s0, 0, v1
	s_lshl_b32 s62, s70, 5
	v_add_nc_u32_e32 v211, v206, v7
	v_mad_u32_u24 v207, 0x218, v6, v0
	v_lshlrev_b64_e32 v[0:1], 3, v[62:63]
	s_or_b32 s66, s1, vcc_lo
	s_mul_i32 s54, s70, s22
	s_lshl_b32 s56, s70, 3
	s_lshl_b32 s58, s70, 4
	s_mul_i32 s60, s70, 24
	s_ashr_i32 s63, s62, 31
	s_mul_i32 s64, s72, s22
	s_add_co_i32 s73, s46, 1
	s_xor_b32 s82, s66, -1
	s_ashr_i32 s23, s22, 31
	s_ashr_i32 s55, s54, 31
	s_ashr_i32 s49, s48, 31
	s_ashr_i32 s57, s56, 31
	s_ashr_i32 s59, s58, 31
	s_ashr_i32 s61, s60, 31
	s_ashr_i32 s65, s64, 31
	v_sub_nc_u64_e32 v[66:67], 0, v[0:1]
	v_add_nc_u64_e32 v[0:1], s[62:63], v[2:3]
	s_cmp_lt_u32 s73, s44
	v_cmp_gt_u32_e64 s14, 32, v4
	s_cselect_b32 s45, -1, 0
	s_lshl_b32 s74, s70, 1
	v_cmp_gt_u32_e64 s21, 64, v4
	v_lshlrev_b64_e32 v[4:5], 3, v[2:3]
	s_lshl_b32 s83, s72, 6
	s_ashr_i32 s75, s74, 31
	s_mul_i32 s72, s72, s73
	s_lshl_b64 s[90:91], s[74:75], 3
	s_lshl_b32 s85, s72, 6
	s_lshl_b64 s[72:73], s[62:63], 3
	v_lshlrev_b64_e32 v[0:1], 3, v[0:1]
	s_lshl_b64 s[78:79], s[70:71], 3
	s_add_nc_u64 s[92:93], s[72:73], s[90:91]
	s_mul_i32 s76, s70, 3
	s_add_nc_u64 s[74:75], s[78:79], s[72:73]
	v_add_nc_u64_e32 v[74:75], s[92:93], v[4:5]
	s_lshl_b64 s[92:93], s[58:59], 3
	s_ashr_i32 s77, s76, 31
	v_add_nc_u64_e32 v[72:73], s[74:75], v[4:5]
	s_add_nc_u64 s[96:97], s[72:73], s[92:93]
	s_add_nc_u64 s[74:75], s[74:75], s[92:93]
	v_mad_nc_i64_i32 v[98:99], s58, 24, v[0:1]
	s_lshl_b64 s[86:87], s[70:71], 4
	s_lshl_b64 s[76:77], s[76:77], 3
	v_add_nc_u64_e32 v[82:83], s[74:75], v[4:5]
	s_add_nc_u64 s[74:75], s[96:97], s[90:91]
	v_mul_u32_u24_e32 v12, 0x108, v10
	v_cmp_eq_u32_e64 s9, v10, v56
	v_mul_u32_u24_e32 v10, 33, v56
	s_add_nc_u64 s[88:89], s[86:87], s[72:73]
	s_add_nc_u64 s[94:95], s[72:73], s[76:77]
	v_add_nc_u64_e32 v[84:85], s[74:75], v[4:5]
	s_lshl_b64 s[74:75], s[58:59], 4
	v_add_nc_u64_e32 v[68:69], s[72:73], v[4:5]
	v_add_nc_u64_e32 v[76:77], s[94:95], v[4:5]
	s_add_nc_u64 s[94:95], s[88:89], s[92:93]
	s_add_nc_u64 s[92:93], s[96:97], s[76:77]
	;; [unrolled: 1-line block ×4, first 2 shown]
	v_add_nc_u64_e32 v[70:71], s[88:89], v[4:5]
	v_add_nc_u64_e32 v[86:87], s[92:93], v[4:5]
	;; [unrolled: 1-line block ×4, first 2 shown]
	s_add_nc_u64 s[74:75], s[72:73], s[78:79]
	s_add_nc_u64 s[88:89], s[72:73], s[90:91]
	;; [unrolled: 1-line block ×3, first 2 shown]
	s_mul_u64 s[92:93], s[58:59], 24
	v_lshlrev_b32_e32 v199, 3, v10
	v_add_nc_u32_e32 v200, 0x2380, v9
	v_or_b32_e32 v9, 0x78, v195
	v_add_nc_u64_e32 v[96:97], s[72:73], v[4:5]
	s_add_nc_u64 s[72:73], s[92:93], s[86:87]
	v_add_nc_u64_e32 v[78:79], s[96:97], v[4:5]
	v_add_nc_u64_e32 v[80:81], s[94:95], v[4:5]
	;; [unrolled: 1-line block ×5, first 2 shown]
	v_sub_nc_u64_e32 v[102:103], 0, v[56:57]
	v_add_nc_u64_e32 v[104:105], s[78:79], v[98:99]
	v_add_nc_u64_e32 v[106:107], s[90:91], v[98:99]
	;; [unrolled: 1-line block ×3, first 2 shown]
	v_cmp_gt_i32_e64 s1, s48, v56
	v_add_nc_u32_e32 v201, v199, v8
	v_mad_u32_u24 v208, 0x218, v6, v9
	v_add_nc_u32_e32 v210, 0x2380, v8
	v_dual_add_nc_u32 v212, v196, v11 :: v_dual_add_nc_u32 v213, v196, v12
	v_add_nc_u32_e32 v214, 0x2380, v195
	v_mad_u32_u24 v215, 0x108, v56, v196
	v_dual_add_nc_u32 v216, 8, v198 :: v_dual_add_nc_u32 v217, 16, v198
	v_add_nc_u32_e32 v218, 24, v198
	v_add_nc_u32_e32 v219, 0x2180, v195
	v_dual_add_nc_u32 v223, 16, v202 :: v_dual_bitop2_b32 v220, 1, v202 bitop3:0x54
	v_dual_add_nc_u32 v224, 17, v202 :: v_dual_bitop2_b32 v221, 2, v202 bitop3:0x54
	;; [unrolled: 1-line block ×3, first 2 shown]
	v_dual_add_nc_u32 v226, 19, v202 :: v_dual_add_nc_u32 v227, 32, v202
	v_dual_add_nc_u32 v228, 33, v202 :: v_dual_add_nc_u32 v229, 34, v202
	;; [unrolled: 1-line block ×4, first 2 shown]
	v_add_nc_u32_e32 v57, 51, v202
	v_add_nc_u32_e32 v234, 64, v58
	s_sub_nc_u64 s[64:65], 0, s[64:65]
	s_add_co_i32 s47, s44, -2
	s_and_b32 s84, s0, s66
	s_sub_nc_u64 s[66:67], 0, s[48:49]
	s_lshl_b64 s[68:69], s[70:71], 6
	s_lshl_b64 s[70:71], s[58:59], 5
	s_mov_b64 s[72:73], 0xffffffffffffff00
	s_mov_b64 s[74:75], 0xfffffffffffffef8
	s_lshl_b64 s[38:39], s[38:39], 3
	s_lshl_b64 s[30:31], s[30:31], 3
	;; [unrolled: 1-line block ×3, first 2 shown]
	s_branch .LBB34_4
.LBB34_2:                               ;   in Loop: Header=BB34_4 Depth=1
	s_wait_xcnt 0x0
	s_or_b32 exec_lo, exec_lo, s78
.LBB34_3:                               ;   in Loop: Header=BB34_4 Depth=1
	s_add_co_i32 s34, s34, 0x10000
	s_delay_alu instid0(SALU_CYCLE_1)
	s_cmp_lt_u32 s34, s33
	s_cbranch_scc0 .LBB34_164
.LBB34_4:                               ; =>This Loop Header: Depth=1
                                        ;     Child Loop BB34_106 Depth 2
	s_mul_u64 s[22:23], s[26:27], s[34:35]
	s_delay_alu instid0(SALU_CYCLE_1) | instskip(NEXT) | instid1(SALU_CYCLE_1)
	s_lshl_b64 s[22:23], s[22:23], 3
	s_add_nc_u64 s[22:23], s[24:25], s[22:23]
	global_load_b64 v[0:1], v65, s[22:23]
	s_wait_xcnt 0x0
	s_mov_b32 s22, -1
	s_wait_loadcnt 0x0
	v_or_b32_e32 v0, v0, v1
	s_delay_alu instid0(VALU_DEP_1) | instskip(NEXT) | instid1(VALU_DEP_1)
	v_and_b32_e32 v0, 0x7fffffff, v0
	v_cmp_ne_u32_e32 vcc_lo, 0, v0
	s_cbranch_vccz .LBB34_6
; %bb.5:                                ;   in Loop: Header=BB34_4 Depth=1
	s_and_not1_b32 vcc_lo, exec_lo, s22
	s_cbranch_vccnz .LBB34_3
	s_branch .LBB34_7
.LBB34_6:                               ;   in Loop: Header=BB34_4 Depth=1
	s_mul_u64 s[22:23], s[42:43], s[34:35]
	s_delay_alu instid0(SALU_CYCLE_1) | instskip(NEXT) | instid1(SALU_CYCLE_1)
	s_lshl_b64 s[22:23], s[22:23], 3
	s_add_nc_u64 s[22:23], s[40:41], s[22:23]
	global_load_b64 v[0:1], v65, s[22:23]
	s_wait_loadcnt 0x0
	v_cmp_eq_f32_e32 vcc_lo, 1.0, v0
	s_wait_xcnt 0x0
	v_cmp_eq_f32_e64 s22, 0, v1
	s_and_b32 s22, vcc_lo, s22
	s_delay_alu instid0(SALU_CYCLE_1)
	s_and_not1_b32 vcc_lo, exec_lo, s22
	s_cbranch_execnz .LBB34_3
.LBB34_7:                               ;   in Loop: Header=BB34_4 Depth=1
	s_lshl_b64 s[22:23], s[34:35], 3
	s_delay_alu instid0(SALU_CYCLE_1)
	s_add_nc_u64 s[78:79], s[36:37], s[22:23]
	s_add_nc_u64 s[22:23], s[28:29], s[22:23]
	s_clause 0x1
	global_load_b64 v[2:3], v65, s[78:79]
	global_load_b64 v[0:1], v65, s[22:23]
	s_wait_loadcnt 0x1
	v_add_nc_u64_e32 v[2:3], s[38:39], v[2:3]
	s_delay_alu instid0(VALU_DEP_1)
	v_lshl_add_u64 v[12:13], v[60:61], 3, v[2:3]
	s_wait_xcnt 0x0
	s_and_saveexec_b32 s22, s0
	s_cbranch_execz .LBB34_12
; %bb.8:                                ;   in Loop: Header=BB34_4 Depth=1
	s_and_saveexec_b32 s23, s82
	s_delay_alu instid0(SALU_CYCLE_1)
	s_xor_b32 s23, exec_lo, s23
; %bb.9:                                ;   in Loop: Header=BB34_4 Depth=1
	ds_store_b64 v214, v[110:111]
; %bb.10:                               ;   in Loop: Header=BB34_4 Depth=1
	s_and_not1_saveexec_b32 s23, s23
	s_cbranch_execz .LBB34_12
; %bb.11:                               ;   in Loop: Header=BB34_4 Depth=1
	flat_load_b64 v[2:3], v[12:13]
	s_wait_loadcnt_dscnt 0x0
	ds_store_b64 v214, v[2:3]
.LBB34_12:                              ;   in Loop: Header=BB34_4 Depth=1
	s_wait_xcnt 0x0
	s_or_b32 exec_lo, exec_lo, s22
	s_wait_loadcnt 0x0
	v_add_nc_u64_e32 v[0:1], s[30:31], v[0:1]
	s_and_b32 vcc_lo, exec_lo, s81
	s_mov_b32 s22, -1
	s_delay_alu instid0(VALU_DEP_1) | instskip(NEXT) | instid1(VALU_DEP_1)
	v_add_nc_u64_e32 v[0:1], s[76:77], v[0:1]
	v_lshl_add_u64 v[0:1], v[62:63], 3, v[0:1]
	s_delay_alu instid0(VALU_DEP_1)
	v_lshl_add_u64 v[2:3], s[54:55], 3, v[0:1]
                                        ; implicit-def: $vgpr0_vgpr1
	s_cbranch_vccz .LBB34_22
; %bb.13:                               ;   in Loop: Header=BB34_4 Depth=1
	s_delay_alu instid0(VALU_DEP_1) | instskip(SKIP_2) | instid1(VALU_DEP_3)
	v_lshl_add_u64 v[0:1], v[102:103], 3, v[2:3]
	v_dual_mov_b32 v6, 0 :: v_dual_mov_b32 v4, 0
	v_mov_b32_e32 v5, 0
	v_lshl_add_u64 v[0:1], s[48:49], 3, v[0:1]
	s_delay_alu instid0(VALU_DEP_1) | instskip(NEXT) | instid1(VALU_DEP_1)
	v_add_nc_u64_e32 v[0:1], -8, v[0:1]
	v_dual_cndmask_b32 v1, v1, v3, s1 :: v_dual_cndmask_b32 v0, v0, v2, s1
	s_and_saveexec_b32 s22, s2
	s_cbranch_execz .LBB34_15
; %bb.14:                               ;   in Loop: Header=BB34_4 Depth=1
	flat_load_b64 v[4:5], v[0:1]
.LBB34_15:                              ;   in Loop: Header=BB34_4 Depth=1
	s_wait_xcnt 0x0
	s_or_b32 exec_lo, exec_lo, s22
	v_dual_mov_b32 v7, 0 :: v_dual_add_nc_u32 v10, v196, v197
	s_wait_loadcnt_dscnt 0x0
	ds_store_b64 v10, v[4:5]
	s_and_saveexec_b32 s22, s3
	s_cbranch_execz .LBB34_17
; %bb.16:                               ;   in Loop: Header=BB34_4 Depth=1
	v_lshl_add_u64 v[4:5], s[56:57], 3, v[0:1]
	flat_load_b64 v[6:7], v[4:5]
.LBB34_17:                              ;   in Loop: Header=BB34_4 Depth=1
	s_wait_xcnt 0x0
	s_or_b32 exec_lo, exec_lo, s22
	v_dual_mov_b32 v4, 0 :: v_dual_mov_b32 v8, 0
	v_mov_b32_e32 v9, 0
	s_wait_loadcnt_dscnt 0x0
	ds_store_b64 v10, v[6:7] offset:2112
	s_and_saveexec_b32 s22, s4
	s_cbranch_execz .LBB34_19
; %bb.18:                               ;   in Loop: Header=BB34_4 Depth=1
	v_lshl_add_u64 v[6:7], s[58:59], 3, v[0:1]
	flat_load_b64 v[8:9], v[6:7]
.LBB34_19:                              ;   in Loop: Header=BB34_4 Depth=1
	s_wait_xcnt 0x0
	s_or_b32 exec_lo, exec_lo, s22
	v_mov_b32_e32 v5, 0
	s_wait_loadcnt_dscnt 0x0
	ds_store_b64 v10, v[8:9] offset:4224
	s_and_saveexec_b32 s22, s5
	s_cbranch_execz .LBB34_21
; %bb.20:                               ;   in Loop: Header=BB34_4 Depth=1
	v_lshl_add_u64 v[4:5], s[60:61], 3, v[0:1]
	flat_load_b64 v[4:5], v[4:5]
.LBB34_21:                              ;   in Loop: Header=BB34_4 Depth=1
	s_wait_xcnt 0x0
	s_or_b32 exec_lo, exec_lo, s22
	v_lshlrev_b32_e32 v64, 3, v56
	s_mov_b32 s22, 0
	s_wait_loadcnt_dscnt 0x0
	ds_store_b64 v10, v[4:5] offset:6336
	v_add_nc_u64_e32 v[0:1], v[0:1], v[64:65]
	s_delay_alu instid0(VALU_DEP_1) | instskip(NEXT) | instid1(VALU_DEP_1)
	v_lshl_add_u64 v[0:1], s[66:67], 3, v[0:1]
	v_add_nc_u64_e32 v[0:1], 8, v[0:1]
	s_delay_alu instid0(VALU_DEP_1)
	v_dual_cndmask_b32 v1, v1, v3, s1 :: v_dual_cndmask_b32 v0, v0, v2, s1
.LBB34_22:                              ;   in Loop: Header=BB34_4 Depth=1
	v_add_nc_u32_e32 v16, v196, v197
	s_and_b32 vcc_lo, exec_lo, s22
	s_cbranch_vccz .LBB34_24
; %bb.23:                               ;   in Loop: Header=BB34_4 Depth=1
	v_lshl_add_u64 v[0:1], s[56:57], 3, v[2:3]
	s_delay_alu instid0(VALU_DEP_1) | instskip(NEXT) | instid1(VALU_DEP_1)
	v_add_nc_u64_e32 v[4:5], s[68:69], v[0:1]
	v_add_nc_u64_e32 v[6:7], s[68:69], v[4:5]
	s_clause 0x3
	flat_load_b64 v[8:9], v[2:3]
	flat_load_b64 v[10:11], v[0:1]
	;; [unrolled: 1-line block ×4, first 2 shown]
	s_wait_xcnt 0x2
	v_mov_b64_e32 v[0:1], v[2:3]
	s_wait_loadcnt_dscnt 0x303
	ds_store_b64 v16, v[8:9]
	s_wait_loadcnt_dscnt 0x203
	ds_store_b64 v16, v[10:11] offset:2112
	s_wait_loadcnt_dscnt 0x103
	ds_store_b64 v16, v[4:5] offset:4224
	;; [unrolled: 2-line block ×3, first 2 shown]
.LBB34_24:                              ;   in Loop: Header=BB34_4 Depth=1
	s_mov_b32 s22, 0
	s_wait_dscnt 0x0
	s_barrier_signal -1
	s_barrier_wait -1
	s_wait_xcnt 0x0
	s_and_saveexec_b32 s23, s6
	s_delay_alu instid0(SALU_CYCLE_1)
	s_xor_b32 s23, exec_lo, s23
; %bb.25:                               ;   in Loop: Header=BB34_4 Depth=1
	s_and_b32 s22, s7, exec_lo
; %bb.26:                               ;   in Loop: Header=BB34_4 Depth=1
	s_or_saveexec_b32 s23, s23
	v_dual_mov_b32 v2, 0 :: v_dual_mov_b32 v3, v215
	s_xor_b32 exec_lo, exec_lo, s23
	s_cbranch_execz .LBB34_28
; %bb.27:                               ;   in Loop: Header=BB34_4 Depth=1
	ds_load_b64 v[4:5], v212
	v_mov_b32_e32 v3, v198
	s_or_b32 s22, s22, exec_lo
	s_wait_dscnt 0x0
	v_xor_b32_e32 v2, 0x80000000, v5
	ds_store_b32 v198, v4
.LBB34_28:                              ;   in Loop: Header=BB34_4 Depth=1
	s_or_b32 exec_lo, exec_lo, s23
	s_and_saveexec_b32 s23, s22
; %bb.29:                               ;   in Loop: Header=BB34_4 Depth=1
	ds_store_b32 v3, v2 offset:4
; %bb.30:                               ;   in Loop: Header=BB34_4 Depth=1
	s_or_b32 exec_lo, exec_lo, s23
	s_mov_b32 s22, 0
                                        ; implicit-def: $vgpr2
	s_and_saveexec_b32 s23, s8
	s_delay_alu instid0(SALU_CYCLE_1)
	s_xor_b32 s23, exec_lo, s23
	s_cbranch_execnz .LBB34_160
; %bb.31:                               ;   in Loop: Header=BB34_4 Depth=1
	s_or_saveexec_b32 s23, s23
	v_mov_b32_e32 v3, v216
	s_xor_b32 exec_lo, exec_lo, s23
	s_cbranch_execnz .LBB34_161
.LBB34_32:                              ;   in Loop: Header=BB34_4 Depth=1
	s_or_b32 exec_lo, exec_lo, s23
	s_and_saveexec_b32 s23, s22
.LBB34_33:                              ;   in Loop: Header=BB34_4 Depth=1
	ds_store_b32 v3, v2 offset:4
.LBB34_34:                              ;   in Loop: Header=BB34_4 Depth=1
	s_or_b32 exec_lo, exec_lo, s23
	s_mov_b32 s22, 0
	s_and_saveexec_b32 s23, s10
	s_delay_alu instid0(SALU_CYCLE_1)
	s_xor_b32 s23, exec_lo, s23
; %bb.35:                               ;   in Loop: Header=BB34_4 Depth=1
	s_and_b32 s22, s11, exec_lo
; %bb.36:                               ;   in Loop: Header=BB34_4 Depth=1
	s_or_saveexec_b32 s23, s23
	v_dual_mov_b32 v2, 0 :: v_dual_mov_b32 v3, v215
	s_xor_b32 exec_lo, exec_lo, s23
	s_cbranch_execz .LBB34_38
; %bb.37:                               ;   in Loop: Header=BB34_4 Depth=1
	ds_load_b64 v[4:5], v213 offset:264
	v_mov_b32_e32 v3, v217
	s_or_b32 s22, s22, exec_lo
	s_wait_dscnt 0x0
	v_xor_b32_e32 v2, 0x80000000, v5
	ds_store_b32 v217, v4
.LBB34_38:                              ;   in Loop: Header=BB34_4 Depth=1
	s_or_b32 exec_lo, exec_lo, s23
	s_and_saveexec_b32 s23, s22
; %bb.39:                               ;   in Loop: Header=BB34_4 Depth=1
	ds_store_b32 v3, v2 offset:4
; %bb.40:                               ;   in Loop: Header=BB34_4 Depth=1
	s_or_b32 exec_lo, exec_lo, s23
	s_mov_b32 s22, 0
	s_and_saveexec_b32 s23, s12
	s_delay_alu instid0(SALU_CYCLE_1)
	s_xor_b32 s23, exec_lo, s23
; %bb.41:                               ;   in Loop: Header=BB34_4 Depth=1
	s_and_b32 s22, s13, exec_lo
; %bb.42:                               ;   in Loop: Header=BB34_4 Depth=1
	s_or_saveexec_b32 s23, s23
	v_dual_mov_b32 v2, 0 :: v_dual_mov_b32 v3, v215
	s_xor_b32 exec_lo, exec_lo, s23
	s_cbranch_execz .LBB34_44
; %bb.43:                               ;   in Loop: Header=BB34_4 Depth=1
	ds_load_b64 v[4:5], v213 offset:528
	v_mov_b32_e32 v3, v218
	s_or_b32 s22, s22, exec_lo
	s_wait_dscnt 0x0
	v_xor_b32_e32 v2, 0x80000000, v5
	ds_store_b32 v218, v4
.LBB34_44:                              ;   in Loop: Header=BB34_4 Depth=1
	s_or_b32 exec_lo, exec_lo, s23
	s_and_saveexec_b32 s23, s22
; %bb.45:                               ;   in Loop: Header=BB34_4 Depth=1
	ds_store_b32 v3, v2 offset:4
; %bb.46:                               ;   in Loop: Header=BB34_4 Depth=1
	s_or_b32 exec_lo, exec_lo, s23
	s_wait_dscnt 0x0
	s_barrier_signal -1
	s_barrier_wait -1
	ds_load_b64 v[10:11], v212
	ds_load_b128 v[2:5], v200
	ds_load_2addr_b64 v[6:9], v213 offset1:33
	ds_load_b128 v[18:21], v200 offset:16
	ds_load_b64 v[14:15], v213 offset:528
	v_mov_b64_e32 v[112:113], 0
	s_wait_dscnt 0x0
	s_barrier_signal -1
	s_barrier_wait -1
	v_pk_mul_f32 v[22:23], v[2:3], v[10:11] op_sel:[1,1] op_sel_hi:[0,1]
	v_dual_mov_b32 v24, v5 :: v_dual_mov_b32 v25, v4
	v_pk_mul_f32 v[26:27], v[18:19], v[8:9] op_sel:[1,1] op_sel_hi:[0,1]
	v_dual_mov_b32 v30, v21 :: v_dual_mov_b32 v31, v20
	s_delay_alu instid0(VALU_DEP_4) | instskip(NEXT) | instid1(VALU_DEP_4)
	v_pk_fma_f32 v[28:29], v[2:3], v[10:11], v[22:23] op_sel_hi:[1,0,1]
	v_pk_mul_f32 v[24:25], v[24:25], v[6:7] op_sel:[0,1]
	v_pk_fma_f32 v[2:3], v[2:3], v[10:11], v[22:23] neg_lo:[0,0,1] neg_hi:[0,0,1]
	v_pk_fma_f32 v[22:23], v[18:19], v[8:9], v[26:27] op_sel_hi:[1,0,1]
	s_delay_alu instid0(VALU_DEP_3)
	v_pk_fma_f32 v[10:11], v[4:5], v[6:7], v[24:25] op_sel_hi:[1,0,1]
	v_mov_b32_e32 v3, v29
	v_pk_fma_f32 v[4:5], v[4:5], v[6:7], v[24:25] neg_lo:[0,0,1] neg_hi:[0,0,1]
	v_pk_mul_f32 v[28:29], v[30:31], v[14:15] op_sel:[0,1]
	v_pk_fma_f32 v[6:7], v[18:19], v[8:9], v[26:27] neg_lo:[0,0,1] neg_hi:[0,0,1]
	v_mov_b32_e32 v5, v11
	v_pk_add_f32 v[2:3], v[2:3], 0 op_sel_hi:[1,0]
	s_delay_alu instid0(VALU_DEP_4) | instskip(SKIP_1) | instid1(VALU_DEP_3)
	v_pk_fma_f32 v[8:9], v[20:21], v[14:15], v[28:29] op_sel_hi:[1,0,1]
	v_mov_b32_e32 v7, v23
	v_pk_add_f32 v[2:3], v[2:3], v[4:5]
	v_pk_fma_f32 v[4:5], v[20:21], v[14:15], v[28:29] neg_lo:[0,0,1] neg_hi:[0,0,1]
	s_delay_alu instid0(VALU_DEP_4) | instskip(NEXT) | instid1(VALU_DEP_3)
	v_mov_b32_e32 v5, v9
	v_pk_add_f32 v[2:3], v[2:3], v[6:7]
	s_delay_alu instid0(VALU_DEP_1)
	v_pk_add_f32 v[2:3], v[2:3], v[4:5]
	ds_store_b64 v201, v[2:3]
	s_wait_dscnt 0x0
	s_barrier_signal -1
	s_barrier_wait -1
	s_and_saveexec_b32 s22, s14
	s_cbranch_execz .LBB34_48
; %bb.47:                               ;   in Loop: Header=BB34_4 Depth=1
	ds_load_2addr_b64 v[2:5], v199 offset1:7
	ds_load_2addr_b64 v[6:9], v199 offset0:1 offset1:2
	ds_load_2addr_b64 v[18:21], v199 offset0:3 offset1:4
	;; [unrolled: 1-line block ×3, first 2 shown]
	s_wait_dscnt 0x2
	v_dual_add_f32 v2, v6, v2 :: v_dual_add_f32 v3, v7, v3
	s_delay_alu instid0(VALU_DEP_1) | instskip(SKIP_1) | instid1(VALU_DEP_1)
	v_dual_add_f32 v2, v8, v2 :: v_dual_add_f32 v3, v9, v3
	s_wait_dscnt 0x1
	v_dual_add_f32 v2, v2, v18 :: v_dual_add_f32 v3, v3, v19
	s_delay_alu instid0(VALU_DEP_1) | instskip(SKIP_1) | instid1(VALU_DEP_1)
	v_dual_add_f32 v2, v2, v20 :: v_dual_add_f32 v3, v3, v21
	s_wait_dscnt 0x0
	v_dual_add_f32 v2, v2, v22 :: v_dual_add_f32 v3, v3, v23
	s_delay_alu instid0(VALU_DEP_1) | instskip(NEXT) | instid1(VALU_DEP_1)
	v_dual_add_f32 v2, v2, v24 :: v_dual_add_f32 v3, v3, v25
	v_pk_add_f32 v[112:113], v[2:3], v[4:5]
.LBB34_48:                              ;   in Loop: Header=BB34_4 Depth=1
	s_or_b32 exec_lo, exec_lo, s22
	v_lshl_add_u64 v[4:5], s[62:63], 3, v[0:1]
	s_and_b32 vcc_lo, exec_lo, s81
	s_mov_b32 s22, -1
	s_barrier_signal -1
	s_delay_alu instid0(VALU_DEP_1)
	v_add_nc_u64_e32 v[2:3], 0x100, v[4:5]
	s_barrier_wait -1
                                        ; implicit-def: $vgpr0_vgpr1
	s_cbranch_vccz .LBB34_58
; %bb.49:                               ;   in Loop: Header=BB34_4 Depth=1
	v_lshl_add_u64 v[0:1], v[102:103], 3, v[4:5]
	v_dual_mov_b32 v8, 0 :: v_dual_mov_b32 v6, 0
	v_mov_b32_e32 v7, 0
	s_delay_alu instid0(VALU_DEP_3) | instskip(NEXT) | instid1(VALU_DEP_1)
	v_lshl_add_u64 v[0:1], s[48:49], 3, v[0:1]
	v_add_nc_u64_e32 v[0:1], -8, v[0:1]
	s_delay_alu instid0(VALU_DEP_1)
	v_dual_cndmask_b32 v1, v1, v3, s15 :: v_dual_cndmask_b32 v0, v0, v2, s15
	s_and_saveexec_b32 s22, s16
	s_cbranch_execz .LBB34_51
; %bb.50:                               ;   in Loop: Header=BB34_4 Depth=1
	flat_load_b64 v[6:7], v[0:1]
.LBB34_51:                              ;   in Loop: Header=BB34_4 Depth=1
	s_wait_xcnt 0x0
	s_or_b32 exec_lo, exec_lo, s22
	v_mov_b32_e32 v9, 0
	s_wait_loadcnt_dscnt 0x0
	ds_store_b64 v16, v[6:7]
	s_and_saveexec_b32 s22, s17
	s_cbranch_execz .LBB34_53
; %bb.52:                               ;   in Loop: Header=BB34_4 Depth=1
	v_lshl_add_u64 v[6:7], s[56:57], 3, v[0:1]
	flat_load_b64 v[8:9], v[6:7]
.LBB34_53:                              ;   in Loop: Header=BB34_4 Depth=1
	s_wait_xcnt 0x0
	s_or_b32 exec_lo, exec_lo, s22
	v_dual_mov_b32 v6, 0 :: v_dual_mov_b32 v10, 0
	v_mov_b32_e32 v11, 0
	s_wait_loadcnt_dscnt 0x0
	ds_store_b64 v16, v[8:9] offset:2112
	s_and_saveexec_b32 s22, s18
	s_cbranch_execz .LBB34_55
; %bb.54:                               ;   in Loop: Header=BB34_4 Depth=1
	v_lshl_add_u64 v[8:9], s[58:59], 3, v[0:1]
	flat_load_b64 v[10:11], v[8:9]
.LBB34_55:                              ;   in Loop: Header=BB34_4 Depth=1
	s_wait_xcnt 0x0
	s_or_b32 exec_lo, exec_lo, s22
	v_mov_b32_e32 v7, 0
	s_wait_loadcnt_dscnt 0x0
	ds_store_b64 v16, v[10:11] offset:4224
	s_and_saveexec_b32 s22, s19
	s_cbranch_execz .LBB34_57
; %bb.56:                               ;   in Loop: Header=BB34_4 Depth=1
	v_lshl_add_u64 v[6:7], s[60:61], 3, v[0:1]
	flat_load_b64 v[6:7], v[6:7]
.LBB34_57:                              ;   in Loop: Header=BB34_4 Depth=1
	s_wait_xcnt 0x0
	s_or_b32 exec_lo, exec_lo, s22
	v_lshlrev_b32_e32 v64, 3, v56
	s_mov_b32 s22, 0
	s_wait_loadcnt_dscnt 0x0
	ds_store_b64 v16, v[6:7] offset:6336
	v_add_nc_u64_e32 v[0:1], v[0:1], v[64:65]
	s_delay_alu instid0(VALU_DEP_1) | instskip(NEXT) | instid1(VALU_DEP_1)
	v_lshl_add_u64 v[0:1], s[66:67], 3, v[0:1]
	v_add_nc_u64_e32 v[0:1], 0x108, v[0:1]
	s_delay_alu instid0(VALU_DEP_1)
	v_dual_cndmask_b32 v1, v1, v3, s15 :: v_dual_cndmask_b32 v0, v0, v2, s15
.LBB34_58:                              ;   in Loop: Header=BB34_4 Depth=1
	s_and_b32 vcc_lo, exec_lo, s22
	s_cbranch_vccz .LBB34_60
; %bb.59:                               ;   in Loop: Header=BB34_4 Depth=1
	v_lshl_add_u64 v[0:1], s[56:57], 3, v[4:5]
	s_delay_alu instid0(VALU_DEP_1) | instskip(NEXT) | instid1(VALU_DEP_1)
	v_add_nc_u64_e32 v[6:7], s[68:69], v[0:1]
	v_add_nc_u64_e32 v[8:9], s[68:69], v[6:7]
	s_clause 0x3
	flat_load_b64 v[4:5], v[4:5] offset:256
	flat_load_b64 v[10:11], v[0:1] offset:256
	;; [unrolled: 1-line block ×4, first 2 shown]
	s_wait_xcnt 0x2
	v_mov_b64_e32 v[0:1], v[2:3]
	s_wait_loadcnt_dscnt 0x303
	ds_store_b64 v16, v[4:5]
	s_wait_loadcnt_dscnt 0x203
	ds_store_b64 v16, v[10:11] offset:2112
	s_wait_loadcnt_dscnt 0x103
	ds_store_b64 v16, v[6:7] offset:4224
	;; [unrolled: 2-line block ×3, first 2 shown]
.LBB34_60:                              ;   in Loop: Header=BB34_4 Depth=1
	s_mov_b32 s22, 0
	s_wait_dscnt 0x0
	s_barrier_signal -1
	s_barrier_wait -1
	s_wait_xcnt 0x0
	s_and_saveexec_b32 s23, s6
	s_delay_alu instid0(SALU_CYCLE_1)
	s_xor_b32 s23, exec_lo, s23
; %bb.61:                               ;   in Loop: Header=BB34_4 Depth=1
	s_and_b32 s22, s7, exec_lo
; %bb.62:                               ;   in Loop: Header=BB34_4 Depth=1
	s_or_saveexec_b32 s23, s23
	v_dual_mov_b32 v2, 0 :: v_dual_mov_b32 v3, v215
	s_xor_b32 exec_lo, exec_lo, s23
	s_cbranch_execz .LBB34_64
; %bb.63:                               ;   in Loop: Header=BB34_4 Depth=1
	ds_load_b64 v[4:5], v212
	v_mov_b32_e32 v3, v198
	s_or_b32 s22, s22, exec_lo
	s_wait_dscnt 0x0
	v_xor_b32_e32 v2, 0x80000000, v5
	ds_store_b32 v198, v4
.LBB34_64:                              ;   in Loop: Header=BB34_4 Depth=1
	s_or_b32 exec_lo, exec_lo, s23
	s_and_saveexec_b32 s23, s22
; %bb.65:                               ;   in Loop: Header=BB34_4 Depth=1
	ds_store_b32 v3, v2 offset:4
; %bb.66:                               ;   in Loop: Header=BB34_4 Depth=1
	s_or_b32 exec_lo, exec_lo, s23
	s_mov_b32 s22, 0
                                        ; implicit-def: $vgpr2
	s_and_saveexec_b32 s23, s8
	s_delay_alu instid0(SALU_CYCLE_1)
	s_xor_b32 s23, exec_lo, s23
	s_cbranch_execnz .LBB34_162
; %bb.67:                               ;   in Loop: Header=BB34_4 Depth=1
	s_or_saveexec_b32 s23, s23
	v_mov_b32_e32 v3, v216
	s_xor_b32 exec_lo, exec_lo, s23
	s_cbranch_execnz .LBB34_163
.LBB34_68:                              ;   in Loop: Header=BB34_4 Depth=1
	s_or_b32 exec_lo, exec_lo, s23
	s_and_saveexec_b32 s23, s22
.LBB34_69:                              ;   in Loop: Header=BB34_4 Depth=1
	ds_store_b32 v3, v2 offset:4
.LBB34_70:                              ;   in Loop: Header=BB34_4 Depth=1
	s_or_b32 exec_lo, exec_lo, s23
	s_mov_b32 s22, 0
	s_and_saveexec_b32 s23, s10
	s_delay_alu instid0(SALU_CYCLE_1)
	s_xor_b32 s23, exec_lo, s23
; %bb.71:                               ;   in Loop: Header=BB34_4 Depth=1
	s_and_b32 s22, s11, exec_lo
; %bb.72:                               ;   in Loop: Header=BB34_4 Depth=1
	s_or_saveexec_b32 s23, s23
	v_dual_mov_b32 v2, 0 :: v_dual_mov_b32 v3, v215
	s_xor_b32 exec_lo, exec_lo, s23
	s_cbranch_execz .LBB34_74
; %bb.73:                               ;   in Loop: Header=BB34_4 Depth=1
	ds_load_b64 v[4:5], v213 offset:264
	v_mov_b32_e32 v3, v217
	s_or_b32 s22, s22, exec_lo
	s_wait_dscnt 0x0
	v_xor_b32_e32 v2, 0x80000000, v5
	ds_store_b32 v217, v4
.LBB34_74:                              ;   in Loop: Header=BB34_4 Depth=1
	s_or_b32 exec_lo, exec_lo, s23
	s_and_saveexec_b32 s23, s22
; %bb.75:                               ;   in Loop: Header=BB34_4 Depth=1
	ds_store_b32 v3, v2 offset:4
; %bb.76:                               ;   in Loop: Header=BB34_4 Depth=1
	s_or_b32 exec_lo, exec_lo, s23
	s_mov_b32 s22, 0
	s_and_saveexec_b32 s23, s12
	s_delay_alu instid0(SALU_CYCLE_1)
	s_xor_b32 s23, exec_lo, s23
; %bb.77:                               ;   in Loop: Header=BB34_4 Depth=1
	s_and_b32 s22, s13, exec_lo
; %bb.78:                               ;   in Loop: Header=BB34_4 Depth=1
	s_or_saveexec_b32 s23, s23
	v_dual_mov_b32 v2, 0 :: v_dual_mov_b32 v3, v215
	s_xor_b32 exec_lo, exec_lo, s23
	s_cbranch_execz .LBB34_80
; %bb.79:                               ;   in Loop: Header=BB34_4 Depth=1
	ds_load_b64 v[4:5], v213 offset:528
	v_mov_b32_e32 v3, v218
	s_or_b32 s22, s22, exec_lo
	s_wait_dscnt 0x0
	v_xor_b32_e32 v2, 0x80000000, v5
	ds_store_b32 v218, v4
.LBB34_80:                              ;   in Loop: Header=BB34_4 Depth=1
	s_or_b32 exec_lo, exec_lo, s23
	s_and_saveexec_b32 s23, s22
; %bb.81:                               ;   in Loop: Header=BB34_4 Depth=1
	ds_store_b32 v3, v2 offset:4
; %bb.82:                               ;   in Loop: Header=BB34_4 Depth=1
	s_or_b32 exec_lo, exec_lo, s23
	s_wait_dscnt 0x0
	s_barrier_signal -1
	s_barrier_wait -1
	ds_load_b64 v[10:11], v212
	ds_load_b128 v[2:5], v200 offset:256
	ds_load_2addr_b64 v[6:9], v213 offset1:33
	ds_load_b128 v[18:21], v200 offset:272
	ds_load_b64 v[14:15], v213 offset:528
	s_wait_dscnt 0x0
	s_barrier_signal -1
	s_barrier_wait -1
	v_pk_mul_f32 v[22:23], v[2:3], v[10:11] op_sel:[1,1] op_sel_hi:[0,1]
	v_dual_mov_b32 v24, v5 :: v_dual_mov_b32 v25, v4
	v_pk_mul_f32 v[26:27], v[18:19], v[8:9] op_sel:[1,1] op_sel_hi:[0,1]
	v_dual_mov_b32 v30, v21 :: v_dual_mov_b32 v31, v20
	s_delay_alu instid0(VALU_DEP_4) | instskip(NEXT) | instid1(VALU_DEP_4)
	v_pk_fma_f32 v[28:29], v[2:3], v[10:11], v[22:23] op_sel_hi:[1,0,1]
	v_pk_mul_f32 v[24:25], v[24:25], v[6:7] op_sel:[0,1]
	v_pk_fma_f32 v[2:3], v[2:3], v[10:11], v[22:23] neg_lo:[0,0,1] neg_hi:[0,0,1]
	v_pk_fma_f32 v[22:23], v[18:19], v[8:9], v[26:27] op_sel_hi:[1,0,1]
	s_delay_alu instid0(VALU_DEP_3)
	v_pk_fma_f32 v[10:11], v[4:5], v[6:7], v[24:25] op_sel_hi:[1,0,1]
	v_mov_b32_e32 v3, v29
	v_pk_fma_f32 v[4:5], v[4:5], v[6:7], v[24:25] neg_lo:[0,0,1] neg_hi:[0,0,1]
	v_pk_mul_f32 v[28:29], v[30:31], v[14:15] op_sel:[0,1]
	v_pk_fma_f32 v[6:7], v[18:19], v[8:9], v[26:27] neg_lo:[0,0,1] neg_hi:[0,0,1]
	v_mov_b32_e32 v5, v11
	v_pk_add_f32 v[2:3], v[2:3], 0 op_sel_hi:[1,0]
	s_delay_alu instid0(VALU_DEP_4) | instskip(SKIP_1) | instid1(VALU_DEP_3)
	v_pk_fma_f32 v[8:9], v[20:21], v[14:15], v[28:29] op_sel_hi:[1,0,1]
	v_mov_b32_e32 v7, v23
	v_pk_add_f32 v[2:3], v[2:3], v[4:5]
	v_pk_fma_f32 v[4:5], v[20:21], v[14:15], v[28:29] neg_lo:[0,0,1] neg_hi:[0,0,1]
	s_delay_alu instid0(VALU_DEP_4) | instskip(NEXT) | instid1(VALU_DEP_3)
	v_mov_b32_e32 v5, v9
	v_pk_add_f32 v[2:3], v[2:3], v[6:7]
	s_delay_alu instid0(VALU_DEP_1)
	v_pk_add_f32 v[2:3], v[2:3], v[4:5]
	ds_store_b64 v201, v[2:3]
	s_wait_dscnt 0x0
	s_barrier_signal -1
	s_barrier_wait -1
	s_and_saveexec_b32 s22, s20
	s_cbranch_execz .LBB34_84
; %bb.83:                               ;   in Loop: Header=BB34_4 Depth=1
	ds_load_2addr_b64 v[2:5], v199 offset1:7
	ds_load_2addr_b64 v[6:9], v199 offset0:1 offset1:2
	ds_load_2addr_b64 v[18:21], v199 offset0:3 offset1:4
	;; [unrolled: 1-line block ×3, first 2 shown]
	s_wait_dscnt 0x2
	v_dual_add_f32 v2, v6, v2 :: v_dual_add_f32 v3, v7, v3
	s_delay_alu instid0(VALU_DEP_1) | instskip(SKIP_1) | instid1(VALU_DEP_1)
	v_dual_add_f32 v2, v8, v2 :: v_dual_add_f32 v3, v9, v3
	s_wait_dscnt 0x1
	v_dual_add_f32 v2, v2, v18 :: v_dual_add_f32 v3, v3, v19
	s_delay_alu instid0(VALU_DEP_1) | instskip(SKIP_1) | instid1(VALU_DEP_1)
	v_dual_add_f32 v2, v2, v20 :: v_dual_add_f32 v3, v3, v21
	s_wait_dscnt 0x0
	v_dual_add_f32 v2, v2, v22 :: v_dual_add_f32 v3, v3, v23
	s_delay_alu instid0(VALU_DEP_1) | instskip(NEXT) | instid1(VALU_DEP_1)
	v_pk_add_f32 v[2:3], v[2:3], v[24:25]
	v_pk_add_f32 v[112:113], v[2:3], v[4:5]
.LBB34_84:                              ;   in Loop: Header=BB34_4 Depth=1
	s_or_b32 exec_lo, exec_lo, s22
	v_add_nc_u64_e32 v[2:3], s[72:73], v[0:1]
	s_and_b32 vcc_lo, exec_lo, s81
	s_mov_b32 s22, -1
	s_barrier_signal -1
	s_barrier_wait -1
                                        ; implicit-def: $vgpr14_vgpr15
	s_cbranch_vccz .LBB34_94
; %bb.85:                               ;   in Loop: Header=BB34_4 Depth=1
	v_lshl_add_u64 v[4:5], v[102:103], 3, v[0:1]
	v_dual_mov_b32 v8, 0 :: v_dual_mov_b32 v6, 0
	v_mov_b32_e32 v7, 0
	s_delay_alu instid0(VALU_DEP_3) | instskip(NEXT) | instid1(VALU_DEP_1)
	v_lshl_add_u64 v[4:5], s[48:49], 3, v[4:5]
	v_add_nc_u64_e32 v[4:5], s[74:75], v[4:5]
	s_delay_alu instid0(VALU_DEP_1)
	v_dual_cndmask_b32 v5, v5, v3, s1 :: v_dual_cndmask_b32 v4, v4, v2, s1
	s_and_saveexec_b32 s22, s16
	s_cbranch_execz .LBB34_87
; %bb.86:                               ;   in Loop: Header=BB34_4 Depth=1
	flat_load_b64 v[6:7], v[4:5]
.LBB34_87:                              ;   in Loop: Header=BB34_4 Depth=1
	s_wait_xcnt 0x0
	s_or_b32 exec_lo, exec_lo, s22
	v_mov_b32_e32 v9, 0
	s_wait_loadcnt_dscnt 0x0
	ds_store_b64 v16, v[6:7]
	s_and_saveexec_b32 s22, s17
	s_cbranch_execz .LBB34_89
; %bb.88:                               ;   in Loop: Header=BB34_4 Depth=1
	v_lshl_add_u64 v[6:7], s[56:57], 3, v[4:5]
	flat_load_b64 v[8:9], v[6:7]
.LBB34_89:                              ;   in Loop: Header=BB34_4 Depth=1
	s_wait_xcnt 0x0
	s_or_b32 exec_lo, exec_lo, s22
	v_dual_mov_b32 v6, 0 :: v_dual_mov_b32 v10, 0
	v_mov_b32_e32 v11, 0
	s_wait_loadcnt_dscnt 0x0
	ds_store_b64 v16, v[8:9] offset:2112
	s_and_saveexec_b32 s22, s18
	s_cbranch_execz .LBB34_91
; %bb.90:                               ;   in Loop: Header=BB34_4 Depth=1
	v_lshl_add_u64 v[8:9], s[58:59], 3, v[4:5]
	flat_load_b64 v[10:11], v[8:9]
.LBB34_91:                              ;   in Loop: Header=BB34_4 Depth=1
	s_wait_xcnt 0x0
	s_or_b32 exec_lo, exec_lo, s22
	v_mov_b32_e32 v7, 0
	s_wait_loadcnt_dscnt 0x0
	ds_store_b64 v16, v[10:11] offset:4224
	s_and_saveexec_b32 s22, s19
	s_cbranch_execz .LBB34_93
; %bb.92:                               ;   in Loop: Header=BB34_4 Depth=1
	v_lshl_add_u64 v[6:7], s[60:61], 3, v[4:5]
	flat_load_b64 v[6:7], v[6:7]
.LBB34_93:                              ;   in Loop: Header=BB34_4 Depth=1
	s_wait_xcnt 0x0
	s_or_b32 exec_lo, exec_lo, s22
	v_lshlrev_b32_e32 v64, 3, v56
	s_mov_b32 s22, 0
	s_wait_loadcnt_dscnt 0x0
	ds_store_b64 v16, v[6:7] offset:6336
	v_add_nc_u64_e32 v[4:5], v[4:5], v[64:65]
	s_delay_alu instid0(VALU_DEP_1) | instskip(NEXT) | instid1(VALU_DEP_1)
	v_lshl_add_u64 v[4:5], s[66:67], 3, v[4:5]
	v_add_nc_u64_e32 v[4:5], 8, v[4:5]
	s_delay_alu instid0(VALU_DEP_1)
	v_dual_cndmask_b32 v15, v5, v3, s1 :: v_dual_cndmask_b32 v14, v4, v2, s1
.LBB34_94:                              ;   in Loop: Header=BB34_4 Depth=1
	s_and_b32 vcc_lo, exec_lo, s22
	s_cbranch_vccz .LBB34_96
; %bb.95:                               ;   in Loop: Header=BB34_4 Depth=1
	v_lshl_add_u64 v[4:5], s[56:57], 3, v[0:1]
	v_mov_b64_e32 v[14:15], v[2:3]
	s_delay_alu instid0(VALU_DEP_2) | instskip(NEXT) | instid1(VALU_DEP_1)
	v_add_nc_u64_e32 v[6:7], s[68:69], v[4:5]
	v_add_nc_u64_e32 v[8:9], s[68:69], v[6:7]
	s_clause 0x3
	flat_load_b64 v[0:1], v[0:1] offset:-256
	flat_load_b64 v[4:5], v[4:5] offset:-256
	;; [unrolled: 1-line block ×4, first 2 shown]
	s_wait_loadcnt_dscnt 0x303
	ds_store_b64 v16, v[0:1]
	s_wait_loadcnt_dscnt 0x203
	ds_store_b64 v16, v[4:5] offset:2112
	s_wait_loadcnt_dscnt 0x103
	ds_store_b64 v16, v[6:7] offset:4224
	;; [unrolled: 2-line block ×3, first 2 shown]
.LBB34_96:                              ;   in Loop: Header=BB34_4 Depth=1
	s_wait_xcnt 0x3
	v_dual_add_nc_u32 v0, v198, v203 :: v_dual_add_nc_u32 v1, v200, v203
	s_wait_dscnt 0x0
	s_barrier_signal -1
	s_barrier_wait -1
	s_wait_xcnt 0x2
	ds_load_b64 v[4:5], v0
	s_wait_xcnt 0x1
	ds_load_b64 v[6:7], v1
	ds_load_2addr_b64 v[20:23], v201 offset0:8 offset1:16
	ds_load_2addr_b64 v[24:27], v210 offset0:8 offset1:16
	ds_load_b64 v[28:29], v201 offset:192
	ds_load_b64 v[30:31], v210 offset:192
	ds_load_2addr_b64 v[0:3], v213 offset1:33
	ds_load_b64 v[18:19], v212
	ds_load_b64 v[16:17], v213 offset:528
	s_wait_dscnt 0x7
	s_wait_xcnt 0x0
	v_pk_mul_f32 v[8:9], v[4:5], v[6:7] op_sel:[1,1] op_sel_hi:[1,0]
	s_wait_dscnt 0x5
	v_pk_mul_f32 v[10:11], v[20:21], v[24:25] op_sel:[1,1] op_sel_hi:[1,0]
	v_pk_mul_f32 v[34:35], v[22:23], v[26:27] op_sel:[1,1] op_sel_hi:[1,0]
	s_delay_alu instid0(VALU_DEP_3) | instskip(SKIP_1) | instid1(VALU_DEP_4)
	v_pk_fma_f32 v[32:33], v[4:5], v[6:7], v[8:9] op_sel_hi:[0,1,1] neg_lo:[0,0,1] neg_hi:[0,0,1]
	v_pk_fma_f32 v[4:5], v[4:5], v[6:7], v[8:9]
	v_pk_fma_f32 v[36:37], v[20:21], v[24:25], v[10:11] op_sel_hi:[0,1,1] neg_lo:[0,0,1] neg_hi:[0,0,1]
	v_pk_fma_f32 v[20:21], v[20:21], v[24:25], v[10:11]
	v_pk_fma_f32 v[24:25], v[22:23], v[26:27], v[34:35] op_sel_hi:[0,1,1] neg_lo:[0,0,1] neg_hi:[0,0,1]
	v_mov_b32_e32 v5, v33
	s_wait_dscnt 0x3
	v_pk_mul_f32 v[32:33], v[28:29], v[30:31] op_sel:[1,1] op_sel_hi:[1,0]
	v_mov_b32_e32 v21, v37
	v_pk_fma_f32 v[22:23], v[22:23], v[26:27], v[34:35]
	v_mov_b32_e32 v23, v25
	v_pk_add_f32 v[36:37], v[4:5], 0 op_sel_hi:[1,0]
	ds_load_b128 v[8:11], v200 offset:256
	ds_load_b128 v[4:7], v200 offset:272
	v_pk_fma_f32 v[24:25], v[28:29], v[30:31], v[32:33] op_sel_hi:[0,1,1] neg_lo:[0,0,1] neg_hi:[0,0,1]
	v_pk_fma_f32 v[26:27], v[28:29], v[30:31], v[32:33]
	s_wait_dscnt 0x0
	v_pk_add_f32 v[20:21], v[36:37], v[20:21]
	s_barrier_signal -1
	v_mov_b32_e32 v27, v25
	s_barrier_wait -1
	s_delay_alu instid0(VALU_DEP_2) | instskip(NEXT) | instid1(VALU_DEP_1)
	v_pk_add_f32 v[20:21], v[20:21], v[22:23]
	v_pk_add_f32 v[20:21], v[20:21], v[26:27]
	ds_store_b64 v201, v[20:21]
	s_wait_dscnt 0x0
	s_barrier_signal -1
	s_barrier_wait -1
	s_and_saveexec_b32 s22, s20
	s_cbranch_execz .LBB34_98
; %bb.97:                               ;   in Loop: Header=BB34_4 Depth=1
	ds_load_2addr_b64 v[20:23], v199 offset1:1
	ds_load_2addr_b64 v[24:27], v199 offset0:2 offset1:3
	ds_load_2addr_b64 v[28:31], v199 offset0:4 offset1:5
	s_wait_dscnt 0x2
	v_pk_add_f32 v[20:21], v[112:113], v[20:21]
	s_delay_alu instid0(VALU_DEP_1) | instskip(SKIP_1) | instid1(VALU_DEP_1)
	v_pk_add_f32 v[20:21], v[20:21], v[22:23]
	s_wait_dscnt 0x1
	v_pk_add_f32 v[24:25], v[20:21], v[24:25]
	ds_load_2addr_b64 v[20:23], v199 offset0:6 offset1:7
	v_pk_add_f32 v[24:25], v[24:25], v[26:27]
	s_wait_dscnt 0x1
	s_delay_alu instid0(VALU_DEP_1) | instskip(NEXT) | instid1(VALU_DEP_1)
	v_pk_add_f32 v[24:25], v[24:25], v[28:29]
	v_pk_add_f32 v[24:25], v[24:25], v[30:31]
	s_wait_dscnt 0x0
	s_delay_alu instid0(VALU_DEP_1) | instskip(NEXT) | instid1(VALU_DEP_1)
	v_pk_add_f32 v[20:21], v[24:25], v[20:21]
	v_pk_add_f32 v[112:113], v[20:21], v[22:23]
.LBB34_98:                              ;   in Loop: Header=BB34_4 Depth=1
	s_or_b32 exec_lo, exec_lo, s22
	v_pk_mul_f32 v[20:21], v[8:9], v[18:19] op_sel:[1,1] op_sel_hi:[0,1]
	v_dual_mov_b32 v22, v11 :: v_dual_mov_b32 v23, v10
	v_pk_mul_f32 v[24:25], v[4:5], v[2:3] op_sel:[1,1] op_sel_hi:[0,1]
	v_dual_mov_b32 v28, v7 :: v_dual_mov_b32 v29, v6
	s_delay_alu instid0(VALU_DEP_4) | instskip(NEXT) | instid1(VALU_DEP_4)
	v_pk_fma_f32 v[26:27], v[8:9], v[18:19], v[20:21] op_sel_hi:[1,0,1]
	v_pk_mul_f32 v[22:23], v[22:23], v[0:1] op_sel:[0,1]
	v_pk_fma_f32 v[8:9], v[8:9], v[18:19], v[20:21] neg_lo:[0,0,1] neg_hi:[0,0,1]
	v_pk_fma_f32 v[20:21], v[4:5], v[2:3], v[24:25] op_sel_hi:[1,0,1]
	v_pk_fma_f32 v[2:3], v[4:5], v[2:3], v[24:25] neg_lo:[0,0,1] neg_hi:[0,0,1]
	s_delay_alu instid0(VALU_DEP_4)
	v_pk_fma_f32 v[18:19], v[10:11], v[0:1], v[22:23] op_sel_hi:[1,0,1]
	v_mov_b32_e32 v9, v27
	v_pk_fma_f32 v[0:1], v[10:11], v[0:1], v[22:23] neg_lo:[0,0,1] neg_hi:[0,0,1]
	v_pk_mul_f32 v[26:27], v[28:29], v[16:17] op_sel:[0,1]
	s_barrier_signal -1
	v_mov_b32_e32 v1, v19
	v_pk_add_f32 v[8:9], v[8:9], 0 op_sel_hi:[1,0]
	s_barrier_wait -1
	v_pk_fma_f32 v[4:5], v[6:7], v[16:17], v[26:27] op_sel_hi:[1,0,1]
	v_mov_b32_e32 v3, v21
	v_pk_fma_f32 v[6:7], v[6:7], v[16:17], v[26:27] neg_lo:[0,0,1] neg_hi:[0,0,1]
	v_pk_add_f32 v[0:1], v[8:9], v[0:1]
	s_delay_alu instid0(VALU_DEP_4) | instskip(NEXT) | instid1(VALU_DEP_2)
	v_mov_b32_e32 v7, v5
	v_pk_add_f32 v[0:1], v[0:1], v[2:3]
	s_delay_alu instid0(VALU_DEP_1)
	v_pk_add_f32 v[0:1], v[0:1], v[6:7]
	ds_store_b64 v201, v[0:1]
	s_wait_dscnt 0x0
	s_barrier_signal -1
	s_barrier_wait -1
	s_and_saveexec_b32 s22, s14
	s_cbranch_execz .LBB34_100
; %bb.99:                               ;   in Loop: Header=BB34_4 Depth=1
	ds_load_2addr_b64 v[0:3], v199 offset1:1
	ds_load_2addr_b64 v[4:7], v199 offset0:2 offset1:3
	ds_load_2addr_b64 v[8:11], v199 offset0:4 offset1:5
	s_wait_dscnt 0x2
	v_pk_add_f32 v[0:1], v[112:113], v[0:1]
	s_delay_alu instid0(VALU_DEP_1) | instskip(SKIP_1) | instid1(VALU_DEP_1)
	v_pk_add_f32 v[0:1], v[0:1], v[2:3]
	s_wait_dscnt 0x1
	v_pk_add_f32 v[4:5], v[0:1], v[4:5]
	ds_load_2addr_b64 v[0:3], v199 offset0:6 offset1:7
	v_pk_add_f32 v[4:5], v[4:5], v[6:7]
	s_wait_dscnt 0x1
	s_delay_alu instid0(VALU_DEP_1) | instskip(NEXT) | instid1(VALU_DEP_1)
	v_pk_add_f32 v[4:5], v[4:5], v[8:9]
	v_pk_add_f32 v[4:5], v[4:5], v[10:11]
	s_wait_dscnt 0x0
	s_delay_alu instid0(VALU_DEP_1) | instskip(NEXT) | instid1(VALU_DEP_1)
	v_pk_add_f32 v[0:1], v[4:5], v[0:1]
	v_pk_add_f32 v[112:113], v[0:1], v[2:3]
.LBB34_100:                             ;   in Loop: Header=BB34_4 Depth=1
	s_or_b32 exec_lo, exec_lo, s22
	s_mul_u64 s[22:23], s[50:51], s[34:35]
	s_and_not1_b32 vcc_lo, exec_lo, s45
	s_lshl_b64 s[22:23], s[22:23], 3
	s_delay_alu instid0(SALU_CYCLE_1)
	s_add_nc_u64 s[22:23], s[52:53], s[22:23]
	s_barrier_signal -1
	s_barrier_wait -1
	s_cbranch_vccnz .LBB34_158
; %bb.101:                              ;   in Loop: Header=BB34_4 Depth=1
	v_add_nc_u64_e32 v[114:115], v[14:15], v[68:69]
	v_add_nc_u64_e32 v[116:117], v[14:15], v[70:71]
	;; [unrolled: 1-line block ×20, first 2 shown]
	v_lshl_add_u64 v[154:155], s[64:65], 3, v[12:13]
	v_mov_b32_e32 v235, v234
	s_mov_b32 s78, s85
	s_mov_b32 s86, s46
	s_delay_alu instid0(SALU_CYCLE_1)
	s_cmp_eq_u32 s47, s86
	s_cselect_b32 s87, s80, 0
	s_and_saveexec_b32 s88, s0
	s_cbranch_execz .LBB34_106
.LBB34_102:                             ;   in Loop: Header=BB34_4 Depth=1
	v_cmp_le_i32_e32 vcc_lo, s87, v194
	s_cmp_lg_u32 s87, 0
	s_cselect_b32 s79, -1, 0
	s_delay_alu instid0(SALU_CYCLE_1) | instskip(NEXT) | instid1(SALU_CYCLE_1)
	s_and_b32 s79, s79, vcc_lo
	s_and_saveexec_b32 s89, s79
	s_delay_alu instid0(SALU_CYCLE_1)
	s_xor_b32 s79, exec_lo, s89
; %bb.103:                              ;   in Loop: Header=BB34_4 Depth=1
	ds_store_b64 v219, v[110:111]
; %bb.104:                              ;   in Loop: Header=BB34_4 Depth=1
	s_and_not1_saveexec_b32 s79, s79
	s_cbranch_execz .LBB34_106
; %bb.105:                              ;   in Loop: Header=BB34_4 Depth=1
	s_ashr_i32 s79, s78, 31
	s_delay_alu instid0(SALU_CYCLE_1)
	v_lshl_add_u64 v[0:1], s[78:79], 3, v[154:155]
	flat_load_b64 v[0:1], v[0:1]
	s_wait_loadcnt_dscnt 0x0
	ds_store_b64 v219, v[0:1]
.LBB34_106:                             ;   Parent Loop BB34_4 Depth=1
                                        ; =>  This Inner Loop Header: Depth=2
	s_wait_xcnt 0x0
	s_or_b32 exec_lo, exec_lo, s88
	s_cmp_eq_u32 s87, 0
	v_add_nc_u64_e32 v[0:1], v[114:115], v[66:67]
	s_cselect_b32 s79, -1, 0
	s_cmp_lg_u32 s87, 0
	s_wait_dscnt 0x0
	s_cselect_b32 s88, -1, 0
	s_barrier_signal -1
	s_and_b32 vcc_lo, exec_lo, s88
	s_barrier_wait -1
	s_cbranch_vccz .LBB34_114
; %bb.107:                              ;   in Loop: Header=BB34_106 Depth=2
	v_mov_b64_e32 v[156:157], 0
	v_mov_b64_e32 v[158:159], 0
	s_mov_b32 s89, exec_lo
	v_cmpx_gt_i32_e64 s87, v202
	s_cbranch_execz .LBB34_109
; %bb.108:                              ;   in Loop: Header=BB34_106 Depth=2
	flat_load_b64 v[158:159], v[0:1]
.LBB34_109:                             ;   in Loop: Header=BB34_106 Depth=2
	s_wait_xcnt 0x0
	s_or_b32 exec_lo, exec_lo, s89
	s_delay_alu instid0(SALU_CYCLE_1)
	s_mov_b32 s89, exec_lo
	v_cmpx_gt_i32_e64 s87, v220
	s_cbranch_execz .LBB34_111
; %bb.110:                              ;   in Loop: Header=BB34_106 Depth=2
	v_add_nc_u64_e32 v[2:3], v[118:119], v[66:67]
	flat_load_b64 v[156:157], v[2:3]
.LBB34_111:                             ;   in Loop: Header=BB34_106 Depth=2
	s_wait_xcnt 0x0
	s_or_b32 exec_lo, exec_lo, s89
	v_mov_b64_e32 v[160:161], 0
	s_mov_b32 s89, exec_lo
	v_cmpx_gt_i32_e64 s87, v221
	s_cbranch_execz .LBB34_113
; %bb.112:                              ;   in Loop: Header=BB34_106 Depth=2
	v_add_nc_u64_e32 v[2:3], v[120:121], v[66:67]
	flat_load_b64 v[160:161], v[2:3]
.LBB34_113:                             ;   in Loop: Header=BB34_106 Depth=2
	s_wait_xcnt 0x0
	s_or_b32 exec_lo, exec_lo, s89
	v_cmp_gt_i32_e64 s89, s87, v222
	s_branch .LBB34_116
.LBB34_114:                             ;   in Loop: Header=BB34_106 Depth=2
	s_mov_b32 s89, 0
                                        ; implicit-def: $vgpr160_vgpr161
                                        ; implicit-def: $vgpr156_vgpr157
                                        ; implicit-def: $vgpr158_vgpr159
	s_cbranch_execz .LBB34_116
; %bb.115:                              ;   in Loop: Header=BB34_106 Depth=2
	v_add_nc_u64_e32 v[2:3], v[118:119], v[66:67]
	v_add_nc_u64_e32 v[4:5], v[116:117], v[66:67]
	s_or_b32 s89, s89, exec_lo
	s_wait_loadcnt_dscnt 0x0
	flat_load_b64 v[158:159], v[0:1]
	flat_load_b64 v[156:157], v[2:3]
	;; [unrolled: 1-line block ×3, first 2 shown]
.LBB34_116:                             ;   in Loop: Header=BB34_106 Depth=2
	v_dual_mov_b32 v162, 0 :: v_dual_mov_b32 v164, 0
	s_wait_xcnt 0x0
	s_delay_alu instid0(VALU_DEP_2)
	s_and_saveexec_b32 s90, s89
	s_cbranch_execz .LBB34_118
; %bb.117:                              ;   in Loop: Header=BB34_106 Depth=2
	v_add_nc_u64_e32 v[0:1], v[122:123], v[66:67]
	flat_load_b64 v[162:163], v[0:1]
	s_wait_loadcnt_dscnt 0x0
	v_mov_b32_e32 v164, v163
.LBB34_118:                             ;   in Loop: Header=BB34_106 Depth=2
	s_wait_xcnt 0x0
	s_or_b32 exec_lo, exec_lo, s90
	ds_load_b64 v[4:5], v214
	ds_load_b128 v[0:3], v204
	v_cndmask_b32_e64 v40, 0, 1, s88
	s_and_not1_b32 vcc_lo, exec_lo, s88
	s_wait_loadcnt_dscnt 0x1
	v_pk_mul_f32 v[6:7], v[158:159], v[4:5] op_sel:[1,0]
	v_pk_mul_f32 v[8:9], v[156:157], v[4:5] op_sel:[1,0]
	;; [unrolled: 1-line block ×3, first 2 shown]
	v_pk_mul_f32 v[12:13], v[164:165], v[4:5] op_sel_hi:[0,1]
	s_delay_alu instid0(VALU_DEP_4)
	v_pk_fma_f32 v[14:15], v[158:159], v[4:5], v[6:7] op_sel:[0,0,1] op_sel_hi:[1,1,0]
	v_pk_fma_f32 v[6:7], v[158:159], v[4:5], v[6:7] op_sel:[0,0,1] op_sel_hi:[0,1,0] neg_lo:[0,0,1] neg_hi:[0,0,1]
	v_pk_fma_f32 v[16:17], v[156:157], v[4:5], v[8:9] op_sel:[0,0,1] op_sel_hi:[1,1,0]
	v_pk_fma_f32 v[8:9], v[156:157], v[4:5], v[8:9] op_sel:[0,0,1] op_sel_hi:[0,1,0] neg_lo:[0,0,1] neg_hi:[0,0,1]
	;; [unrolled: 2-line block ×3, first 2 shown]
	v_pk_fma_f32 v[20:21], v[162:163], v[4:5], v[12:13] op_sel:[0,0,1] op_sel_hi:[0,1,0] neg_lo:[0,0,1] neg_hi:[0,0,1]
	v_pk_fma_f32 v[12:13], v[162:163], v[4:5], v[12:13] op_sel:[0,0,1] op_sel_hi:[1,1,0]
	v_dual_mov_b32 v15, v7 :: v_dual_mov_b32 v17, v9
	s_delay_alu instid0(VALU_DEP_3)
	v_dual_mov_b32 v19, v11 :: v_dual_mov_b32 v13, v21
	ds_load_b128 v[4:7], v204 offset:16
	ds_store_2addr_b64 v205, v[14:15], v[16:17] offset1:67
	ds_store_2addr_b64 v205, v[18:19], v[12:13] offset0:134 offset1:201
	s_wait_dscnt 0x0
	s_barrier_signal -1
	s_barrier_wait -1
	ds_load_2addr_b64 v[20:23], v206 offset1:1
	ds_load_2addr_b64 v[16:19], v206 offset0:2 offset1:3
	v_add_nc_u64_e32 v[8:9], v[124:125], v[66:67]
	s_wait_dscnt 0x0
	s_barrier_signal -1
	s_barrier_wait -1
	s_cbranch_vccnz .LBB34_126
; %bb.119:                              ;   in Loop: Header=BB34_106 Depth=2
	v_mov_b64_e32 v[166:167], 0
	v_mov_b64_e32 v[168:169], 0
	s_mov_b32 s88, exec_lo
	v_cmpx_gt_i32_e64 s87, v223
	s_cbranch_execz .LBB34_121
; %bb.120:                              ;   in Loop: Header=BB34_106 Depth=2
	flat_load_b64 v[168:169], v[8:9]
.LBB34_121:                             ;   in Loop: Header=BB34_106 Depth=2
	s_wait_xcnt 0x0
	s_or_b32 exec_lo, exec_lo, s88
	s_delay_alu instid0(SALU_CYCLE_1)
	s_mov_b32 s88, exec_lo
	v_cmpx_gt_i32_e64 s87, v224
	s_cbranch_execz .LBB34_123
; %bb.122:                              ;   in Loop: Header=BB34_106 Depth=2
	v_add_nc_u64_e32 v[10:11], v[128:129], v[66:67]
	flat_load_b64 v[166:167], v[10:11]
.LBB34_123:                             ;   in Loop: Header=BB34_106 Depth=2
	s_wait_xcnt 0x0
	s_or_b32 exec_lo, exec_lo, s88
	v_mov_b64_e32 v[170:171], 0
	s_mov_b32 s88, exec_lo
	v_cmpx_gt_i32_e64 s87, v225
	s_cbranch_execz .LBB34_125
; %bb.124:                              ;   in Loop: Header=BB34_106 Depth=2
	v_add_nc_u64_e32 v[10:11], v[130:131], v[66:67]
	flat_load_b64 v[170:171], v[10:11]
.LBB34_125:                             ;   in Loop: Header=BB34_106 Depth=2
	s_wait_xcnt 0x0
	s_or_b32 exec_lo, exec_lo, s88
	v_cmp_gt_i32_e64 s88, s87, v226
	s_branch .LBB34_128
.LBB34_126:                             ;   in Loop: Header=BB34_106 Depth=2
	s_mov_b32 s88, 0
                                        ; implicit-def: $vgpr170_vgpr171
                                        ; implicit-def: $vgpr166_vgpr167
                                        ; implicit-def: $vgpr168_vgpr169
	s_cbranch_execz .LBB34_128
; %bb.127:                              ;   in Loop: Header=BB34_106 Depth=2
	v_add_nc_u64_e32 v[10:11], v[128:129], v[66:67]
	v_add_nc_u64_e32 v[12:13], v[126:127], v[66:67]
	s_or_b32 s88, s88, exec_lo
	s_wait_loadcnt_dscnt 0x0
	flat_load_b64 v[168:169], v[8:9]
	flat_load_b64 v[166:167], v[10:11]
	;; [unrolled: 1-line block ×3, first 2 shown]
.LBB34_128:                             ;   in Loop: Header=BB34_106 Depth=2
	v_dual_mov_b32 v172, 0 :: v_dual_mov_b32 v64, 0
	s_wait_xcnt 0x0
	s_delay_alu instid0(VALU_DEP_2)
	s_and_saveexec_b32 s89, s88
	s_cbranch_execz .LBB34_130
; %bb.129:                              ;   in Loop: Header=BB34_106 Depth=2
	v_add_nc_u64_e32 v[8:9], v[132:133], v[66:67]
	flat_load_b64 v[172:173], v[8:9]
	s_wait_loadcnt_dscnt 0x0
	v_mov_b32_e32 v64, v173
.LBB34_130:                             ;   in Loop: Header=BB34_106 Depth=2
	s_wait_xcnt 0x0
	s_or_b32 exec_lo, exec_lo, s89
	ds_load_b64 v[8:9], v214
	v_cmp_ne_u32_e32 vcc_lo, 1, v40
	s_and_b32 vcc_lo, exec_lo, vcc_lo
	s_wait_loadcnt_dscnt 0x0
	v_pk_mul_f32 v[10:11], v[168:169], v[8:9] op_sel:[1,1] op_sel_hi:[1,0]
	v_pk_mul_f32 v[12:13], v[166:167], v[8:9] op_sel:[1,1] op_sel_hi:[1,0]
	;; [unrolled: 1-line block ×4, first 2 shown]
	s_delay_alu instid0(VALU_DEP_4)
	v_pk_fma_f32 v[26:27], v[168:169], v[8:9], v[10:11]
	v_pk_fma_f32 v[10:11], v[168:169], v[8:9], v[10:11] op_sel_hi:[0,1,1] neg_lo:[0,0,1] neg_hi:[0,0,1]
	v_pk_fma_f32 v[28:29], v[166:167], v[8:9], v[12:13]
	v_pk_fma_f32 v[12:13], v[166:167], v[8:9], v[12:13] op_sel_hi:[0,1,1] neg_lo:[0,0,1] neg_hi:[0,0,1]
	;; [unrolled: 2-line block ×3, first 2 shown]
	v_pk_fma_f32 v[32:33], v[172:173], v[8:9], v[24:25] op_sel_hi:[0,1,1] neg_lo:[0,0,1] neg_hi:[0,0,1]
	v_pk_fma_f32 v[24:25], v[172:173], v[8:9], v[24:25]
	v_dual_mov_b32 v27, v11 :: v_dual_mov_b32 v29, v13
	s_delay_alu instid0(VALU_DEP_3)
	v_dual_mov_b32 v31, v15 :: v_dual_mov_b32 v25, v33
	ds_load_b128 v[12:15], v204 offset:128
	ds_load_b128 v[8:11], v204 offset:144
	ds_store_2addr_b64 v205, v[26:27], v[28:29] offset1:67
	ds_store_2addr_b64 v205, v[30:31], v[24:25] offset0:134 offset1:201
	s_wait_dscnt 0x0
	s_barrier_signal -1
	s_barrier_wait -1
	ds_load_2addr_b64 v[36:39], v206 offset1:1
	ds_load_2addr_b64 v[32:35], v206 offset0:2 offset1:3
	v_add_nc_u64_e32 v[24:25], v[134:135], v[66:67]
	s_wait_dscnt 0x0
	s_barrier_signal -1
	s_barrier_wait -1
	s_cbranch_vccnz .LBB34_138
; %bb.131:                              ;   in Loop: Header=BB34_106 Depth=2
	v_mov_b64_e32 v[174:175], 0
	v_mov_b64_e32 v[176:177], 0
	s_mov_b32 s88, exec_lo
	v_cmpx_gt_i32_e64 s87, v227
	s_cbranch_execz .LBB34_133
; %bb.132:                              ;   in Loop: Header=BB34_106 Depth=2
	flat_load_b64 v[176:177], v[24:25]
.LBB34_133:                             ;   in Loop: Header=BB34_106 Depth=2
	s_wait_xcnt 0x0
	s_or_b32 exec_lo, exec_lo, s88
	s_delay_alu instid0(SALU_CYCLE_1)
	s_mov_b32 s88, exec_lo
	v_cmpx_gt_i32_e64 s87, v228
	s_cbranch_execz .LBB34_135
; %bb.134:                              ;   in Loop: Header=BB34_106 Depth=2
	v_add_nc_u64_e32 v[26:27], v[138:139], v[66:67]
	flat_load_b64 v[174:175], v[26:27]
.LBB34_135:                             ;   in Loop: Header=BB34_106 Depth=2
	s_wait_xcnt 0x0
	s_or_b32 exec_lo, exec_lo, s88
	v_mov_b64_e32 v[178:179], 0
	s_mov_b32 s88, exec_lo
	v_cmpx_gt_i32_e64 s87, v229
	s_cbranch_execz .LBB34_137
; %bb.136:                              ;   in Loop: Header=BB34_106 Depth=2
	v_add_nc_u64_e32 v[26:27], v[140:141], v[66:67]
	flat_load_b64 v[178:179], v[26:27]
.LBB34_137:                             ;   in Loop: Header=BB34_106 Depth=2
	s_wait_xcnt 0x0
	s_or_b32 exec_lo, exec_lo, s88
	v_cmp_gt_i32_e64 s88, s87, v230
	s_branch .LBB34_140
.LBB34_138:                             ;   in Loop: Header=BB34_106 Depth=2
	s_mov_b32 s88, 0
                                        ; implicit-def: $vgpr178_vgpr179
                                        ; implicit-def: $vgpr174_vgpr175
                                        ; implicit-def: $vgpr176_vgpr177
	s_cbranch_execz .LBB34_140
; %bb.139:                              ;   in Loop: Header=BB34_106 Depth=2
	v_add_nc_u64_e32 v[26:27], v[138:139], v[66:67]
	v_add_nc_u64_e32 v[28:29], v[136:137], v[66:67]
	s_or_b32 s88, s88, exec_lo
	s_wait_loadcnt_dscnt 0x0
	flat_load_b64 v[176:177], v[24:25]
	flat_load_b64 v[174:175], v[26:27]
	;; [unrolled: 1-line block ×3, first 2 shown]
.LBB34_140:                             ;   in Loop: Header=BB34_106 Depth=2
	v_dual_mov_b32 v180, 0 :: v_dual_mov_b32 v182, 0
	s_wait_xcnt 0x0
	s_delay_alu instid0(VALU_DEP_2)
	s_and_saveexec_b32 s89, s88
	s_cbranch_execz .LBB34_142
; %bb.141:                              ;   in Loop: Header=BB34_106 Depth=2
	v_add_nc_u64_e32 v[24:25], v[142:143], v[66:67]
	flat_load_b64 v[180:181], v[24:25]
	s_wait_loadcnt_dscnt 0x0
	v_mov_b32_e32 v182, v181
.LBB34_142:                             ;   in Loop: Header=BB34_106 Depth=2
	s_wait_xcnt 0x0
	s_or_b32 exec_lo, exec_lo, s89
	ds_load_b64 v[24:25], v214
	ds_load_b128 v[28:31], v204 offset:256
	v_cmp_ne_u32_e32 vcc_lo, 1, v40
	v_add_nc_u64_e32 v[40:41], v[144:145], v[66:67]
	s_and_b32 vcc_lo, exec_lo, vcc_lo
	s_wait_loadcnt_dscnt 0x1
	v_pk_mul_f32 v[26:27], v[176:177], v[24:25] op_sel:[1,0]
	v_pk_mul_f32 v[42:43], v[174:175], v[24:25] op_sel:[1,0]
	;; [unrolled: 1-line block ×3, first 2 shown]
	v_pk_mul_f32 v[46:47], v[182:183], v[24:25] op_sel_hi:[0,1]
	s_delay_alu instid0(VALU_DEP_4)
	v_pk_fma_f32 v[48:49], v[176:177], v[24:25], v[26:27] op_sel:[0,0,1] op_sel_hi:[1,1,0]
	v_pk_fma_f32 v[26:27], v[176:177], v[24:25], v[26:27] op_sel:[0,0,1] op_sel_hi:[0,1,0] neg_lo:[0,0,1] neg_hi:[0,0,1]
	v_pk_fma_f32 v[50:51], v[174:175], v[24:25], v[42:43] op_sel:[0,0,1] op_sel_hi:[1,1,0]
	v_pk_fma_f32 v[42:43], v[174:175], v[24:25], v[42:43] op_sel:[0,0,1] op_sel_hi:[0,1,0] neg_lo:[0,0,1] neg_hi:[0,0,1]
	;; [unrolled: 2-line block ×3, first 2 shown]
	v_pk_fma_f32 v[54:55], v[180:181], v[24:25], v[46:47] op_sel:[0,0,1] op_sel_hi:[0,1,0] neg_lo:[0,0,1] neg_hi:[0,0,1]
	v_pk_fma_f32 v[46:47], v[180:181], v[24:25], v[46:47] op_sel:[0,0,1] op_sel_hi:[1,1,0]
	v_dual_mov_b32 v49, v27 :: v_dual_mov_b32 v51, v43
	s_delay_alu instid0(VALU_DEP_3)
	v_dual_mov_b32 v53, v45 :: v_dual_mov_b32 v47, v55
	ds_load_b128 v[24:27], v204 offset:272
	ds_store_2addr_b64 v205, v[48:49], v[50:51] offset1:67
	ds_store_2addr_b64 v205, v[52:53], v[46:47] offset0:134 offset1:201
	s_wait_dscnt 0x0
	s_barrier_signal -1
	s_barrier_wait -1
	ds_load_2addr_b64 v[52:55], v206 offset1:1
	ds_load_2addr_b64 v[48:51], v206 offset0:2 offset1:3
	s_wait_dscnt 0x0
	s_barrier_signal -1
	s_barrier_wait -1
	s_cbranch_vccnz .LBB34_150
; %bb.143:                              ;   in Loop: Header=BB34_106 Depth=2
	v_mov_b64_e32 v[184:185], 0
	v_mov_b64_e32 v[186:187], 0
	s_mov_b32 s88, exec_lo
	v_cmpx_gt_i32_e64 s87, v231
	s_cbranch_execz .LBB34_145
; %bb.144:                              ;   in Loop: Header=BB34_106 Depth=2
	flat_load_b64 v[186:187], v[40:41]
.LBB34_145:                             ;   in Loop: Header=BB34_106 Depth=2
	s_wait_xcnt 0x0
	s_or_b32 exec_lo, exec_lo, s88
	s_delay_alu instid0(SALU_CYCLE_1)
	s_mov_b32 s88, exec_lo
	v_cmpx_gt_i32_e64 s87, v232
	s_cbranch_execz .LBB34_147
; %bb.146:                              ;   in Loop: Header=BB34_106 Depth=2
	v_add_nc_u64_e32 v[42:43], v[148:149], v[66:67]
	flat_load_b64 v[184:185], v[42:43]
.LBB34_147:                             ;   in Loop: Header=BB34_106 Depth=2
	s_wait_xcnt 0x0
	s_or_b32 exec_lo, exec_lo, s88
	v_mov_b64_e32 v[188:189], 0
	s_mov_b32 s88, exec_lo
	v_cmpx_gt_i32_e64 s87, v233
	s_cbranch_execz .LBB34_149
; %bb.148:                              ;   in Loop: Header=BB34_106 Depth=2
	v_add_nc_u64_e32 v[42:43], v[150:151], v[66:67]
	flat_load_b64 v[188:189], v[42:43]
.LBB34_149:                             ;   in Loop: Header=BB34_106 Depth=2
	s_wait_xcnt 0x0
	s_or_b32 exec_lo, exec_lo, s88
	v_cmp_gt_i32_e64 s88, s87, v57
	s_branch .LBB34_152
.LBB34_150:                             ;   in Loop: Header=BB34_106 Depth=2
	s_mov_b32 s88, 0
                                        ; implicit-def: $vgpr188_vgpr189
                                        ; implicit-def: $vgpr184_vgpr185
                                        ; implicit-def: $vgpr186_vgpr187
	s_cbranch_execz .LBB34_152
; %bb.151:                              ;   in Loop: Header=BB34_106 Depth=2
	v_add_nc_u64_e32 v[42:43], v[148:149], v[66:67]
	v_add_nc_u64_e32 v[44:45], v[146:147], v[66:67]
	s_or_b32 s88, s88, exec_lo
	s_wait_loadcnt_dscnt 0x0
	flat_load_b64 v[186:187], v[40:41]
	flat_load_b64 v[184:185], v[42:43]
	;; [unrolled: 1-line block ×3, first 2 shown]
.LBB34_152:                             ;   in Loop: Header=BB34_106 Depth=2
	v_dual_mov_b32 v190, 0 :: v_dual_mov_b32 v192, 0
	s_wait_xcnt 0x0
	s_delay_alu instid0(VALU_DEP_2)
	s_and_saveexec_b32 s89, s88
	s_cbranch_execz .LBB34_154
; %bb.153:                              ;   in Loop: Header=BB34_106 Depth=2
	v_add_nc_u64_e32 v[40:41], v[152:153], v[66:67]
	flat_load_b64 v[190:191], v[40:41]
	s_wait_loadcnt_dscnt 0x0
	v_mov_b32_e32 v192, v191
.LBB34_154:                             ;   in Loop: Header=BB34_106 Depth=2
	s_wait_xcnt 0x0
	s_or_b32 exec_lo, exec_lo, s89
	ds_load_b64 v[44:45], v214
	ds_load_b128 v[40:43], v204 offset:384
	v_pk_add_f32 v[36:37], v[36:37], 0 op_sel_hi:[1,0]
	v_pk_add_f32 v[20:21], v[20:21], 0 op_sel_hi:[1,0]
	;; [unrolled: 1-line block ×3, first 2 shown]
	v_cmp_gt_i32_e32 vcc_lo, s87, v194
	s_delay_alu instid0(VALU_DEP_4) | instskip(NEXT) | instid1(VALU_DEP_4)
	v_pk_add_f32 v[36:37], v[36:37], v[38:39]
	v_pk_add_f32 v[20:21], v[20:21], v[22:23]
	s_delay_alu instid0(VALU_DEP_4) | instskip(SKIP_1) | instid1(VALU_DEP_3)
	v_pk_add_f32 v[52:53], v[52:53], v[54:55]
	s_or_b32 s79, s79, vcc_lo
	v_pk_add_f32 v[32:33], v[36:37], v[32:33]
	s_delay_alu instid0(VALU_DEP_3) | instskip(NEXT) | instid1(VALU_DEP_3)
	v_pk_add_f32 v[16:17], v[20:21], v[16:17]
	v_pk_add_f32 v[38:39], v[52:53], v[48:49]
	s_and_b32 s87, s21, s79
	s_delay_alu instid0(VALU_DEP_3) | instskip(NEXT) | instid1(VALU_DEP_3)
	v_pk_add_f32 v[32:33], v[32:33], v[34:35]
	v_pk_add_f32 v[16:17], v[16:17], v[18:19]
	s_wait_loadcnt_dscnt 0x1
	v_pk_mul_f32 v[46:47], v[186:187], v[44:45] op_sel:[1,0]
	v_pk_mul_f32 v[236:237], v[184:185], v[44:45] op_sel:[1,0]
	;; [unrolled: 1-line block ×3, first 2 shown]
	v_pk_mul_f32 v[240:241], v[192:193], v[44:45] op_sel_hi:[0,1]
	s_delay_alu instid0(VALU_DEP_4)
	v_pk_fma_f32 v[242:243], v[186:187], v[44:45], v[46:47] op_sel:[0,0,1] op_sel_hi:[1,1,0]
	v_pk_fma_f32 v[46:47], v[186:187], v[44:45], v[46:47] op_sel:[0,0,1] op_sel_hi:[0,1,0] neg_lo:[0,0,1] neg_hi:[0,0,1]
	v_pk_fma_f32 v[244:245], v[184:185], v[44:45], v[236:237] op_sel:[0,0,1] op_sel_hi:[1,1,0]
	v_pk_fma_f32 v[236:237], v[184:185], v[44:45], v[236:237] op_sel:[0,0,1] op_sel_hi:[0,1,0] neg_lo:[0,0,1] neg_hi:[0,0,1]
	;; [unrolled: 2-line block ×3, first 2 shown]
	v_pk_fma_f32 v[248:249], v[190:191], v[44:45], v[240:241] op_sel:[0,0,1] op_sel_hi:[0,1,0] neg_lo:[0,0,1] neg_hi:[0,0,1]
	v_pk_fma_f32 v[240:241], v[190:191], v[44:45], v[240:241] op_sel:[0,0,1] op_sel_hi:[1,1,0]
	v_dual_mov_b32 v243, v47 :: v_dual_mov_b32 v245, v237
	s_delay_alu instid0(VALU_DEP_3)
	v_dual_mov_b32 v247, v239 :: v_dual_mov_b32 v241, v249
	ds_load_b128 v[44:47], v204 offset:400
	ds_store_2addr_b64 v205, v[242:243], v[244:245] offset1:67
	ds_store_2addr_b64 v205, v[246:247], v[240:241] offset0:134 offset1:201
	s_wait_dscnt 0x0
	s_barrier_signal -1
	s_barrier_wait -1
	ds_load_2addr_b64 v[236:239], v206 offset1:1
	ds_load_2addr_b64 v[240:243], v206 offset0:2 offset1:3
	s_wait_dscnt 0x0
	s_barrier_signal -1
	s_barrier_wait -1
	v_pk_add_f32 v[236:237], v[236:237], 0 op_sel_hi:[1,0]
	s_delay_alu instid0(VALU_DEP_1) | instskip(NEXT) | instid1(VALU_DEP_1)
	v_pk_add_f32 v[22:23], v[236:237], v[238:239]
	v_pk_add_f32 v[20:21], v[22:23], v[240:241]
	;; [unrolled: 1-line block ×3, first 2 shown]
	s_delay_alu instid0(VALU_DEP_2)
	v_pk_add_f32 v[18:19], v[20:21], v[242:243]
	ds_store_2addr_b64 v211, v[16:17], v[32:33] offset1:16
	ds_store_2addr_b64 v211, v[22:23], v[18:19] offset0:32 offset1:48
	s_wait_dscnt 0x0
	s_barrier_signal -1
	s_barrier_wait -1
	s_and_saveexec_b32 s79, s87
	s_cbranch_execz .LBB34_156
; %bb.155:                              ;   in Loop: Header=BB34_106 Depth=2
	ds_load_b64 v[36:37], v207
	ds_load_2addr_b64 v[16:19], v207 offset0:1 offset1:2
	ds_load_2addr_b64 v[20:23], v207 offset0:3 offset1:4
	ds_load_2addr_b64 v[32:35], v207 offset0:5 offset1:6
	s_wait_dscnt 0x2
	v_dual_add_f32 v16, v16, v36 :: v_dual_add_f32 v17, v17, v37
	s_delay_alu instid0(VALU_DEP_1) | instskip(SKIP_3) | instid1(VALU_DEP_1)
	v_dual_add_f32 v36, v18, v16 :: v_dual_add_f32 v37, v19, v17
	ds_load_2addr_b64 v[16:19], v207 offset0:7 offset1:8
	s_wait_dscnt 0x2
	v_dual_add_f32 v20, v36, v20 :: v_dual_add_f32 v21, v37, v21
	v_dual_add_f32 v36, v20, v22 :: v_dual_add_f32 v37, v21, v23
	ds_load_2addr_b64 v[20:23], v207 offset0:9 offset1:10
	s_wait_dscnt 0x2
	v_pk_add_f32 v[32:33], v[36:37], v[32:33]
	s_delay_alu instid0(VALU_DEP_1) | instskip(SKIP_3) | instid1(VALU_DEP_1)
	v_pk_add_f32 v[36:37], v[32:33], v[34:35]
	ds_load_2addr_b64 v[32:35], v207 offset0:11 offset1:12
	s_wait_dscnt 0x2
	v_pk_add_f32 v[16:17], v[36:37], v[16:17]
	v_pk_add_f32 v[16:17], v[16:17], v[18:19]
	s_wait_dscnt 0x1
	s_delay_alu instid0(VALU_DEP_1)
	v_pk_add_f32 v[20:21], v[16:17], v[20:21]
	ds_load_2addr_b64 v[16:19], v207 offset0:13 offset1:14
	v_pk_add_f32 v[20:21], v[20:21], v[22:23]
	ds_load_b64 v[22:23], v208
	s_wait_dscnt 0x2
	v_pk_add_f32 v[20:21], v[20:21], v[32:33]
	s_delay_alu instid0(VALU_DEP_1) | instskip(SKIP_1) | instid1(VALU_DEP_1)
	v_pk_add_f32 v[20:21], v[20:21], v[34:35]
	s_wait_dscnt 0x1
	v_pk_add_f32 v[16:17], v[20:21], v[16:17]
	s_delay_alu instid0(VALU_DEP_1) | instskip(SKIP_1) | instid1(VALU_DEP_1)
	v_pk_add_f32 v[16:17], v[16:17], v[18:19]
	s_wait_dscnt 0x0
	v_pk_add_f32 v[16:17], v[16:17], v[22:23]
	global_store_b64 v235, v[16:17], s[22:23] scale_offset
.LBB34_156:                             ;   in Loop: Header=BB34_106 Depth=2
	s_wait_xcnt 0x0
	s_or_b32 exec_lo, exec_lo, s79
	v_dual_mov_b32 v16, v158 :: v_dual_mov_b32 v17, v158
	v_dual_mov_b32 v158, v159 :: v_dual_mov_b32 v18, v156
	;; [unrolled: 1-line block ×4, first 2 shown]
	s_delay_alu instid0(VALU_DEP_3) | instskip(SKIP_1) | instid1(VALU_DEP_4)
	v_pk_mul_f32 v[20:21], v[158:159], v[0:1]
	v_dual_mov_b32 v160, v161 :: v_dual_mov_b32 v163, v162
	v_pk_mul_f32 v[34:35], v[156:157], v[2:3]
	v_dual_mov_b32 v191, v190 :: v_dual_mov_b32 v193, v192
	s_delay_alu instid0(VALU_DEP_4)
	v_pk_fma_f32 v[32:33], v[16:17], v[0:1], v[20:21] op_sel:[0,0,1] op_sel_hi:[1,1,0]
	v_pk_fma_f32 v[0:1], v[16:17], v[0:1], v[20:21] op_sel:[0,0,1] op_sel_hi:[1,1,0] neg_lo:[0,0,1] neg_hi:[0,0,1]
	v_mov_b32_e32 v165, v164
	v_pk_fma_f32 v[16:17], v[18:19], v[2:3], v[34:35] op_sel:[0,0,1] op_sel_hi:[1,1,0]
	v_pk_mul_f32 v[20:21], v[160:161], v[4:5]
	v_mov_b32_e32 v1, v33
	v_pk_fma_f32 v[2:3], v[18:19], v[2:3], v[34:35] op_sel:[0,0,1] op_sel_hi:[1,1,0] neg_lo:[0,0,1] neg_hi:[0,0,1]
	v_pk_mul_f32 v[32:33], v[164:165], v[6:7]
	v_mov_b32_e32 v3, v17
	v_pk_fma_f32 v[16:17], v[22:23], v[4:5], v[20:21] op_sel:[0,0,1] op_sel_hi:[1,1,0]
	v_pk_add_f32 v[0:1], v[112:113], v[0:1]
	v_pk_fma_f32 v[4:5], v[22:23], v[4:5], v[20:21] op_sel:[0,0,1] op_sel_hi:[1,1,0] neg_lo:[0,0,1] neg_hi:[0,0,1]
	v_pk_fma_f32 v[18:19], v[162:163], v[6:7], v[32:33] op_sel:[0,0,1] op_sel_hi:[1,1,0]
	s_delay_alu instid0(VALU_DEP_4) | instskip(NEXT) | instid1(VALU_DEP_4)
	v_dual_mov_b32 v16, v15 :: v_dual_mov_b32 v5, v17
	v_pk_add_f32 v[0:1], v[0:1], v[2:3]
	v_pk_fma_f32 v[2:3], v[162:163], v[6:7], v[32:33] op_sel:[0,0,1] op_sel_hi:[1,1,0] neg_lo:[0,0,1] neg_hi:[0,0,1]
	v_pk_mul_f32 v[6:7], v[168:169], v[12:13] op_sel:[1,1] op_sel_hi:[0,1]
	v_mov_b32_e32 v3, v19
	v_pk_mul_f32 v[16:17], v[166:167], v[16:17] op_sel:[1,0] op_sel_hi:[0,0]
	v_pk_add_f32 v[0:1], v[0:1], v[4:5]
	v_add_nc_u64_e32 v[114:115], s[70:71], v[114:115]
	v_pk_fma_f32 v[4:5], v[168:169], v[12:13], v[6:7] op_sel_hi:[1,0,1]
	v_dual_mov_b32 v173, v64 :: v_dual_mov_b32 v4, v176
	s_delay_alu instid0(VALU_DEP_4) | instskip(SKIP_1) | instid1(VALU_DEP_4)
	v_pk_add_f32 v[0:1], v[0:1], v[2:3]
	v_pk_fma_f32 v[2:3], v[168:169], v[12:13], v[6:7] neg_lo:[0,0,1] neg_hi:[0,0,1]
	v_mov_b32_e32 v3, v5
	v_pk_fma_f32 v[6:7], v[166:167], v[14:15], v[16:17] op_sel_hi:[1,0,1]
	v_pk_fma_f32 v[12:13], v[166:167], v[14:15], v[16:17] neg_lo:[0,0,1] neg_hi:[0,0,1]
	v_dual_mov_b32 v5, v176 :: v_dual_mov_b32 v176, v177
	s_delay_alu instid0(VALU_DEP_4) | instskip(SKIP_3) | instid1(VALU_DEP_3)
	v_pk_add_f32 v[0:1], v[0:1], v[2:3]
	v_pk_mul_f32 v[2:3], v[170:171], v[8:9] op_sel:[1,1] op_sel_hi:[0,1]
	v_dual_mov_b32 v13, v7 :: v_dual_mov_b32 v6, v11
	v_dual_mov_b32 v14, v174 :: v_dual_mov_b32 v181, v180
	v_pk_fma_f32 v[16:17], v[170:171], v[8:9], v[2:3] op_sel_hi:[1,0,1]
	v_pk_fma_f32 v[2:3], v[170:171], v[8:9], v[2:3] neg_lo:[0,0,1] neg_hi:[0,0,1]
	v_mov_b32_e32 v15, v174
	v_pk_add_f32 v[0:1], v[0:1], v[12:13]
	v_pk_mul_f32 v[6:7], v[172:173], v[6:7] op_sel:[1,0] op_sel_hi:[0,0]
	v_dual_mov_b32 v3, v17 :: v_dual_mov_b32 v174, v175
	v_mov_b32_e32 v8, v178
	v_add_nc_u64_e32 v[116:117], s[70:71], v[116:117]
	s_delay_alu instid0(VALU_DEP_4) | instskip(NEXT) | instid1(VALU_DEP_4)
	v_pk_fma_f32 v[12:13], v[172:173], v[10:11], v[6:7] op_sel_hi:[1,0,1]
	v_pk_add_f32 v[0:1], v[0:1], v[2:3]
	v_pk_mul_f32 v[2:3], v[176:177], v[28:29]
	v_pk_fma_f32 v[6:7], v[172:173], v[10:11], v[6:7] neg_lo:[0,0,1] neg_hi:[0,0,1]
	s_delay_alu instid0(VALU_DEP_4) | instskip(SKIP_1) | instid1(VALU_DEP_4)
	v_dual_mov_b32 v9, v178 :: v_dual_mov_b32 v7, v13
	v_mov_b32_e32 v178, v179
	v_pk_fma_f32 v[10:11], v[4:5], v[28:29], v[2:3] op_sel:[0,0,1] op_sel_hi:[1,1,0]
	v_pk_fma_f32 v[2:3], v[4:5], v[28:29], v[2:3] op_sel:[0,0,1] op_sel_hi:[1,1,0] neg_lo:[0,0,1] neg_hi:[0,0,1]
	v_mov_b32_e32 v183, v182
	v_pk_add_f32 v[0:1], v[0:1], v[6:7]
	v_pk_mul_f32 v[6:7], v[174:175], v[30:31]
	v_dual_mov_b32 v3, v11 :: v_dual_mov_b32 v4, v186
	v_mov_b32_e32 v5, v186
	v_add_nc_u64_e32 v[118:119], s[70:71], v[118:119]
	s_delay_alu instid0(VALU_DEP_4) | instskip(NEXT) | instid1(VALU_DEP_4)
	v_pk_fma_f32 v[10:11], v[14:15], v[30:31], v[6:7] op_sel:[0,0,1] op_sel_hi:[1,1,0]
	v_pk_add_f32 v[0:1], v[0:1], v[2:3]
	v_pk_mul_f32 v[2:3], v[178:179], v[24:25]
	v_pk_fma_f32 v[6:7], v[14:15], v[30:31], v[6:7] op_sel:[0,0,1] op_sel_hi:[1,1,0] neg_lo:[0,0,1] neg_hi:[0,0,1]
	s_delay_alu instid0(VALU_DEP_4) | instskip(SKIP_1) | instid1(VALU_DEP_4)
	v_dual_mov_b32 v186, v187 :: v_dual_mov_b32 v7, v11
	v_dual_mov_b32 v10, v184 :: v_dual_mov_b32 v11, v184
	v_pk_fma_f32 v[12:13], v[8:9], v[24:25], v[2:3] op_sel:[0,0,1] op_sel_hi:[1,1,0]
	v_pk_fma_f32 v[2:3], v[8:9], v[24:25], v[2:3] op_sel:[0,0,1] op_sel_hi:[1,1,0] neg_lo:[0,0,1] neg_hi:[0,0,1]
	v_mov_b32_e32 v184, v185
	v_pk_add_f32 v[0:1], v[0:1], v[6:7]
	v_pk_mul_f32 v[6:7], v[182:183], v[26:27]
	v_dual_mov_b32 v3, v13 :: v_dual_mov_b32 v8, v188
	v_mov_b32_e32 v9, v188
	v_add_nc_u64_e32 v[120:121], s[70:71], v[120:121]
	s_delay_alu instid0(VALU_DEP_4) | instskip(NEXT) | instid1(VALU_DEP_4)
	v_pk_fma_f32 v[12:13], v[180:181], v[26:27], v[6:7] op_sel:[0,0,1] op_sel_hi:[1,1,0]
	v_pk_add_f32 v[0:1], v[0:1], v[2:3]
	v_pk_fma_f32 v[2:3], v[180:181], v[26:27], v[6:7] op_sel:[0,0,1] op_sel_hi:[1,1,0] neg_lo:[0,0,1] neg_hi:[0,0,1]
	v_pk_mul_f32 v[6:7], v[186:187], v[40:41]
	s_delay_alu instid0(VALU_DEP_4) | instskip(SKIP_2) | instid1(VALU_DEP_4)
	v_dual_mov_b32 v188, v189 :: v_dual_mov_b32 v3, v13
	v_pk_mul_f32 v[12:13], v[184:185], v[42:43]
	v_add_nc_u64_e32 v[122:123], s[70:71], v[122:123]
	v_pk_fma_f32 v[14:15], v[4:5], v[40:41], v[6:7] op_sel:[0,0,1] op_sel_hi:[1,1,0]
	v_pk_fma_f32 v[4:5], v[4:5], v[40:41], v[6:7] op_sel:[0,0,1] op_sel_hi:[1,1,0] neg_lo:[0,0,1] neg_hi:[0,0,1]
	v_pk_add_f32 v[0:1], v[0:1], v[2:3]
	v_pk_fma_f32 v[2:3], v[10:11], v[42:43], v[12:13] op_sel:[0,0,1] op_sel_hi:[1,1,0]
	v_pk_mul_f32 v[16:17], v[188:189], v[44:45]
	v_mov_b32_e32 v5, v15
	v_pk_fma_f32 v[6:7], v[10:11], v[42:43], v[12:13] op_sel:[0,0,1] op_sel_hi:[1,1,0] neg_lo:[0,0,1] neg_hi:[0,0,1]
	v_pk_mul_f32 v[10:11], v[192:193], v[46:47]
	v_mov_b32_e32 v7, v3
	v_pk_fma_f32 v[2:3], v[8:9], v[44:45], v[16:17] op_sel:[0,0,1] op_sel_hi:[1,1,0]
	v_pk_add_f32 v[0:1], v[0:1], v[4:5]
	v_pk_fma_f32 v[4:5], v[8:9], v[44:45], v[16:17] op_sel:[0,0,1] op_sel_hi:[1,1,0] neg_lo:[0,0,1] neg_hi:[0,0,1]
	v_add_nc_u64_e32 v[124:125], s[70:71], v[124:125]
	v_add_nc_u64_e32 v[126:127], s[70:71], v[126:127]
	v_mov_b32_e32 v5, v3
	v_pk_fma_f32 v[2:3], v[190:191], v[46:47], v[10:11] op_sel:[0,0,1] op_sel_hi:[1,1,0]
	v_pk_add_f32 v[0:1], v[0:1], v[6:7]
	v_pk_fma_f32 v[6:7], v[190:191], v[46:47], v[10:11] op_sel:[0,0,1] op_sel_hi:[1,1,0] neg_lo:[0,0,1] neg_hi:[0,0,1]
	v_add_nc_u64_e32 v[128:129], s[70:71], v[128:129]
	v_add_nc_u64_e32 v[130:131], s[70:71], v[130:131]
	v_mov_b32_e32 v7, v3
	v_pk_add_f32 v[0:1], v[0:1], v[4:5]
	v_add_nc_u64_e32 v[132:133], s[70:71], v[132:133]
	v_add_nc_u64_e32 v[134:135], s[70:71], v[134:135]
	;; [unrolled: 1-line block ×11, first 2 shown]
	v_pk_add_f32 v[112:113], v[0:1], v[6:7]
	v_add_nc_u32_e32 v235, 64, v235
	s_add_co_i32 s79, s86, 1
	s_add_co_i32 s86, s86, 2
	;; [unrolled: 1-line block ×3, first 2 shown]
	s_cmp_ge_u32 s86, s44
	s_wait_storecnt 0x0
	s_barrier_signal -1
	s_barrier_wait -1
	s_cbranch_scc1 .LBB34_158
; %bb.157:                              ;   in Loop: Header=BB34_106 Depth=2
	s_mov_b32 s86, s79
	s_delay_alu instid0(SALU_CYCLE_1)
	s_cmp_eq_u32 s47, s86
	s_cselect_b32 s87, s80, 0
	s_and_saveexec_b32 s88, s0
	s_cbranch_execnz .LBB34_102
	s_branch .LBB34_106
.LBB34_158:                             ;   in Loop: Header=BB34_4 Depth=1
	ds_store_b64 v209, v[112:113]
	s_wait_dscnt 0x0
	s_barrier_signal -1
	s_barrier_wait -1
	s_and_saveexec_b32 s78, s84
	s_cbranch_execz .LBB34_2
; %bb.159:                              ;   in Loop: Header=BB34_4 Depth=1
	ds_load_2addr_b64 v[0:3], v195 offset1:67
	ds_load_2addr_b64 v[4:7], v195 offset0:134 offset1:201
	s_wait_dscnt 0x1
	v_pk_add_f32 v[0:1], v[2:3], v[0:1]
	v_lshl_add_u64 v[2:3], v[58:59], 3, s[22:23]
	s_wait_dscnt 0x0
	s_delay_alu instid0(VALU_DEP_2) | instskip(NEXT) | instid1(VALU_DEP_1)
	v_pk_add_f32 v[0:1], v[4:5], v[0:1]
	v_pk_add_f32 v[0:1], v[0:1], v[6:7]
	global_store_b64 v[2:3], v[0:1], off
	s_branch .LBB34_2
.LBB34_160:                             ;   in Loop: Header=BB34_4 Depth=1
	ds_load_b64 v[4:5], v213
	s_mov_b32 s22, exec_lo
	s_wait_dscnt 0x0
	v_xor_b32_e32 v2, 0x80000000, v5
	ds_store_b32 v216, v4
	s_or_saveexec_b32 s23, s23
	v_mov_b32_e32 v3, v216
	s_xor_b32 exec_lo, exec_lo, s23
	s_cbranch_execz .LBB34_32
.LBB34_161:                             ;   in Loop: Header=BB34_4 Depth=1
	v_dual_mov_b32 v2, 0 :: v_dual_mov_b32 v3, v215
	s_and_not1_b32 s22, s22, exec_lo
	s_and_b32 s78, s9, exec_lo
	s_delay_alu instid0(SALU_CYCLE_1)
	s_or_b32 s22, s22, s78
	s_or_b32 exec_lo, exec_lo, s23
	s_and_saveexec_b32 s23, s22
	s_cbranch_execnz .LBB34_33
	s_branch .LBB34_34
.LBB34_162:                             ;   in Loop: Header=BB34_4 Depth=1
	ds_load_b64 v[4:5], v213
	s_mov_b32 s22, exec_lo
	s_wait_dscnt 0x0
	v_xor_b32_e32 v2, 0x80000000, v5
	ds_store_b32 v216, v4
	s_or_saveexec_b32 s23, s23
	v_mov_b32_e32 v3, v216
	s_xor_b32 exec_lo, exec_lo, s23
	s_cbranch_execz .LBB34_68
.LBB34_163:                             ;   in Loop: Header=BB34_4 Depth=1
	v_dual_mov_b32 v2, 0 :: v_dual_mov_b32 v3, v215
	s_and_not1_b32 s22, s22, exec_lo
	s_and_b32 s78, s9, exec_lo
	s_delay_alu instid0(SALU_CYCLE_1)
	s_or_b32 s22, s22, s78
	s_or_b32 exec_lo, exec_lo, s23
	s_and_saveexec_b32 s23, s22
	s_cbranch_execnz .LBB34_69
	s_branch .LBB34_70
.LBB34_164:
	s_sendmsg sendmsg(MSG_DEALLOC_VGPRS)
	s_endpgm
	.section	.rodata,"a",@progbits
	.p2align	6, 0x0
	.amdhsa_kernel _ZL26rocblas_hemvn_kernel_upperILb1ELi64ELi4ELi33ELi32ELi16EiPK19rocblas_complex_numIfEPKS3_PS1_EviT6_lT7_lT5_lS8_lS9_lS7_lT8_i
		.amdhsa_group_segment_fixed_size 9600
		.amdhsa_private_segment_fixed_size 0
		.amdhsa_kernarg_size 376
		.amdhsa_user_sgpr_count 2
		.amdhsa_user_sgpr_dispatch_ptr 0
		.amdhsa_user_sgpr_queue_ptr 0
		.amdhsa_user_sgpr_kernarg_segment_ptr 1
		.amdhsa_user_sgpr_dispatch_id 0
		.amdhsa_user_sgpr_kernarg_preload_length 0
		.amdhsa_user_sgpr_kernarg_preload_offset 0
		.amdhsa_user_sgpr_private_segment_size 0
		.amdhsa_wavefront_size32 1
		.amdhsa_uses_dynamic_stack 0
		.amdhsa_enable_private_segment 0
		.amdhsa_system_sgpr_workgroup_id_x 1
		.amdhsa_system_sgpr_workgroup_id_y 0
		.amdhsa_system_sgpr_workgroup_id_z 1
		.amdhsa_system_sgpr_workgroup_info 0
		.amdhsa_system_vgpr_workitem_id 1
		.amdhsa_next_free_vgpr 250
		.amdhsa_next_free_sgpr 98
		.amdhsa_named_barrier_count 0
		.amdhsa_reserve_vcc 1
		.amdhsa_float_round_mode_32 0
		.amdhsa_float_round_mode_16_64 0
		.amdhsa_float_denorm_mode_32 3
		.amdhsa_float_denorm_mode_16_64 3
		.amdhsa_fp16_overflow 0
		.amdhsa_memory_ordered 1
		.amdhsa_forward_progress 1
		.amdhsa_inst_pref_size 74
		.amdhsa_round_robin_scheduling 0
		.amdhsa_exception_fp_ieee_invalid_op 0
		.amdhsa_exception_fp_denorm_src 0
		.amdhsa_exception_fp_ieee_div_zero 0
		.amdhsa_exception_fp_ieee_overflow 0
		.amdhsa_exception_fp_ieee_underflow 0
		.amdhsa_exception_fp_ieee_inexact 0
		.amdhsa_exception_int_div_zero 0
	.end_amdhsa_kernel
	.section	.text._ZL26rocblas_hemvn_kernel_upperILb1ELi64ELi4ELi33ELi32ELi16EiPK19rocblas_complex_numIfEPKS3_PS1_EviT6_lT7_lT5_lS8_lS9_lS7_lT8_i,"axG",@progbits,_ZL26rocblas_hemvn_kernel_upperILb1ELi64ELi4ELi33ELi32ELi16EiPK19rocblas_complex_numIfEPKS3_PS1_EviT6_lT7_lT5_lS8_lS9_lS7_lT8_i,comdat
.Lfunc_end34:
	.size	_ZL26rocblas_hemvn_kernel_upperILb1ELi64ELi4ELi33ELi32ELi16EiPK19rocblas_complex_numIfEPKS3_PS1_EviT6_lT7_lT5_lS8_lS9_lS7_lT8_i, .Lfunc_end34-_ZL26rocblas_hemvn_kernel_upperILb1ELi64ELi4ELi33ELi32ELi16EiPK19rocblas_complex_numIfEPKS3_PS1_EviT6_lT7_lT5_lS8_lS9_lS7_lT8_i
                                        ; -- End function
	.set _ZL26rocblas_hemvn_kernel_upperILb1ELi64ELi4ELi33ELi32ELi16EiPK19rocblas_complex_numIfEPKS3_PS1_EviT6_lT7_lT5_lS8_lS9_lS7_lT8_i.num_vgpr, 250
	.set _ZL26rocblas_hemvn_kernel_upperILb1ELi64ELi4ELi33ELi32ELi16EiPK19rocblas_complex_numIfEPKS3_PS1_EviT6_lT7_lT5_lS8_lS9_lS7_lT8_i.num_agpr, 0
	.set _ZL26rocblas_hemvn_kernel_upperILb1ELi64ELi4ELi33ELi32ELi16EiPK19rocblas_complex_numIfEPKS3_PS1_EviT6_lT7_lT5_lS8_lS9_lS7_lT8_i.numbered_sgpr, 98
	.set _ZL26rocblas_hemvn_kernel_upperILb1ELi64ELi4ELi33ELi32ELi16EiPK19rocblas_complex_numIfEPKS3_PS1_EviT6_lT7_lT5_lS8_lS9_lS7_lT8_i.num_named_barrier, 0
	.set _ZL26rocblas_hemvn_kernel_upperILb1ELi64ELi4ELi33ELi32ELi16EiPK19rocblas_complex_numIfEPKS3_PS1_EviT6_lT7_lT5_lS8_lS9_lS7_lT8_i.private_seg_size, 0
	.set _ZL26rocblas_hemvn_kernel_upperILb1ELi64ELi4ELi33ELi32ELi16EiPK19rocblas_complex_numIfEPKS3_PS1_EviT6_lT7_lT5_lS8_lS9_lS7_lT8_i.uses_vcc, 1
	.set _ZL26rocblas_hemvn_kernel_upperILb1ELi64ELi4ELi33ELi32ELi16EiPK19rocblas_complex_numIfEPKS3_PS1_EviT6_lT7_lT5_lS8_lS9_lS7_lT8_i.uses_flat_scratch, 1
	.set _ZL26rocblas_hemvn_kernel_upperILb1ELi64ELi4ELi33ELi32ELi16EiPK19rocblas_complex_numIfEPKS3_PS1_EviT6_lT7_lT5_lS8_lS9_lS7_lT8_i.has_dyn_sized_stack, 0
	.set _ZL26rocblas_hemvn_kernel_upperILb1ELi64ELi4ELi33ELi32ELi16EiPK19rocblas_complex_numIfEPKS3_PS1_EviT6_lT7_lT5_lS8_lS9_lS7_lT8_i.has_recursion, 0
	.set _ZL26rocblas_hemvn_kernel_upperILb1ELi64ELi4ELi33ELi32ELi16EiPK19rocblas_complex_numIfEPKS3_PS1_EviT6_lT7_lT5_lS8_lS9_lS7_lT8_i.has_indirect_call, 0
	.section	.AMDGPU.csdata,"",@progbits
; Kernel info:
; codeLenInByte = 9372
; TotalNumSgprs: 100
; NumVgprs: 250
; ScratchSize: 0
; MemoryBound: 1
; FloatMode: 240
; IeeeMode: 1
; LDSByteSize: 9600 bytes/workgroup (compile time only)
; SGPRBlocks: 0
; VGPRBlocks: 15
; NumSGPRsForWavesPerEU: 100
; NumVGPRsForWavesPerEU: 250
; NamedBarCnt: 0
; Occupancy: 4
; WaveLimiterHint : 1
; COMPUTE_PGM_RSRC2:SCRATCH_EN: 0
; COMPUTE_PGM_RSRC2:USER_SGPR: 2
; COMPUTE_PGM_RSRC2:TRAP_HANDLER: 0
; COMPUTE_PGM_RSRC2:TGID_X_EN: 1
; COMPUTE_PGM_RSRC2:TGID_Y_EN: 0
; COMPUTE_PGM_RSRC2:TGID_Z_EN: 1
; COMPUTE_PGM_RSRC2:TIDIG_COMP_CNT: 1
	.section	.text._ZL36rocblas_hemvn_kernel_upper_block_sumILi64EiPK19rocblas_complex_numIfEPKPS1_S1_EviT1_lS7_lT2_lT0_lPT3_i,"axG",@progbits,_ZL36rocblas_hemvn_kernel_upper_block_sumILi64EiPK19rocblas_complex_numIfEPKPS1_S1_EviT1_lS7_lT2_lT0_lPT3_i,comdat
	.globl	_ZL36rocblas_hemvn_kernel_upper_block_sumILi64EiPK19rocblas_complex_numIfEPKPS1_S1_EviT1_lS7_lT2_lT0_lPT3_i ; -- Begin function _ZL36rocblas_hemvn_kernel_upper_block_sumILi64EiPK19rocblas_complex_numIfEPKPS1_S1_EviT1_lS7_lT2_lT0_lPT3_i
	.p2align	8
	.type	_ZL36rocblas_hemvn_kernel_upper_block_sumILi64EiPK19rocblas_complex_numIfEPKPS1_S1_EviT1_lS7_lT2_lT0_lPT3_i,@function
_ZL36rocblas_hemvn_kernel_upper_block_sumILi64EiPK19rocblas_complex_numIfEPKPS1_S1_EviT1_lS7_lT2_lT0_lPT3_i: ; @_ZL36rocblas_hemvn_kernel_upper_block_sumILi64EiPK19rocblas_complex_numIfEPKPS1_S1_EviT1_lS7_lT2_lT0_lPT3_i
; %bb.0:
	s_load_b32 s22, s[0:1], 0x50
	s_bfe_u32 s2, ttmp6, 0x40014
	s_lshr_b32 s3, ttmp7, 16
	s_add_co_i32 s2, s2, 1
	s_bfe_u32 s5, ttmp6, 0x40008
	s_mul_i32 s4, s3, s2
	s_getreg_b32 s2, hwreg(HW_REG_IB_STS2, 6, 4)
	s_add_co_i32 s5, s5, s4
	s_cmp_eq_u32 s2, 0
	s_mov_b32 s17, 0
	s_cselect_b32 s16, s3, s5
	s_wait_kmcnt 0x0
	s_cmp_ge_u32 s16, s22
	s_cbranch_scc1 .LBB35_21
; %bb.1:
	s_clause 0x2
	s_load_b32 s3, s[0:1], 0x38
	s_load_b64 s[24:25], s[0:1], 0x48
	s_load_b32 s20, s[0:1], 0x0
	s_bfe_u32 s4, ttmp6, 0x4000c
	s_and_b32 s5, ttmp6, 15
	s_add_co_i32 s4, s4, 1
	s_add_nc_u64 s[18:19], s[0:1], 0x58
	s_mul_i32 s4, ttmp9, s4
	v_mov_b32_e32 v16, 0
	s_add_co_i32 s5, s5, s4
	s_cmp_eq_u32 s2, 0
	s_cselect_b32 s2, ttmp9, s5
	s_clause 0x1
	s_load_b128 s[12:15], s[0:1], 0x28
	s_load_b256 s[4:11], s[0:1], 0x8
	v_lshl_or_b32 v2, s2, 6, v0
	s_delay_alu instid0(VALU_DEP_1)
	v_ashrrev_i32_e32 v3, 31, v2
	s_wait_kmcnt 0x0
	v_mul_lo_u32 v0, s3, v2
	v_cmp_gt_i32_e64 s0, s20, v2
	s_ashr_i32 s21, s20, 31
	v_lshl_add_u64 v[2:3], v[2:3], 3, s[24:25]
	s_cmp_gt_i32 s2, -1
	s_cselect_b32 s23, -1, 0
	s_add_co_i32 s24, s2, 1
	s_lshl_b64 s[20:21], s[20:21], 3
	v_ashrrev_i32_e32 v1, 31, v0
	s_lshl_b64 s[14:15], s[14:15], 3
	s_branch .LBB35_5
.LBB35_2:                               ;   in Loop: Header=BB35_5 Depth=1
	flat_store_b64 v[14:15], v[12:13]
.LBB35_3:                               ;   in Loop: Header=BB35_5 Depth=1
	s_wait_xcnt 0x0
	s_or_b32 exec_lo, exec_lo, s25
.LBB35_4:                               ;   in Loop: Header=BB35_5 Depth=1
	s_add_co_i32 s16, s16, 0x10000
	s_delay_alu instid0(SALU_CYCLE_1)
	s_cmp_lt_u32 s16, s22
	s_cbranch_scc0 .LBB35_21
.LBB35_5:                               ; =>This Loop Header: Depth=1
                                        ;     Child Loop BB35_16 Depth 2
	s_mul_u64 s[2:3], s[6:7], s[16:17]
	s_delay_alu instid0(SALU_CYCLE_1) | instskip(NEXT) | instid1(SALU_CYCLE_1)
	s_lshl_b64 s[2:3], s[2:3], 3
	s_add_nc_u64 s[2:3], s[4:5], s[2:3]
	global_load_b64 v[4:5], v16, s[2:3]
	s_wait_xcnt 0x0
	s_mul_u64 s[2:3], s[10:11], s[16:17]
	s_delay_alu instid0(SALU_CYCLE_1) | instskip(NEXT) | instid1(SALU_CYCLE_1)
	s_lshl_b64 s[2:3], s[2:3], 3
	s_add_nc_u64 s[2:3], s[8:9], s[2:3]
	global_load_b64 v[6:7], v16, s[2:3]
	s_wait_loadcnt 0x1
	v_or_b32_e32 v8, v4, v5
	s_delay_alu instid0(VALU_DEP_1)
	v_and_b32_e32 v8, 0x7fffffff, v8
	s_wait_loadcnt 0x0
	v_cmp_eq_f32_e32 vcc_lo, 1.0, v6
	s_wait_xcnt 0x0
	v_cmp_eq_f32_e64 s2, 0, v7
	v_cmp_eq_u32_e64 s1, 0, v8
	s_and_b32 s2, vcc_lo, s2
	s_delay_alu instid0(SALU_CYCLE_1) | instskip(NEXT) | instid1(SALU_CYCLE_1)
	s_and_b32 s2, s1, s2
	s_and_b32 vcc_lo, exec_lo, s2
	s_cbranch_vccnz .LBB35_4
; %bb.6:                                ;   in Loop: Header=BB35_5 Depth=1
	s_lshl_b64 s[2:3], s[16:17], 3
	s_and_not1_b32 vcc_lo, exec_lo, s1
	s_add_nc_u64 s[2:3], s[12:13], s[2:3]
	s_mov_b32 s1, -1
	s_load_b64 s[2:3], s[2:3], 0x0
	s_wait_kmcnt 0x0
	s_wait_xcnt 0x0
	s_add_nc_u64 s[2:3], s[2:3], s[14:15]
	s_cbranch_vccnz .LBB35_12
; %bb.7:                                ;   in Loop: Header=BB35_5 Depth=1
	s_and_saveexec_b32 s25, s0
	s_cbranch_execz .LBB35_11
; %bb.8:                                ;   in Loop: Header=BB35_5 Depth=1
	v_cmp_neq_f32_e32 vcc_lo, 0, v6
	v_cmp_neq_f32_e64 s1, 0, v7
	v_dual_mov_b32 v8, 0 :: v_dual_mov_b32 v9, 0
	s_or_b32 s1, vcc_lo, s1
	s_delay_alu instid0(SALU_CYCLE_1)
	s_and_not1_b32 vcc_lo, exec_lo, s1
	s_cbranch_vccnz .LBB35_10
; %bb.9:                                ;   in Loop: Header=BB35_5 Depth=1
	v_lshl_add_u64 v[8:9], v[0:1], 3, s[2:3]
	flat_load_b64 v[8:9], v[8:9]
	s_wait_loadcnt_dscnt 0x0
	v_pk_mul_f32 v[10:11], v[8:9], v[6:7] op_sel:[1,1] op_sel_hi:[1,0]
	s_delay_alu instid0(VALU_DEP_1) | instskip(SKIP_2) | instid1(VALU_DEP_2)
	v_pk_fma_f32 v[12:13], v[8:9], v[6:7], v[10:11] op_sel_hi:[0,1,1]
	s_wait_xcnt 0x0
	v_pk_fma_f32 v[8:9], v[8:9], v[6:7], v[10:11] neg_lo:[0,0,1] neg_hi:[0,0,1]
	v_mov_b32_e32 v9, v13
.LBB35_10:                              ;   in Loop: Header=BB35_5 Depth=1
	v_lshl_add_u64 v[10:11], v[0:1], 3, s[2:3]
	flat_store_b64 v[10:11], v[8:9]
.LBB35_11:                              ;   in Loop: Header=BB35_5 Depth=1
	s_wait_xcnt 0x0
	s_or_b32 exec_lo, exec_lo, s25
	s_mov_b32 s1, 0
.LBB35_12:                              ;   in Loop: Header=BB35_5 Depth=1
	s_delay_alu instid0(SALU_CYCLE_1)
	s_and_not1_b32 vcc_lo, exec_lo, s1
	s_cbranch_vccnz .LBB35_4
; %bb.13:                               ;   in Loop: Header=BB35_5 Depth=1
	s_and_saveexec_b32 s25, s0
	s_cbranch_execz .LBB35_3
; %bb.14:                               ;   in Loop: Header=BB35_5 Depth=1
	v_mov_b32_e32 v9, 0
	s_and_not1_b32 vcc_lo, exec_lo, s23
	s_delay_alu instid0(VALU_DEP_1)
	v_mov_b32_e32 v8, v9
	s_cbranch_vccnz .LBB35_17
; %bb.15:                               ;   in Loop: Header=BB35_5 Depth=1
	s_load_b32 s26, s[18:19], 0x0
	s_mov_b32 s27, s17
	v_mov_b32_e32 v8, 0
	s_mov_b32 s1, s24
	s_delay_alu instid0(VALU_DEP_1) | instskip(SKIP_2) | instid1(SALU_CYCLE_1)
	v_mov_b32_e32 v9, v8
	s_wait_kmcnt 0x0
	s_mul_u64 s[26:27], s[20:21], s[26:27]
	v_mad_nc_u64_u32 v[10:11], s26, s16, v[2:3]
	s_delay_alu instid0(VALU_DEP_1)
	v_mad_u32 v11, s27, s16, v11
.LBB35_16:                              ;   Parent Loop BB35_5 Depth=1
                                        ; =>  This Inner Loop Header: Depth=2
	global_load_b64 v[12:13], v[10:11], off
	s_wait_xcnt 0x0
	v_add_nc_u64_e32 v[10:11], s[20:21], v[10:11]
	s_add_co_i32 s1, s1, -1
	s_delay_alu instid0(SALU_CYCLE_1)
	s_cmp_eq_u32 s1, 0
	s_wait_loadcnt 0x0
	v_pk_add_f32 v[8:9], v[8:9], v[12:13]
	s_cbranch_scc0 .LBB35_16
.LBB35_17:                              ;   in Loop: Header=BB35_5 Depth=1
	v_cmp_neq_f32_e32 vcc_lo, 0, v6
	v_cmp_neq_f32_e64 s1, 0, v7
	s_delay_alu instid0(VALU_DEP_3) | instskip(SKIP_1) | instid1(SALU_CYCLE_1)
	v_pk_mul_f32 v[10:11], v[8:9], v[4:5] op_sel:[1,1] op_sel_hi:[1,0]
                                        ; implicit-def: $vgpr13
	s_or_b32 s1, vcc_lo, s1
	s_and_not1_b32 vcc_lo, exec_lo, s1
	s_mov_b32 s1, -1
	s_cbranch_vccz .LBB35_19
; %bb.18:                               ;   in Loop: Header=BB35_5 Depth=1
	v_pk_mul_f32 v[14:15], v[8:9], v[4:5] op_sel_hi:[0,1]
	v_pk_fma_f32 v[12:13], v[8:9], v[4:5], v[10:11] op_sel_hi:[0,1,1]
	s_mov_b32 s1, 0
	s_delay_alu instid0(VALU_DEP_2)
	v_sub_f32_e32 v12, v14, v10
.LBB35_19:                              ;   in Loop: Header=BB35_5 Depth=1
	v_lshl_add_u64 v[14:15], v[0:1], 3, s[2:3]
	s_and_not1_b32 vcc_lo, exec_lo, s1
	s_cbranch_vccnz .LBB35_2
; %bb.20:                               ;   in Loop: Header=BB35_5 Depth=1
	flat_load_b64 v[12:13], v[14:15]
	v_pk_fma_f32 v[22:23], v[8:9], v[4:5], v[10:11] op_sel_hi:[0,1,1]
	v_pk_fma_f32 v[4:5], v[8:9], v[4:5], v[10:11] neg_lo:[0,0,1] neg_hi:[0,0,1]
	s_delay_alu instid0(VALU_DEP_2) | instskip(SKIP_2) | instid1(VALU_DEP_1)
	v_mov_b32_e32 v5, v23
	s_wait_loadcnt_dscnt 0x0
	v_pk_mul_f32 v[18:19], v[12:13], v[6:7] op_sel:[1,1] op_sel_hi:[1,0]
	v_pk_fma_f32 v[20:21], v[12:13], v[6:7], v[18:19] op_sel_hi:[0,1,1]
	v_pk_fma_f32 v[6:7], v[12:13], v[6:7], v[18:19] neg_lo:[0,0,1] neg_hi:[0,0,1]
	s_delay_alu instid0(VALU_DEP_2) | instskip(NEXT) | instid1(VALU_DEP_1)
	v_mov_b32_e32 v7, v21
	v_pk_add_f32 v[12:13], v[4:5], v[6:7]
	s_branch .LBB35_2
.LBB35_21:
	s_endpgm
	.section	.rodata,"a",@progbits
	.p2align	6, 0x0
	.amdhsa_kernel _ZL36rocblas_hemvn_kernel_upper_block_sumILi64EiPK19rocblas_complex_numIfEPKPS1_S1_EviT1_lS7_lT2_lT0_lPT3_i
		.amdhsa_group_segment_fixed_size 0
		.amdhsa_private_segment_fixed_size 0
		.amdhsa_kernarg_size 344
		.amdhsa_user_sgpr_count 2
		.amdhsa_user_sgpr_dispatch_ptr 0
		.amdhsa_user_sgpr_queue_ptr 0
		.amdhsa_user_sgpr_kernarg_segment_ptr 1
		.amdhsa_user_sgpr_dispatch_id 0
		.amdhsa_user_sgpr_kernarg_preload_length 0
		.amdhsa_user_sgpr_kernarg_preload_offset 0
		.amdhsa_user_sgpr_private_segment_size 0
		.amdhsa_wavefront_size32 1
		.amdhsa_uses_dynamic_stack 0
		.amdhsa_enable_private_segment 0
		.amdhsa_system_sgpr_workgroup_id_x 1
		.amdhsa_system_sgpr_workgroup_id_y 0
		.amdhsa_system_sgpr_workgroup_id_z 1
		.amdhsa_system_sgpr_workgroup_info 0
		.amdhsa_system_vgpr_workitem_id 0
		.amdhsa_next_free_vgpr 24
		.amdhsa_next_free_sgpr 28
		.amdhsa_named_barrier_count 0
		.amdhsa_reserve_vcc 1
		.amdhsa_float_round_mode_32 0
		.amdhsa_float_round_mode_16_64 0
		.amdhsa_float_denorm_mode_32 3
		.amdhsa_float_denorm_mode_16_64 3
		.amdhsa_fp16_overflow 0
		.amdhsa_memory_ordered 1
		.amdhsa_forward_progress 1
		.amdhsa_inst_pref_size 7
		.amdhsa_round_robin_scheduling 0
		.amdhsa_exception_fp_ieee_invalid_op 0
		.amdhsa_exception_fp_denorm_src 0
		.amdhsa_exception_fp_ieee_div_zero 0
		.amdhsa_exception_fp_ieee_overflow 0
		.amdhsa_exception_fp_ieee_underflow 0
		.amdhsa_exception_fp_ieee_inexact 0
		.amdhsa_exception_int_div_zero 0
	.end_amdhsa_kernel
	.section	.text._ZL36rocblas_hemvn_kernel_upper_block_sumILi64EiPK19rocblas_complex_numIfEPKPS1_S1_EviT1_lS7_lT2_lT0_lPT3_i,"axG",@progbits,_ZL36rocblas_hemvn_kernel_upper_block_sumILi64EiPK19rocblas_complex_numIfEPKPS1_S1_EviT1_lS7_lT2_lT0_lPT3_i,comdat
.Lfunc_end35:
	.size	_ZL36rocblas_hemvn_kernel_upper_block_sumILi64EiPK19rocblas_complex_numIfEPKPS1_S1_EviT1_lS7_lT2_lT0_lPT3_i, .Lfunc_end35-_ZL36rocblas_hemvn_kernel_upper_block_sumILi64EiPK19rocblas_complex_numIfEPKPS1_S1_EviT1_lS7_lT2_lT0_lPT3_i
                                        ; -- End function
	.set _ZL36rocblas_hemvn_kernel_upper_block_sumILi64EiPK19rocblas_complex_numIfEPKPS1_S1_EviT1_lS7_lT2_lT0_lPT3_i.num_vgpr, 24
	.set _ZL36rocblas_hemvn_kernel_upper_block_sumILi64EiPK19rocblas_complex_numIfEPKPS1_S1_EviT1_lS7_lT2_lT0_lPT3_i.num_agpr, 0
	.set _ZL36rocblas_hemvn_kernel_upper_block_sumILi64EiPK19rocblas_complex_numIfEPKPS1_S1_EviT1_lS7_lT2_lT0_lPT3_i.numbered_sgpr, 28
	.set _ZL36rocblas_hemvn_kernel_upper_block_sumILi64EiPK19rocblas_complex_numIfEPKPS1_S1_EviT1_lS7_lT2_lT0_lPT3_i.num_named_barrier, 0
	.set _ZL36rocblas_hemvn_kernel_upper_block_sumILi64EiPK19rocblas_complex_numIfEPKPS1_S1_EviT1_lS7_lT2_lT0_lPT3_i.private_seg_size, 0
	.set _ZL36rocblas_hemvn_kernel_upper_block_sumILi64EiPK19rocblas_complex_numIfEPKPS1_S1_EviT1_lS7_lT2_lT0_lPT3_i.uses_vcc, 1
	.set _ZL36rocblas_hemvn_kernel_upper_block_sumILi64EiPK19rocblas_complex_numIfEPKPS1_S1_EviT1_lS7_lT2_lT0_lPT3_i.uses_flat_scratch, 0
	.set _ZL36rocblas_hemvn_kernel_upper_block_sumILi64EiPK19rocblas_complex_numIfEPKPS1_S1_EviT1_lS7_lT2_lT0_lPT3_i.has_dyn_sized_stack, 0
	.set _ZL36rocblas_hemvn_kernel_upper_block_sumILi64EiPK19rocblas_complex_numIfEPKPS1_S1_EviT1_lS7_lT2_lT0_lPT3_i.has_recursion, 0
	.set _ZL36rocblas_hemvn_kernel_upper_block_sumILi64EiPK19rocblas_complex_numIfEPKPS1_S1_EviT1_lS7_lT2_lT0_lPT3_i.has_indirect_call, 0
	.section	.AMDGPU.csdata,"",@progbits
; Kernel info:
; codeLenInByte = 896
; TotalNumSgprs: 30
; NumVgprs: 24
; ScratchSize: 0
; MemoryBound: 0
; FloatMode: 240
; IeeeMode: 1
; LDSByteSize: 0 bytes/workgroup (compile time only)
; SGPRBlocks: 0
; VGPRBlocks: 1
; NumSGPRsForWavesPerEU: 30
; NumVGPRsForWavesPerEU: 24
; NamedBarCnt: 0
; Occupancy: 16
; WaveLimiterHint : 1
; COMPUTE_PGM_RSRC2:SCRATCH_EN: 0
; COMPUTE_PGM_RSRC2:USER_SGPR: 2
; COMPUTE_PGM_RSRC2:TRAP_HANDLER: 0
; COMPUTE_PGM_RSRC2:TGID_X_EN: 1
; COMPUTE_PGM_RSRC2:TGID_Y_EN: 0
; COMPUTE_PGM_RSRC2:TGID_Z_EN: 1
; COMPUTE_PGM_RSRC2:TIDIG_COMP_CNT: 0
	.section	.text._ZL26rocblas_hemvn_kernel_upperILb1ELi64ELi4ELi33ELi32ELi16El19rocblas_complex_numIfEPKPKS1_PS1_EviT6_lT7_lT5_lS8_lS9_lS7_lT8_i,"axG",@progbits,_ZL26rocblas_hemvn_kernel_upperILb1ELi64ELi4ELi33ELi32ELi16El19rocblas_complex_numIfEPKPKS1_PS1_EviT6_lT7_lT5_lS8_lS9_lS7_lT8_i,comdat
	.globl	_ZL26rocblas_hemvn_kernel_upperILb1ELi64ELi4ELi33ELi32ELi16El19rocblas_complex_numIfEPKPKS1_PS1_EviT6_lT7_lT5_lS8_lS9_lS7_lT8_i ; -- Begin function _ZL26rocblas_hemvn_kernel_upperILb1ELi64ELi4ELi33ELi32ELi16El19rocblas_complex_numIfEPKPKS1_PS1_EviT6_lT7_lT5_lS8_lS9_lS7_lT8_i
	.p2align	8
	.type	_ZL26rocblas_hemvn_kernel_upperILb1ELi64ELi4ELi33ELi32ELi16El19rocblas_complex_numIfEPKPKS1_PS1_EviT6_lT7_lT5_lS8_lS9_lS7_lT8_i,@function
_ZL26rocblas_hemvn_kernel_upperILb1ELi64ELi4ELi33ELi32ELi16El19rocblas_complex_numIfEPKPKS1_PS1_EviT6_lT7_lT5_lS8_lS9_lS7_lT8_i: ; @_ZL26rocblas_hemvn_kernel_upperILb1ELi64ELi4ELi33ELi32ELi16El19rocblas_complex_numIfEPKPKS1_PS1_EviT6_lT7_lT5_lS8_lS9_lS7_lT8_i
; %bb.0:
	s_clause 0x1
	s_load_b64 s[2:3], s[0:1], 0x84
	s_load_b32 s33, s[0:1], 0x70
	s_bfe_u32 s4, ttmp6, 0x40014
	s_lshr_b32 s5, ttmp7, 16
	s_add_co_i32 s4, s4, 1
	s_bfe_u32 s7, ttmp6, 0x40008
	s_mul_i32 s4, s5, s4
	s_getreg_b32 s6, hwreg(HW_REG_IB_STS2, 6, 4)
	s_add_co_i32 s7, s7, s4
	s_mov_b32 s23, 0
	s_wait_kmcnt 0x0
	s_lshr_b32 s4, s2, 16
	s_and_b32 s2, s2, 0xffff
	s_and_b32 s3, s3, 0xffff
	s_mul_i32 s2, s4, s2
	s_cmp_eq_u32 s6, 0
	s_mul_i32 s2, s2, s3
	s_cselect_b32 s22, s5, s7
	s_cmp_lg_u32 s2, 0x100
	s_cselect_b32 s2, -1, 0
	s_cmp_ge_u32 s22, s33
	s_cselect_b32 s3, -1, 0
	s_delay_alu instid0(SALU_CYCLE_1) | instskip(NEXT) | instid1(SALU_CYCLE_1)
	s_or_b32 s2, s2, s3
	s_and_b32 vcc_lo, exec_lo, s2
	s_cbranch_vccnz .LBB36_165
; %bb.1:
	s_clause 0x3
	s_load_b32 s2, s[0:1], 0x0
	s_load_b64 s[8:9], s[0:1], 0x4
	s_load_b64 s[4:5], s[0:1], 0x68
	;; [unrolled: 1-line block ×3, first 2 shown]
	s_bfe_u32 s3, ttmp6, 0x4000c
	s_and_b32 s7, ttmp6, 15
	s_add_co_i32 s3, s3, 1
	s_add_nc_u64 s[10:11], s[0:1], 0x78
	s_mul_i32 s3, ttmp9, s3
	s_clause 0x1
	s_load_b128 s[24:27], s[0:1], 0x18
	s_load_b64 s[60:61], s[0:1], 0x28
	s_add_co_i32 s7, s7, s3
	s_clause 0x1
	s_load_b128 s[28:31], s[0:1], 0x38
	s_load_b64 s[34:35], s[0:1], 0x48
	v_and_b32_e32 v178, 0x3ff, v0
	v_bfe_u32 v1, v0, 10, 10
	v_dual_mov_b32 v59, 0 :: v_dual_bitop2_b32 v56, 31, v0 bitop3:0x40
	s_load_b32 s38, s[10:11], 0x0
	s_delay_alu instid0(VALU_DEP_3) | instskip(NEXT) | instid1(VALU_DEP_3)
	v_lshlrev_b32_e32 v60, 3, v178
	v_lshl_add_u32 v36, v1, 6, v178
	s_mov_b32 s39, s23
	v_mov_b32_e32 v57, v59
	s_wait_kmcnt 0x0
	s_ashr_i32 s3, s2, 31
	s_cmp_eq_u32 s6, 0
	v_and_b32_e32 v46, 0x7fe0, v36
	s_cselect_b32 s36, ttmp9, s7
	s_or_b32 s0, s8, s9
	v_sub_nc_u64_e32 v[100:101], 0, v[56:57]
	s_bitset0_b32 s0, 31
	v_mov_b64_e32 v[102:103], 0
	s_cmp_eq_u32 s0, 0
	v_dual_mov_b32 v61, v59 :: v_dual_add_nc_u32 v182, 0x2380, v46
	s_cselect_b32 s72, -1, 0
	s_cmp_lg_u32 s0, 0
	v_cmp_eq_u32_e64 s0, 0, v1
	s_cselect_b32 s68, -1, 0
	s_cmp_neq_f32 s12, 1.0
	s_mul_u64 s[42:43], s[38:39], s[2:3]
	v_cmp_gt_u32_e64 s15, 32, v36
	v_cmp_gt_u32_e64 s20, 64, v36
	s_cselect_b32 s58, -1, 0
	s_cmp_neq_f32 s13, 0
	v_mad_u32_u24 v192, 0x860, v1, v60
	v_mad_u32_u24 v193, 0x218, v1, v60
	v_add_nc_u32_e32 v196, 0x2380, v60
	s_cselect_b32 s59, -1, 0
	s_lshl_b32 s66, s36, 6
	s_delay_alu instid0(SALU_CYCLE_1) | instskip(SKIP_3) | instid1(VALU_DEP_2)
	v_dual_lshrrev_b32 v37, 5, v36 :: v_dual_add_nc_u32 v64, s66, v178
	v_lshlrev_b32_e32 v38, 3, v56
	s_lshr_b32 s1, s3, 26
	s_add_co_i32 s6, s38, -1
	v_dual_add_nc_u32 v42, 24, v37 :: v_dual_lshlrev_b32 v43, 2, v37
	v_lshlrev_b32_e32 v58, 5, v1
	v_mad_nc_u64_u32 v[62:63], s60, v37, v[56:57]
	v_dual_ashrrev_i32 v65, 31, v64 :: v_dual_add_nc_u32 v39, 8, v37
	s_delay_alu instid0(VALU_DEP_4) | instskip(NEXT) | instid1(VALU_DEP_4)
	v_or_b32_e32 v34, 2, v43
	v_add_nc_u64_e32 v[2:3], 0x100, v[58:59]
	v_add_nc_u64_e32 v[4:5], 0x110, v[58:59]
	;; [unrolled: 1-line block ×7, first 2 shown]
	v_mul_u64_e32 v[2:3], s[60:61], v[2:3]
	v_mul_u64_e32 v[4:5], s[60:61], v[4:5]
	;; [unrolled: 1-line block ×3, first 2 shown]
	v_add_nc_u64_e32 v[16:17], 0x198, v[58:59]
	v_add_nc_u64_e32 v[18:19], 0x200, v[58:59]
	;; [unrolled: 1-line block ×9, first 2 shown]
	v_mad_u32 v63, s61, v37, v63
	v_mul_u64_e32 v[8:9], s[60:61], v[8:9]
	v_mul_u64_e32 v[10:11], s[60:61], v[10:11]
	;; [unrolled: 1-line block ×13, first 2 shown]
	v_add_nc_u32_e32 v41, 16, v37
	v_lshl_or_b32 v44, v56, 8, v38
	v_cmp_le_u32_e64 s8, v34, v56
	v_cmp_eq_u32_e64 s9, v34, v56
	v_lshlrev_b64_e32 v[34:35], 3, v[62:63]
	v_mul_u64_e32 v[98:99], s[34:35], v[64:65]
	s_add_co_i32 s1, s2, s1
	v_dual_add_nc_u32 v180, v44, v46 :: v_dual_bitop2_b32 v47, 3, v43 bitop3:0x54
	v_mul_u32_u24_e32 v44, 33, v56
	s_and_not1_b32 s1, s1, 63
	v_cmp_eq_u32_e64 s7, v43, v56
	s_sub_co_i32 s73, s2, s1
	s_cmp_eq_u32 s36, s6
	v_cmp_le_u32_e64 s6, v43, v56
	v_cmp_ge_u32_e64 s10, v43, v56
	v_or_b32_e32 v43, 1, v43
	v_sub_nc_u64_e32 v[66:67], v[2:3], v[34:35]
	v_dual_lshlrev_b32 v2, 3, v37 :: v_dual_lshlrev_b32 v181, 3, v44
	v_or_b32_e32 v3, 32, v56
	s_cselect_b32 s40, s73, 0
	v_sub_nc_u64_e32 v[68:69], v[4:5], v[34:35]
	v_dual_lshlrev_b32 v188, 2, v1 :: v_dual_bitop2_b32 v5, 48, v0 bitop3:0x40
	v_add_nc_u32_e32 v183, v181, v2
	v_cmp_gt_i32_e64 s14, s40, v3
	s_delay_alu instid0(VALU_DEP_3) | instskip(SKIP_3) | instid1(VALU_DEP_3)
	v_dual_lshrrev_b32 v3, 4, v36 :: v_dual_lshlrev_b32 v5, 3, v5
	s_cmp_lg_u32 s40, 0
	v_mul_u32_u24_e32 v45, 0x420, v37
	v_sub_nc_u64_e32 v[70:71], v[6:7], v[34:35]
	v_dual_lshlrev_b32 v6, 5, v3 :: v_dual_bitop2_b32 v0, 15, v0 bitop3:0x40
	v_or_b32_e32 v7, 0x78, v60
	v_cmp_gt_i32_e32 vcc_lo, s40, v178
	s_cselect_b32 s39, -1, 0
	s_cmp_eq_u32 s40, 0
	v_mul_u32_u24_e32 v40, 0x108, v37
	s_cselect_b32 s1, -1, 0
	s_ashr_i32 s37, s36, 31
	v_mul_u32_u24_e32 v4, 0x108, v43
	v_add_nc_u32_e32 v190, v38, v45
	v_mad_u32_u24 v185, 0x218, v0, v6
	v_mad_u32_u24 v186, 0x218, v0, v5
	v_mad_u32_u24 v187, 0x218, v0, v7
	v_mul_i32_i24_e32 v0, 0xffffffe8, v3
	s_mul_u64 s[2:3], s[2:3], s[36:37]
	s_or_b32 s62, s1, vcc_lo
	s_add_co_i32 s63, s36, 1
	s_lshl_b64 s[2:3], s[2:3], 3
	s_xor_b32 s37, s62, -1
	s_ashr_i32 s67, s66, 31
	s_ashr_i32 s41, s40, 31
	s_lshl_b64 s[48:49], s[60:61], 6
	s_lshl_b64 s[50:51], s[60:61], 7
	v_sub_nc_u64_e32 v[72:73], v[8:9], v[34:35]
	v_sub_nc_u64_e32 v[74:75], v[10:11], v[34:35]
	;; [unrolled: 1-line block ×13, first 2 shown]
	s_sub_co_i32 s19, s40, 32
	s_lshl_b64 s[54:55], s[60:61], 5
	s_cmp_lt_u32 s63, s38
	s_add_nc_u64 s[44:45], s[4:5], s[2:3]
	v_cmp_gt_i32_e64 s1, s40, v56
	v_cmp_gt_i32_e64 s2, s40, v37
	;; [unrolled: 1-line block ×5, first 2 shown]
	v_mad_u32_u24 v179, 0x108, v56, v38
	v_cmp_le_u32_e64 s11, v47, v56
	v_cmp_eq_u32_e64 s12, v47, v56
	v_cmp_eq_u32_e64 s13, v43, v56
	v_cmp_gt_i32_e64 s16, s19, v37
	v_cmp_gt_i32_e64 s17, s19, v39
	;; [unrolled: 1-line block ×4, first 2 shown]
	v_cmp_eq_u32_e64 s21, 1, v37
	v_mul_i32_i24_e32 v184, 0xffffffe8, v37
	v_add_nc_u32_e32 v189, v38, v40
	v_add_nc_u32_e32 v191, v38, v4
	;; [unrolled: 1-line block ×4, first 2 shown]
	v_dual_add_nc_u32 v197, 8, v180 :: v_dual_add_nc_u32 v198, 16, v180
	v_add_nc_u32_e32 v199, 24, v180
	v_add_nc_u32_e32 v200, 0x2180, v60
	;; [unrolled: 1-line block ×3, first 2 shown]
	v_dual_add_nc_u32 v205, 16, v188 :: v_dual_bitop2_b32 v202, 1, v188 bitop3:0x54
	v_dual_add_nc_u32 v206, 17, v188 :: v_dual_bitop2_b32 v203, 2, v188 bitop3:0x54
	;; [unrolled: 1-line block ×3, first 2 shown]
	v_dual_add_nc_u32 v208, 19, v188 :: v_dual_add_nc_u32 v209, 32, v188
	v_dual_add_nc_u32 v210, 33, v188 :: v_dual_add_nc_u32 v211, 34, v188
	;; [unrolled: 1-line block ×4, first 2 shown]
	v_add_nc_u32_e32 v216, 51, v188
	s_mul_u64 s[56:57], s[34:35], s[66:67]
	s_cselect_b32 s74, -1, 0
	s_or_b32 s69, s58, s59
	s_mul_u64 s[46:47], s[60:61], s[66:67]
	s_mul_u64 s[52:53], s[60:61], 0xc0
	s_sub_nc_u64 s[56:57], 0, s[56:57]
	s_add_co_i32 s75, s38, -2
	s_and_b32 s76, s0, s62
	s_sub_nc_u64 s[58:59], 0, s[40:41]
	s_add_co_i32 s77, s66, 64
	s_lshl_b64 s[60:61], s[60:61], 9
	s_mov_b64 s[62:63], 0xffffffffffffff00
	s_mov_b64 s[64:65], 0xfffffffffffffef8
	s_or_b32 s78, s69, s68
	s_lshl_b64 s[30:31], s[30:31], 3
	s_lshl_b64 s[26:27], s[26:27], 3
	;; [unrolled: 1-line block ×3, first 2 shown]
	s_branch .LBB36_4
.LBB36_2:                               ;   in Loop: Header=BB36_4 Depth=1
	s_wait_xcnt 0x0
	s_or_b32 exec_lo, exec_lo, s70
.LBB36_3:                               ;   in Loop: Header=BB36_4 Depth=1
	s_add_co_i32 s22, s22, 0x10000
	s_delay_alu instid0(SALU_CYCLE_1)
	s_cmp_lt_u32 s22, s33
	s_cbranch_scc0 .LBB36_165
.LBB36_4:                               ; =>This Loop Header: Depth=1
                                        ;     Child Loop BB36_107 Depth 2
	s_and_not1_b32 vcc_lo, exec_lo, s78
	s_cbranch_vccnz .LBB36_3
; %bb.5:                                ;   in Loop: Header=BB36_4 Depth=1
	s_and_b32 vcc_lo, exec_lo, s72
	s_mov_b32 s68, -1
	s_cbranch_vccz .LBB36_7
; %bb.6:                                ;   in Loop: Header=BB36_4 Depth=1
	s_mov_b32 s68, 0
.LBB36_7:                               ;   in Loop: Header=BB36_4 Depth=1
	s_delay_alu instid0(SALU_CYCLE_1)
	s_and_not1_b32 vcc_lo, exec_lo, s68
	s_cbranch_vccnz .LBB36_3
; %bb.8:                                ;   in Loop: Header=BB36_4 Depth=1
	v_mov_b32_e32 v0, s22
	s_clause 0x1
	global_load_b64 v[2:3], v0, s[28:29] scale_offset
	global_load_b64 v[0:1], v0, s[24:25] scale_offset
	s_wait_loadcnt 0x1
	v_add_nc_u64_e32 v[2:3], s[30:31], v[2:3]
	s_delay_alu instid0(VALU_DEP_1)
	v_lshl_add_u64 v[12:13], v[98:99], 3, v[2:3]
	s_wait_xcnt 0x0
	s_and_saveexec_b32 s68, s0
	s_cbranch_execz .LBB36_13
; %bb.9:                                ;   in Loop: Header=BB36_4 Depth=1
	s_and_saveexec_b32 s69, s37
	s_delay_alu instid0(SALU_CYCLE_1)
	s_xor_b32 s69, exec_lo, s69
; %bb.10:                               ;   in Loop: Header=BB36_4 Depth=1
	ds_store_b64 v196, v[102:103]
; %bb.11:                               ;   in Loop: Header=BB36_4 Depth=1
	s_and_not1_saveexec_b32 s69, s69
	s_cbranch_execz .LBB36_13
; %bb.12:                               ;   in Loop: Header=BB36_4 Depth=1
	flat_load_b64 v[2:3], v[12:13]
	s_wait_loadcnt_dscnt 0x0
	ds_store_b64 v196, v[2:3]
.LBB36_13:                              ;   in Loop: Header=BB36_4 Depth=1
	s_wait_xcnt 0x0
	s_or_b32 exec_lo, exec_lo, s68
	s_wait_loadcnt 0x0
	v_add_nc_u64_e32 v[0:1], s[26:27], v[0:1]
	s_and_b32 vcc_lo, exec_lo, s39
	s_mov_b32 s68, -1
	s_delay_alu instid0(VALU_DEP_1) | instskip(NEXT) | instid1(VALU_DEP_1)
	v_add_nc_u64_e32 v[0:1], s[66:67], v[0:1]
	v_lshl_add_u64 v[0:1], v[62:63], 3, v[0:1]
	s_delay_alu instid0(VALU_DEP_1)
	v_lshl_add_u64 v[2:3], s[46:47], 3, v[0:1]
                                        ; implicit-def: $vgpr0_vgpr1
	s_cbranch_vccz .LBB36_23
; %bb.14:                               ;   in Loop: Header=BB36_4 Depth=1
	s_delay_alu instid0(VALU_DEP_1) | instskip(SKIP_2) | instid1(VALU_DEP_3)
	v_lshl_add_u64 v[0:1], v[100:101], 3, v[2:3]
	v_dual_mov_b32 v6, 0 :: v_dual_mov_b32 v4, 0
	v_mov_b32_e32 v5, 0
	v_lshl_add_u64 v[0:1], s[40:41], 3, v[0:1]
	s_delay_alu instid0(VALU_DEP_1) | instskip(NEXT) | instid1(VALU_DEP_1)
	v_add_nc_u64_e32 v[0:1], -8, v[0:1]
	v_dual_cndmask_b32 v1, v1, v3, s1 :: v_dual_cndmask_b32 v0, v0, v2, s1
	s_and_saveexec_b32 s68, s2
	s_cbranch_execz .LBB36_16
; %bb.15:                               ;   in Loop: Header=BB36_4 Depth=1
	flat_load_b64 v[4:5], v[0:1]
.LBB36_16:                              ;   in Loop: Header=BB36_4 Depth=1
	s_wait_xcnt 0x0
	s_or_b32 exec_lo, exec_lo, s68
	v_mov_b32_e32 v7, 0
	s_wait_loadcnt_dscnt 0x0
	ds_store_b64 v189, v[4:5]
	s_and_saveexec_b32 s68, s3
	s_cbranch_execz .LBB36_18
; %bb.17:                               ;   in Loop: Header=BB36_4 Depth=1
	v_add_nc_u64_e32 v[4:5], s[48:49], v[0:1]
	flat_load_b64 v[6:7], v[4:5]
.LBB36_18:                              ;   in Loop: Header=BB36_4 Depth=1
	s_wait_xcnt 0x0
	s_or_b32 exec_lo, exec_lo, s68
	v_dual_mov_b32 v4, 0 :: v_dual_mov_b32 v8, 0
	v_mov_b32_e32 v9, 0
	s_wait_loadcnt_dscnt 0x0
	ds_store_b64 v189, v[6:7] offset:2112
	s_and_saveexec_b32 s68, s4
	s_cbranch_execz .LBB36_20
; %bb.19:                               ;   in Loop: Header=BB36_4 Depth=1
	v_add_nc_u64_e32 v[6:7], s[50:51], v[0:1]
	flat_load_b64 v[8:9], v[6:7]
.LBB36_20:                              ;   in Loop: Header=BB36_4 Depth=1
	s_wait_xcnt 0x0
	s_or_b32 exec_lo, exec_lo, s68
	v_mov_b32_e32 v5, 0
	s_wait_loadcnt_dscnt 0x0
	ds_store_b64 v189, v[8:9] offset:4224
	s_and_saveexec_b32 s68, s5
	s_cbranch_execz .LBB36_22
; %bb.21:                               ;   in Loop: Header=BB36_4 Depth=1
	v_add_nc_u64_e32 v[4:5], s[52:53], v[0:1]
	flat_load_b64 v[4:5], v[4:5]
.LBB36_22:                              ;   in Loop: Header=BB36_4 Depth=1
	s_wait_xcnt 0x0
	s_or_b32 exec_lo, exec_lo, s68
	v_lshlrev_b32_e32 v58, 3, v56
	s_mov_b32 s68, 0
	s_wait_loadcnt_dscnt 0x0
	ds_store_b64 v189, v[4:5] offset:6336
	v_add_nc_u64_e32 v[0:1], v[0:1], v[58:59]
	s_delay_alu instid0(VALU_DEP_1) | instskip(NEXT) | instid1(VALU_DEP_1)
	v_lshl_add_u64 v[0:1], s[58:59], 3, v[0:1]
	v_add_nc_u64_e32 v[0:1], 8, v[0:1]
	s_delay_alu instid0(VALU_DEP_1)
	v_dual_cndmask_b32 v1, v1, v3, s1 :: v_dual_cndmask_b32 v0, v0, v2, s1
.LBB36_23:                              ;   in Loop: Header=BB36_4 Depth=1
	s_and_b32 vcc_lo, exec_lo, s68
	s_cbranch_vccz .LBB36_25
; %bb.24:                               ;   in Loop: Header=BB36_4 Depth=1
	s_delay_alu instid0(VALU_DEP_1) | instskip(NEXT) | instid1(VALU_DEP_1)
	v_add_nc_u64_e32 v[0:1], s[48:49], v[2:3]
	v_add_nc_u64_e32 v[4:5], s[48:49], v[0:1]
	s_delay_alu instid0(VALU_DEP_1)
	v_add_nc_u64_e32 v[6:7], s[48:49], v[4:5]
	s_clause 0x3
	flat_load_b64 v[8:9], v[2:3]
	flat_load_b64 v[10:11], v[0:1]
	;; [unrolled: 1-line block ×4, first 2 shown]
	s_wait_xcnt 0x2
	v_mov_b64_e32 v[0:1], v[2:3]
	s_wait_loadcnt_dscnt 0x303
	ds_store_b64 v189, v[8:9]
	s_wait_loadcnt_dscnt 0x203
	ds_store_b64 v189, v[10:11] offset:2112
	s_wait_loadcnt_dscnt 0x103
	ds_store_b64 v189, v[4:5] offset:4224
	;; [unrolled: 2-line block ×3, first 2 shown]
.LBB36_25:                              ;   in Loop: Header=BB36_4 Depth=1
	s_mov_b32 s68, 0
	s_wait_dscnt 0x0
	s_barrier_signal -1
	s_barrier_wait -1
	s_wait_xcnt 0x0
	s_and_saveexec_b32 s69, s6
	s_delay_alu instid0(SALU_CYCLE_1)
	s_xor_b32 s69, exec_lo, s69
; %bb.26:                               ;   in Loop: Header=BB36_4 Depth=1
	s_and_b32 s68, s7, exec_lo
; %bb.27:                               ;   in Loop: Header=BB36_4 Depth=1
	s_or_saveexec_b32 s69, s69
	v_dual_mov_b32 v2, 0 :: v_dual_mov_b32 v3, v179
	s_xor_b32 exec_lo, exec_lo, s69
	s_cbranch_execz .LBB36_29
; %bb.28:                               ;   in Loop: Header=BB36_4 Depth=1
	ds_load_b64 v[4:5], v190
	v_mov_b32_e32 v3, v180
	s_or_b32 s68, s68, exec_lo
	s_wait_dscnt 0x0
	v_xor_b32_e32 v2, 0x80000000, v5
	ds_store_b32 v180, v4
.LBB36_29:                              ;   in Loop: Header=BB36_4 Depth=1
	s_or_b32 exec_lo, exec_lo, s69
	s_and_saveexec_b32 s69, s68
; %bb.30:                               ;   in Loop: Header=BB36_4 Depth=1
	ds_store_b32 v3, v2 offset:4
; %bb.31:                               ;   in Loop: Header=BB36_4 Depth=1
	s_or_b32 exec_lo, exec_lo, s69
	s_mov_b32 s68, 0
                                        ; implicit-def: $vgpr2
	s_and_saveexec_b32 s69, s10
	s_delay_alu instid0(SALU_CYCLE_1)
	s_xor_b32 s69, exec_lo, s69
	s_cbranch_execnz .LBB36_161
; %bb.32:                               ;   in Loop: Header=BB36_4 Depth=1
	s_or_saveexec_b32 s69, s69
	v_mov_b32_e32 v3, v197
	s_xor_b32 exec_lo, exec_lo, s69
	s_cbranch_execnz .LBB36_162
.LBB36_33:                              ;   in Loop: Header=BB36_4 Depth=1
	s_or_b32 exec_lo, exec_lo, s69
	s_and_saveexec_b32 s69, s68
.LBB36_34:                              ;   in Loop: Header=BB36_4 Depth=1
	ds_store_b32 v3, v2 offset:4
.LBB36_35:                              ;   in Loop: Header=BB36_4 Depth=1
	s_or_b32 exec_lo, exec_lo, s69
	s_mov_b32 s68, 0
	s_and_saveexec_b32 s69, s8
	s_delay_alu instid0(SALU_CYCLE_1)
	s_xor_b32 s69, exec_lo, s69
; %bb.36:                               ;   in Loop: Header=BB36_4 Depth=1
	s_and_b32 s68, s9, exec_lo
; %bb.37:                               ;   in Loop: Header=BB36_4 Depth=1
	s_or_saveexec_b32 s69, s69
	v_dual_mov_b32 v2, 0 :: v_dual_mov_b32 v3, v179
	s_xor_b32 exec_lo, exec_lo, s69
	s_cbranch_execz .LBB36_39
; %bb.38:                               ;   in Loop: Header=BB36_4 Depth=1
	ds_load_b64 v[4:5], v191 offset:264
	v_mov_b32_e32 v3, v198
	s_or_b32 s68, s68, exec_lo
	s_wait_dscnt 0x0
	v_xor_b32_e32 v2, 0x80000000, v5
	ds_store_b32 v198, v4
.LBB36_39:                              ;   in Loop: Header=BB36_4 Depth=1
	s_or_b32 exec_lo, exec_lo, s69
	s_and_saveexec_b32 s69, s68
; %bb.40:                               ;   in Loop: Header=BB36_4 Depth=1
	ds_store_b32 v3, v2 offset:4
; %bb.41:                               ;   in Loop: Header=BB36_4 Depth=1
	s_or_b32 exec_lo, exec_lo, s69
	s_mov_b32 s68, 0
	s_and_saveexec_b32 s69, s11
	s_delay_alu instid0(SALU_CYCLE_1)
	s_xor_b32 s69, exec_lo, s69
; %bb.42:                               ;   in Loop: Header=BB36_4 Depth=1
	s_and_b32 s68, s12, exec_lo
; %bb.43:                               ;   in Loop: Header=BB36_4 Depth=1
	s_or_saveexec_b32 s69, s69
	v_dual_mov_b32 v2, 0 :: v_dual_mov_b32 v3, v179
	s_xor_b32 exec_lo, exec_lo, s69
	s_cbranch_execz .LBB36_45
; %bb.44:                               ;   in Loop: Header=BB36_4 Depth=1
	ds_load_b64 v[4:5], v191 offset:528
	v_mov_b32_e32 v3, v199
	s_or_b32 s68, s68, exec_lo
	s_wait_dscnt 0x0
	v_xor_b32_e32 v2, 0x80000000, v5
	ds_store_b32 v199, v4
.LBB36_45:                              ;   in Loop: Header=BB36_4 Depth=1
	s_or_b32 exec_lo, exec_lo, s69
	s_and_saveexec_b32 s69, s68
; %bb.46:                               ;   in Loop: Header=BB36_4 Depth=1
	ds_store_b32 v3, v2 offset:4
; %bb.47:                               ;   in Loop: Header=BB36_4 Depth=1
	s_or_b32 exec_lo, exec_lo, s69
	s_wait_dscnt 0x0
	s_barrier_signal -1
	s_barrier_wait -1
	ds_load_b64 v[10:11], v190
	ds_load_b128 v[2:5], v182
	ds_load_2addr_b64 v[6:9], v191 offset1:33
	ds_load_b128 v[14:17], v182 offset:16
	ds_load_b64 v[18:19], v191 offset:528
	v_mov_b64_e32 v[104:105], 0
	s_wait_dscnt 0x0
	s_barrier_signal -1
	s_barrier_wait -1
	v_pk_mul_f32 v[20:21], v[2:3], v[10:11] op_sel:[1,1] op_sel_hi:[0,1]
	v_dual_mov_b32 v22, v5 :: v_dual_mov_b32 v23, v4
	v_pk_mul_f32 v[24:25], v[14:15], v[8:9] op_sel:[1,1] op_sel_hi:[0,1]
	v_dual_mov_b32 v28, v17 :: v_dual_mov_b32 v29, v16
	s_delay_alu instid0(VALU_DEP_4) | instskip(NEXT) | instid1(VALU_DEP_4)
	v_pk_fma_f32 v[26:27], v[2:3], v[10:11], v[20:21] op_sel_hi:[1,0,1]
	v_pk_mul_f32 v[22:23], v[22:23], v[6:7] op_sel:[0,1]
	v_pk_fma_f32 v[2:3], v[2:3], v[10:11], v[20:21] neg_lo:[0,0,1] neg_hi:[0,0,1]
	v_pk_fma_f32 v[20:21], v[14:15], v[8:9], v[24:25] op_sel_hi:[1,0,1]
	s_delay_alu instid0(VALU_DEP_3)
	v_pk_fma_f32 v[10:11], v[4:5], v[6:7], v[22:23] op_sel_hi:[1,0,1]
	v_mov_b32_e32 v3, v27
	v_pk_fma_f32 v[4:5], v[4:5], v[6:7], v[22:23] neg_lo:[0,0,1] neg_hi:[0,0,1]
	v_pk_mul_f32 v[26:27], v[28:29], v[18:19] op_sel:[0,1]
	v_pk_fma_f32 v[6:7], v[14:15], v[8:9], v[24:25] neg_lo:[0,0,1] neg_hi:[0,0,1]
	v_mov_b32_e32 v5, v11
	v_pk_add_f32 v[2:3], v[2:3], 0 op_sel_hi:[1,0]
	s_delay_alu instid0(VALU_DEP_4) | instskip(SKIP_1) | instid1(VALU_DEP_3)
	v_pk_fma_f32 v[8:9], v[16:17], v[18:19], v[26:27] op_sel_hi:[1,0,1]
	v_mov_b32_e32 v7, v21
	v_pk_add_f32 v[2:3], v[2:3], v[4:5]
	v_pk_fma_f32 v[4:5], v[16:17], v[18:19], v[26:27] neg_lo:[0,0,1] neg_hi:[0,0,1]
	s_delay_alu instid0(VALU_DEP_4) | instskip(NEXT) | instid1(VALU_DEP_3)
	v_mov_b32_e32 v5, v9
	v_pk_add_f32 v[2:3], v[2:3], v[6:7]
	s_delay_alu instid0(VALU_DEP_1)
	v_pk_add_f32 v[2:3], v[2:3], v[4:5]
	ds_store_b64 v183, v[2:3]
	s_wait_dscnt 0x0
	s_barrier_signal -1
	s_barrier_wait -1
	s_and_saveexec_b32 s68, s15
	s_cbranch_execz .LBB36_49
; %bb.48:                               ;   in Loop: Header=BB36_4 Depth=1
	ds_load_2addr_b64 v[2:5], v181 offset1:7
	ds_load_2addr_b64 v[6:9], v181 offset0:1 offset1:2
	ds_load_2addr_b64 v[14:17], v181 offset0:3 offset1:4
	ds_load_2addr_b64 v[18:21], v181 offset0:5 offset1:6
	s_wait_dscnt 0x2
	v_dual_add_f32 v2, v6, v2 :: v_dual_add_f32 v3, v7, v3
	s_delay_alu instid0(VALU_DEP_1) | instskip(SKIP_1) | instid1(VALU_DEP_1)
	v_dual_add_f32 v2, v8, v2 :: v_dual_add_f32 v3, v9, v3
	s_wait_dscnt 0x1
	v_dual_add_f32 v2, v2, v14 :: v_dual_add_f32 v3, v3, v15
	s_delay_alu instid0(VALU_DEP_1) | instskip(SKIP_1) | instid1(VALU_DEP_1)
	v_dual_add_f32 v2, v2, v16 :: v_dual_add_f32 v3, v3, v17
	s_wait_dscnt 0x0
	v_dual_add_f32 v2, v2, v18 :: v_dual_add_f32 v3, v3, v19
	s_delay_alu instid0(VALU_DEP_1) | instskip(NEXT) | instid1(VALU_DEP_1)
	v_dual_add_f32 v2, v2, v20 :: v_dual_add_f32 v3, v3, v21
	v_pk_add_f32 v[104:105], v[2:3], v[4:5]
.LBB36_49:                              ;   in Loop: Header=BB36_4 Depth=1
	s_or_b32 exec_lo, exec_lo, s68
	v_lshl_add_u64 v[4:5], s[54:55], 3, v[0:1]
	s_and_b32 vcc_lo, exec_lo, s39
	s_mov_b32 s68, -1
	s_barrier_signal -1
	s_delay_alu instid0(VALU_DEP_1)
	v_add_nc_u64_e32 v[2:3], 0x100, v[4:5]
	s_barrier_wait -1
                                        ; implicit-def: $vgpr0_vgpr1
	s_cbranch_vccz .LBB36_59
; %bb.50:                               ;   in Loop: Header=BB36_4 Depth=1
	v_lshl_add_u64 v[0:1], v[100:101], 3, v[4:5]
	v_dual_mov_b32 v8, 0 :: v_dual_mov_b32 v6, 0
	v_mov_b32_e32 v7, 0
	s_delay_alu instid0(VALU_DEP_3) | instskip(NEXT) | instid1(VALU_DEP_1)
	v_lshl_add_u64 v[0:1], s[40:41], 3, v[0:1]
	v_add_nc_u64_e32 v[0:1], -8, v[0:1]
	s_delay_alu instid0(VALU_DEP_1)
	v_dual_cndmask_b32 v1, v1, v3, s14 :: v_dual_cndmask_b32 v0, v0, v2, s14
	s_and_saveexec_b32 s68, s16
	s_cbranch_execz .LBB36_52
; %bb.51:                               ;   in Loop: Header=BB36_4 Depth=1
	flat_load_b64 v[6:7], v[0:1]
.LBB36_52:                              ;   in Loop: Header=BB36_4 Depth=1
	s_wait_xcnt 0x0
	s_or_b32 exec_lo, exec_lo, s68
	v_mov_b32_e32 v9, 0
	s_wait_loadcnt_dscnt 0x0
	ds_store_b64 v189, v[6:7]
	s_and_saveexec_b32 s68, s17
	s_cbranch_execz .LBB36_54
; %bb.53:                               ;   in Loop: Header=BB36_4 Depth=1
	v_add_nc_u64_e32 v[6:7], s[48:49], v[0:1]
	flat_load_b64 v[8:9], v[6:7]
.LBB36_54:                              ;   in Loop: Header=BB36_4 Depth=1
	s_wait_xcnt 0x0
	s_or_b32 exec_lo, exec_lo, s68
	v_dual_mov_b32 v6, 0 :: v_dual_mov_b32 v10, 0
	v_mov_b32_e32 v11, 0
	s_wait_loadcnt_dscnt 0x0
	ds_store_b64 v189, v[8:9] offset:2112
	s_and_saveexec_b32 s68, s18
	s_cbranch_execz .LBB36_56
; %bb.55:                               ;   in Loop: Header=BB36_4 Depth=1
	v_add_nc_u64_e32 v[8:9], s[50:51], v[0:1]
	flat_load_b64 v[10:11], v[8:9]
.LBB36_56:                              ;   in Loop: Header=BB36_4 Depth=1
	s_wait_xcnt 0x0
	s_or_b32 exec_lo, exec_lo, s68
	v_mov_b32_e32 v7, 0
	s_wait_loadcnt_dscnt 0x0
	ds_store_b64 v189, v[10:11] offset:4224
	s_and_saveexec_b32 s68, s19
	s_cbranch_execz .LBB36_58
; %bb.57:                               ;   in Loop: Header=BB36_4 Depth=1
	v_add_nc_u64_e32 v[6:7], s[52:53], v[0:1]
	flat_load_b64 v[6:7], v[6:7]
.LBB36_58:                              ;   in Loop: Header=BB36_4 Depth=1
	s_wait_xcnt 0x0
	s_or_b32 exec_lo, exec_lo, s68
	v_lshlrev_b32_e32 v58, 3, v56
	s_mov_b32 s68, 0
	s_wait_loadcnt_dscnt 0x0
	ds_store_b64 v189, v[6:7] offset:6336
	v_add_nc_u64_e32 v[0:1], v[0:1], v[58:59]
	s_delay_alu instid0(VALU_DEP_1) | instskip(NEXT) | instid1(VALU_DEP_1)
	v_lshl_add_u64 v[0:1], s[58:59], 3, v[0:1]
	v_add_nc_u64_e32 v[0:1], 0x108, v[0:1]
	s_delay_alu instid0(VALU_DEP_1)
	v_dual_cndmask_b32 v1, v1, v3, s14 :: v_dual_cndmask_b32 v0, v0, v2, s14
.LBB36_59:                              ;   in Loop: Header=BB36_4 Depth=1
	s_and_b32 vcc_lo, exec_lo, s68
	s_cbranch_vccz .LBB36_61
; %bb.60:                               ;   in Loop: Header=BB36_4 Depth=1
	v_add_nc_u64_e32 v[0:1], s[48:49], v[4:5]
	s_delay_alu instid0(VALU_DEP_1) | instskip(NEXT) | instid1(VALU_DEP_1)
	v_add_nc_u64_e32 v[6:7], s[48:49], v[0:1]
	v_add_nc_u64_e32 v[8:9], s[48:49], v[6:7]
	s_clause 0x3
	flat_load_b64 v[4:5], v[4:5] offset:256
	flat_load_b64 v[10:11], v[0:1] offset:256
	;; [unrolled: 1-line block ×4, first 2 shown]
	s_wait_xcnt 0x2
	v_mov_b64_e32 v[0:1], v[2:3]
	s_wait_loadcnt_dscnt 0x303
	ds_store_b64 v189, v[4:5]
	s_wait_loadcnt_dscnt 0x203
	ds_store_b64 v189, v[10:11] offset:2112
	s_wait_loadcnt_dscnt 0x103
	ds_store_b64 v189, v[6:7] offset:4224
	;; [unrolled: 2-line block ×3, first 2 shown]
.LBB36_61:                              ;   in Loop: Header=BB36_4 Depth=1
	s_mov_b32 s68, 0
	s_wait_dscnt 0x0
	s_barrier_signal -1
	s_barrier_wait -1
	s_wait_xcnt 0x0
	s_and_saveexec_b32 s69, s6
	s_delay_alu instid0(SALU_CYCLE_1)
	s_xor_b32 s69, exec_lo, s69
; %bb.62:                               ;   in Loop: Header=BB36_4 Depth=1
	s_and_b32 s68, s7, exec_lo
; %bb.63:                               ;   in Loop: Header=BB36_4 Depth=1
	s_or_saveexec_b32 s69, s69
	v_dual_mov_b32 v2, 0 :: v_dual_mov_b32 v3, v179
	s_xor_b32 exec_lo, exec_lo, s69
	s_cbranch_execz .LBB36_65
; %bb.64:                               ;   in Loop: Header=BB36_4 Depth=1
	ds_load_b64 v[4:5], v190
	v_mov_b32_e32 v3, v180
	s_or_b32 s68, s68, exec_lo
	s_wait_dscnt 0x0
	v_xor_b32_e32 v2, 0x80000000, v5
	ds_store_b32 v180, v4
.LBB36_65:                              ;   in Loop: Header=BB36_4 Depth=1
	s_or_b32 exec_lo, exec_lo, s69
	s_and_saveexec_b32 s69, s68
; %bb.66:                               ;   in Loop: Header=BB36_4 Depth=1
	ds_store_b32 v3, v2 offset:4
; %bb.67:                               ;   in Loop: Header=BB36_4 Depth=1
	s_or_b32 exec_lo, exec_lo, s69
	s_mov_b32 s68, 0
                                        ; implicit-def: $vgpr2
	s_and_saveexec_b32 s69, s10
	s_delay_alu instid0(SALU_CYCLE_1)
	s_xor_b32 s69, exec_lo, s69
	s_cbranch_execnz .LBB36_163
; %bb.68:                               ;   in Loop: Header=BB36_4 Depth=1
	s_or_saveexec_b32 s69, s69
	v_mov_b32_e32 v3, v197
	s_xor_b32 exec_lo, exec_lo, s69
	s_cbranch_execnz .LBB36_164
.LBB36_69:                              ;   in Loop: Header=BB36_4 Depth=1
	s_or_b32 exec_lo, exec_lo, s69
	s_and_saveexec_b32 s69, s68
.LBB36_70:                              ;   in Loop: Header=BB36_4 Depth=1
	ds_store_b32 v3, v2 offset:4
.LBB36_71:                              ;   in Loop: Header=BB36_4 Depth=1
	s_or_b32 exec_lo, exec_lo, s69
	s_mov_b32 s68, 0
	s_and_saveexec_b32 s69, s8
	s_delay_alu instid0(SALU_CYCLE_1)
	s_xor_b32 s69, exec_lo, s69
; %bb.72:                               ;   in Loop: Header=BB36_4 Depth=1
	s_and_b32 s68, s9, exec_lo
; %bb.73:                               ;   in Loop: Header=BB36_4 Depth=1
	s_or_saveexec_b32 s69, s69
	v_dual_mov_b32 v2, 0 :: v_dual_mov_b32 v3, v179
	s_xor_b32 exec_lo, exec_lo, s69
	s_cbranch_execz .LBB36_75
; %bb.74:                               ;   in Loop: Header=BB36_4 Depth=1
	ds_load_b64 v[4:5], v191 offset:264
	v_mov_b32_e32 v3, v198
	s_or_b32 s68, s68, exec_lo
	s_wait_dscnt 0x0
	v_xor_b32_e32 v2, 0x80000000, v5
	ds_store_b32 v198, v4
.LBB36_75:                              ;   in Loop: Header=BB36_4 Depth=1
	s_or_b32 exec_lo, exec_lo, s69
	s_and_saveexec_b32 s69, s68
; %bb.76:                               ;   in Loop: Header=BB36_4 Depth=1
	ds_store_b32 v3, v2 offset:4
; %bb.77:                               ;   in Loop: Header=BB36_4 Depth=1
	s_or_b32 exec_lo, exec_lo, s69
	s_mov_b32 s68, 0
	s_and_saveexec_b32 s69, s11
	s_delay_alu instid0(SALU_CYCLE_1)
	s_xor_b32 s69, exec_lo, s69
; %bb.78:                               ;   in Loop: Header=BB36_4 Depth=1
	s_and_b32 s68, s12, exec_lo
; %bb.79:                               ;   in Loop: Header=BB36_4 Depth=1
	s_or_saveexec_b32 s69, s69
	v_dual_mov_b32 v2, 0 :: v_dual_mov_b32 v3, v179
	s_xor_b32 exec_lo, exec_lo, s69
	s_cbranch_execz .LBB36_81
; %bb.80:                               ;   in Loop: Header=BB36_4 Depth=1
	ds_load_b64 v[4:5], v191 offset:528
	v_mov_b32_e32 v3, v199
	s_or_b32 s68, s68, exec_lo
	s_wait_dscnt 0x0
	v_xor_b32_e32 v2, 0x80000000, v5
	ds_store_b32 v199, v4
.LBB36_81:                              ;   in Loop: Header=BB36_4 Depth=1
	s_or_b32 exec_lo, exec_lo, s69
	s_and_saveexec_b32 s69, s68
; %bb.82:                               ;   in Loop: Header=BB36_4 Depth=1
	ds_store_b32 v3, v2 offset:4
; %bb.83:                               ;   in Loop: Header=BB36_4 Depth=1
	s_or_b32 exec_lo, exec_lo, s69
	s_wait_dscnt 0x0
	s_barrier_signal -1
	s_barrier_wait -1
	ds_load_b64 v[10:11], v190
	ds_load_b128 v[2:5], v182 offset:256
	ds_load_2addr_b64 v[6:9], v191 offset1:33
	ds_load_b128 v[14:17], v182 offset:272
	ds_load_b64 v[18:19], v191 offset:528
	s_wait_dscnt 0x0
	s_barrier_signal -1
	s_barrier_wait -1
	v_pk_mul_f32 v[20:21], v[2:3], v[10:11] op_sel:[1,1] op_sel_hi:[0,1]
	v_dual_mov_b32 v22, v5 :: v_dual_mov_b32 v23, v4
	v_pk_mul_f32 v[24:25], v[14:15], v[8:9] op_sel:[1,1] op_sel_hi:[0,1]
	v_dual_mov_b32 v28, v17 :: v_dual_mov_b32 v29, v16
	s_delay_alu instid0(VALU_DEP_4) | instskip(NEXT) | instid1(VALU_DEP_4)
	v_pk_fma_f32 v[26:27], v[2:3], v[10:11], v[20:21] op_sel_hi:[1,0,1]
	v_pk_mul_f32 v[22:23], v[22:23], v[6:7] op_sel:[0,1]
	v_pk_fma_f32 v[2:3], v[2:3], v[10:11], v[20:21] neg_lo:[0,0,1] neg_hi:[0,0,1]
	v_pk_fma_f32 v[20:21], v[14:15], v[8:9], v[24:25] op_sel_hi:[1,0,1]
	s_delay_alu instid0(VALU_DEP_3)
	v_pk_fma_f32 v[10:11], v[4:5], v[6:7], v[22:23] op_sel_hi:[1,0,1]
	v_mov_b32_e32 v3, v27
	v_pk_fma_f32 v[4:5], v[4:5], v[6:7], v[22:23] neg_lo:[0,0,1] neg_hi:[0,0,1]
	v_pk_mul_f32 v[26:27], v[28:29], v[18:19] op_sel:[0,1]
	v_pk_fma_f32 v[6:7], v[14:15], v[8:9], v[24:25] neg_lo:[0,0,1] neg_hi:[0,0,1]
	v_mov_b32_e32 v5, v11
	v_pk_add_f32 v[2:3], v[2:3], 0 op_sel_hi:[1,0]
	s_delay_alu instid0(VALU_DEP_4) | instskip(SKIP_1) | instid1(VALU_DEP_3)
	v_pk_fma_f32 v[8:9], v[16:17], v[18:19], v[26:27] op_sel_hi:[1,0,1]
	v_mov_b32_e32 v7, v21
	v_pk_add_f32 v[2:3], v[2:3], v[4:5]
	v_pk_fma_f32 v[4:5], v[16:17], v[18:19], v[26:27] neg_lo:[0,0,1] neg_hi:[0,0,1]
	s_delay_alu instid0(VALU_DEP_4) | instskip(NEXT) | instid1(VALU_DEP_3)
	v_mov_b32_e32 v5, v9
	v_pk_add_f32 v[2:3], v[2:3], v[6:7]
	s_delay_alu instid0(VALU_DEP_1)
	v_pk_add_f32 v[2:3], v[2:3], v[4:5]
	ds_store_b64 v183, v[2:3]
	s_wait_dscnt 0x0
	s_barrier_signal -1
	s_barrier_wait -1
	s_and_saveexec_b32 s68, s21
	s_cbranch_execz .LBB36_85
; %bb.84:                               ;   in Loop: Header=BB36_4 Depth=1
	ds_load_2addr_b64 v[2:5], v181 offset1:7
	ds_load_2addr_b64 v[6:9], v181 offset0:1 offset1:2
	ds_load_2addr_b64 v[14:17], v181 offset0:3 offset1:4
	;; [unrolled: 1-line block ×3, first 2 shown]
	s_wait_dscnt 0x2
	v_dual_add_f32 v2, v6, v2 :: v_dual_add_f32 v3, v7, v3
	s_delay_alu instid0(VALU_DEP_1) | instskip(SKIP_1) | instid1(VALU_DEP_1)
	v_dual_add_f32 v2, v8, v2 :: v_dual_add_f32 v3, v9, v3
	s_wait_dscnt 0x1
	v_dual_add_f32 v2, v2, v14 :: v_dual_add_f32 v3, v3, v15
	s_delay_alu instid0(VALU_DEP_1) | instskip(SKIP_1) | instid1(VALU_DEP_1)
	v_dual_add_f32 v2, v2, v16 :: v_dual_add_f32 v3, v3, v17
	s_wait_dscnt 0x0
	v_dual_add_f32 v2, v2, v18 :: v_dual_add_f32 v3, v3, v19
	s_delay_alu instid0(VALU_DEP_1) | instskip(NEXT) | instid1(VALU_DEP_1)
	v_pk_add_f32 v[2:3], v[2:3], v[20:21]
	v_pk_add_f32 v[104:105], v[2:3], v[4:5]
.LBB36_85:                              ;   in Loop: Header=BB36_4 Depth=1
	s_or_b32 exec_lo, exec_lo, s68
	v_add_nc_u64_e32 v[2:3], s[62:63], v[0:1]
	s_and_b32 vcc_lo, exec_lo, s39
	s_mov_b32 s68, -1
	s_barrier_signal -1
	s_barrier_wait -1
                                        ; implicit-def: $vgpr14_vgpr15
	s_cbranch_vccz .LBB36_95
; %bb.86:                               ;   in Loop: Header=BB36_4 Depth=1
	v_lshl_add_u64 v[4:5], v[100:101], 3, v[0:1]
	v_dual_mov_b32 v8, 0 :: v_dual_mov_b32 v6, 0
	v_mov_b32_e32 v7, 0
	s_delay_alu instid0(VALU_DEP_3) | instskip(NEXT) | instid1(VALU_DEP_1)
	v_lshl_add_u64 v[4:5], s[40:41], 3, v[4:5]
	v_add_nc_u64_e32 v[4:5], s[64:65], v[4:5]
	s_delay_alu instid0(VALU_DEP_1)
	v_dual_cndmask_b32 v5, v5, v3, s1 :: v_dual_cndmask_b32 v4, v4, v2, s1
	s_and_saveexec_b32 s68, s16
	s_cbranch_execz .LBB36_88
; %bb.87:                               ;   in Loop: Header=BB36_4 Depth=1
	flat_load_b64 v[6:7], v[4:5]
.LBB36_88:                              ;   in Loop: Header=BB36_4 Depth=1
	s_wait_xcnt 0x0
	s_or_b32 exec_lo, exec_lo, s68
	v_mov_b32_e32 v9, 0
	s_wait_loadcnt_dscnt 0x0
	ds_store_b64 v189, v[6:7]
	s_and_saveexec_b32 s68, s17
	s_cbranch_execz .LBB36_90
; %bb.89:                               ;   in Loop: Header=BB36_4 Depth=1
	v_add_nc_u64_e32 v[6:7], s[48:49], v[4:5]
	flat_load_b64 v[8:9], v[6:7]
.LBB36_90:                              ;   in Loop: Header=BB36_4 Depth=1
	s_wait_xcnt 0x0
	s_or_b32 exec_lo, exec_lo, s68
	v_dual_mov_b32 v6, 0 :: v_dual_mov_b32 v10, 0
	v_mov_b32_e32 v11, 0
	s_wait_loadcnt_dscnt 0x0
	ds_store_b64 v189, v[8:9] offset:2112
	s_and_saveexec_b32 s68, s18
	s_cbranch_execz .LBB36_92
; %bb.91:                               ;   in Loop: Header=BB36_4 Depth=1
	v_add_nc_u64_e32 v[8:9], s[50:51], v[4:5]
	flat_load_b64 v[10:11], v[8:9]
.LBB36_92:                              ;   in Loop: Header=BB36_4 Depth=1
	s_wait_xcnt 0x0
	s_or_b32 exec_lo, exec_lo, s68
	v_mov_b32_e32 v7, 0
	s_wait_loadcnt_dscnt 0x0
	ds_store_b64 v189, v[10:11] offset:4224
	s_and_saveexec_b32 s68, s19
	s_cbranch_execz .LBB36_94
; %bb.93:                               ;   in Loop: Header=BB36_4 Depth=1
	v_add_nc_u64_e32 v[6:7], s[52:53], v[4:5]
	flat_load_b64 v[6:7], v[6:7]
.LBB36_94:                              ;   in Loop: Header=BB36_4 Depth=1
	s_wait_xcnt 0x0
	s_or_b32 exec_lo, exec_lo, s68
	v_lshlrev_b32_e32 v58, 3, v56
	s_mov_b32 s68, 0
	s_wait_loadcnt_dscnt 0x0
	ds_store_b64 v189, v[6:7] offset:6336
	v_add_nc_u64_e32 v[4:5], v[4:5], v[58:59]
	s_delay_alu instid0(VALU_DEP_1) | instskip(NEXT) | instid1(VALU_DEP_1)
	v_lshl_add_u64 v[4:5], s[58:59], 3, v[4:5]
	v_add_nc_u64_e32 v[4:5], 8, v[4:5]
	s_delay_alu instid0(VALU_DEP_1)
	v_dual_cndmask_b32 v15, v5, v3, s1 :: v_dual_cndmask_b32 v14, v4, v2, s1
.LBB36_95:                              ;   in Loop: Header=BB36_4 Depth=1
	s_and_b32 vcc_lo, exec_lo, s68
	s_cbranch_vccz .LBB36_97
; %bb.96:                               ;   in Loop: Header=BB36_4 Depth=1
	v_add_nc_u64_e32 v[4:5], s[48:49], v[0:1]
	v_mov_b64_e32 v[14:15], v[2:3]
	s_delay_alu instid0(VALU_DEP_2) | instskip(NEXT) | instid1(VALU_DEP_1)
	v_add_nc_u64_e32 v[6:7], s[48:49], v[4:5]
	v_add_nc_u64_e32 v[8:9], s[48:49], v[6:7]
	s_clause 0x3
	flat_load_b64 v[0:1], v[0:1] offset:-256
	flat_load_b64 v[4:5], v[4:5] offset:-256
	;; [unrolled: 1-line block ×4, first 2 shown]
	s_wait_loadcnt_dscnt 0x303
	ds_store_b64 v189, v[0:1]
	s_wait_loadcnt_dscnt 0x203
	ds_store_b64 v189, v[4:5] offset:2112
	s_wait_loadcnt_dscnt 0x103
	ds_store_b64 v189, v[6:7] offset:4224
	;; [unrolled: 2-line block ×3, first 2 shown]
.LBB36_97:                              ;   in Loop: Header=BB36_4 Depth=1
	s_wait_xcnt 0x3
	v_dual_add_nc_u32 v0, v180, v184 :: v_dual_add_nc_u32 v1, v182, v184
	s_wait_dscnt 0x0
	s_barrier_signal -1
	s_barrier_wait -1
	s_wait_xcnt 0x2
	ds_load_b64 v[4:5], v0
	s_wait_xcnt 0x1
	ds_load_b64 v[6:7], v1
	ds_load_2addr_b64 v[20:23], v183 offset0:8 offset1:16
	ds_load_2addr_b64 v[24:27], v194 offset0:8 offset1:16
	ds_load_b64 v[28:29], v183 offset:192
	ds_load_b64 v[30:31], v194 offset:192
	ds_load_2addr_b64 v[0:3], v191 offset1:33
	ds_load_b64 v[18:19], v190
	ds_load_b64 v[16:17], v191 offset:528
	s_wait_dscnt 0x7
	s_wait_xcnt 0x0
	v_pk_mul_f32 v[8:9], v[4:5], v[6:7] op_sel:[1,1] op_sel_hi:[1,0]
	s_wait_dscnt 0x5
	v_pk_mul_f32 v[10:11], v[20:21], v[24:25] op_sel:[1,1] op_sel_hi:[1,0]
	v_pk_mul_f32 v[34:35], v[22:23], v[26:27] op_sel:[1,1] op_sel_hi:[1,0]
	s_delay_alu instid0(VALU_DEP_3) | instskip(SKIP_1) | instid1(VALU_DEP_4)
	v_pk_fma_f32 v[32:33], v[4:5], v[6:7], v[8:9] op_sel_hi:[0,1,1] neg_lo:[0,0,1] neg_hi:[0,0,1]
	v_pk_fma_f32 v[4:5], v[4:5], v[6:7], v[8:9]
	v_pk_fma_f32 v[36:37], v[20:21], v[24:25], v[10:11] op_sel_hi:[0,1,1] neg_lo:[0,0,1] neg_hi:[0,0,1]
	v_pk_fma_f32 v[20:21], v[20:21], v[24:25], v[10:11]
	v_pk_fma_f32 v[24:25], v[22:23], v[26:27], v[34:35] op_sel_hi:[0,1,1] neg_lo:[0,0,1] neg_hi:[0,0,1]
	v_mov_b32_e32 v5, v33
	s_wait_dscnt 0x3
	v_pk_mul_f32 v[32:33], v[28:29], v[30:31] op_sel:[1,1] op_sel_hi:[1,0]
	v_mov_b32_e32 v21, v37
	v_pk_fma_f32 v[22:23], v[22:23], v[26:27], v[34:35]
	v_mov_b32_e32 v23, v25
	v_pk_add_f32 v[36:37], v[4:5], 0 op_sel_hi:[1,0]
	ds_load_b128 v[8:11], v182 offset:256
	ds_load_b128 v[4:7], v182 offset:272
	v_pk_fma_f32 v[24:25], v[28:29], v[30:31], v[32:33] op_sel_hi:[0,1,1] neg_lo:[0,0,1] neg_hi:[0,0,1]
	v_pk_fma_f32 v[26:27], v[28:29], v[30:31], v[32:33]
	s_wait_dscnt 0x0
	v_pk_add_f32 v[20:21], v[36:37], v[20:21]
	s_barrier_signal -1
	v_mov_b32_e32 v27, v25
	s_barrier_wait -1
	s_delay_alu instid0(VALU_DEP_2) | instskip(NEXT) | instid1(VALU_DEP_1)
	v_pk_add_f32 v[20:21], v[20:21], v[22:23]
	v_pk_add_f32 v[20:21], v[20:21], v[26:27]
	ds_store_b64 v183, v[20:21]
	s_wait_dscnt 0x0
	s_barrier_signal -1
	s_barrier_wait -1
	s_and_saveexec_b32 s68, s21
	s_cbranch_execz .LBB36_99
; %bb.98:                               ;   in Loop: Header=BB36_4 Depth=1
	ds_load_2addr_b64 v[20:23], v181 offset1:1
	ds_load_2addr_b64 v[24:27], v181 offset0:2 offset1:3
	ds_load_2addr_b64 v[28:31], v181 offset0:4 offset1:5
	s_wait_dscnt 0x2
	v_pk_add_f32 v[20:21], v[104:105], v[20:21]
	s_delay_alu instid0(VALU_DEP_1) | instskip(SKIP_1) | instid1(VALU_DEP_1)
	v_pk_add_f32 v[20:21], v[20:21], v[22:23]
	s_wait_dscnt 0x1
	v_pk_add_f32 v[24:25], v[20:21], v[24:25]
	ds_load_2addr_b64 v[20:23], v181 offset0:6 offset1:7
	v_pk_add_f32 v[24:25], v[24:25], v[26:27]
	s_wait_dscnt 0x1
	s_delay_alu instid0(VALU_DEP_1) | instskip(NEXT) | instid1(VALU_DEP_1)
	v_pk_add_f32 v[24:25], v[24:25], v[28:29]
	v_pk_add_f32 v[24:25], v[24:25], v[30:31]
	s_wait_dscnt 0x0
	s_delay_alu instid0(VALU_DEP_1) | instskip(NEXT) | instid1(VALU_DEP_1)
	v_pk_add_f32 v[20:21], v[24:25], v[20:21]
	v_pk_add_f32 v[104:105], v[20:21], v[22:23]
.LBB36_99:                              ;   in Loop: Header=BB36_4 Depth=1
	s_or_b32 exec_lo, exec_lo, s68
	v_pk_mul_f32 v[20:21], v[8:9], v[18:19] op_sel:[1,1] op_sel_hi:[0,1]
	v_dual_mov_b32 v22, v11 :: v_dual_mov_b32 v23, v10
	v_pk_mul_f32 v[24:25], v[4:5], v[2:3] op_sel:[1,1] op_sel_hi:[0,1]
	v_dual_mov_b32 v28, v7 :: v_dual_mov_b32 v29, v6
	s_delay_alu instid0(VALU_DEP_4) | instskip(NEXT) | instid1(VALU_DEP_4)
	v_pk_fma_f32 v[26:27], v[8:9], v[18:19], v[20:21] op_sel_hi:[1,0,1]
	v_pk_mul_f32 v[22:23], v[22:23], v[0:1] op_sel:[0,1]
	v_pk_fma_f32 v[8:9], v[8:9], v[18:19], v[20:21] neg_lo:[0,0,1] neg_hi:[0,0,1]
	v_pk_fma_f32 v[20:21], v[4:5], v[2:3], v[24:25] op_sel_hi:[1,0,1]
	v_pk_fma_f32 v[2:3], v[4:5], v[2:3], v[24:25] neg_lo:[0,0,1] neg_hi:[0,0,1]
	s_delay_alu instid0(VALU_DEP_4)
	v_pk_fma_f32 v[18:19], v[10:11], v[0:1], v[22:23] op_sel_hi:[1,0,1]
	v_mov_b32_e32 v9, v27
	v_pk_fma_f32 v[0:1], v[10:11], v[0:1], v[22:23] neg_lo:[0,0,1] neg_hi:[0,0,1]
	v_pk_mul_f32 v[26:27], v[28:29], v[16:17] op_sel:[0,1]
	s_barrier_signal -1
	v_mov_b32_e32 v1, v19
	v_pk_add_f32 v[8:9], v[8:9], 0 op_sel_hi:[1,0]
	s_barrier_wait -1
	v_pk_fma_f32 v[4:5], v[6:7], v[16:17], v[26:27] op_sel_hi:[1,0,1]
	v_mov_b32_e32 v3, v21
	v_pk_fma_f32 v[6:7], v[6:7], v[16:17], v[26:27] neg_lo:[0,0,1] neg_hi:[0,0,1]
	v_pk_add_f32 v[0:1], v[8:9], v[0:1]
	s_delay_alu instid0(VALU_DEP_4) | instskip(NEXT) | instid1(VALU_DEP_2)
	v_mov_b32_e32 v7, v5
	v_pk_add_f32 v[0:1], v[0:1], v[2:3]
	s_delay_alu instid0(VALU_DEP_1)
	v_pk_add_f32 v[0:1], v[0:1], v[6:7]
	ds_store_b64 v183, v[0:1]
	s_wait_dscnt 0x0
	s_barrier_signal -1
	s_barrier_wait -1
	s_and_saveexec_b32 s68, s15
	s_cbranch_execz .LBB36_101
; %bb.100:                              ;   in Loop: Header=BB36_4 Depth=1
	ds_load_2addr_b64 v[0:3], v181 offset1:1
	ds_load_2addr_b64 v[4:7], v181 offset0:2 offset1:3
	ds_load_2addr_b64 v[8:11], v181 offset0:4 offset1:5
	s_wait_dscnt 0x2
	v_pk_add_f32 v[0:1], v[104:105], v[0:1]
	s_delay_alu instid0(VALU_DEP_1) | instskip(SKIP_1) | instid1(VALU_DEP_1)
	v_pk_add_f32 v[0:1], v[0:1], v[2:3]
	s_wait_dscnt 0x1
	v_pk_add_f32 v[4:5], v[0:1], v[4:5]
	ds_load_2addr_b64 v[0:3], v181 offset0:6 offset1:7
	v_pk_add_f32 v[4:5], v[4:5], v[6:7]
	s_wait_dscnt 0x1
	s_delay_alu instid0(VALU_DEP_1) | instskip(NEXT) | instid1(VALU_DEP_1)
	v_pk_add_f32 v[4:5], v[4:5], v[8:9]
	v_pk_add_f32 v[4:5], v[4:5], v[10:11]
	s_wait_dscnt 0x0
	s_delay_alu instid0(VALU_DEP_1) | instskip(NEXT) | instid1(VALU_DEP_1)
	v_pk_add_f32 v[0:1], v[4:5], v[0:1]
	v_pk_add_f32 v[104:105], v[0:1], v[2:3]
.LBB36_101:                             ;   in Loop: Header=BB36_4 Depth=1
	s_or_b32 exec_lo, exec_lo, s68
	s_mul_u64 s[68:69], s[42:43], s[22:23]
	s_and_not1_b32 vcc_lo, exec_lo, s74
	s_lshl_b64 s[68:69], s[68:69], 3
	s_delay_alu instid0(SALU_CYCLE_1)
	s_add_nc_u64 s[68:69], s[44:45], s[68:69]
	s_barrier_signal -1
	s_barrier_wait -1
	s_cbranch_vccnz .LBB36_159
; %bb.102:                              ;   in Loop: Header=BB36_4 Depth=1
	v_add_nc_u64_e32 v[106:107], v[14:15], v[66:67]
	v_add_nc_u64_e32 v[108:109], v[14:15], v[68:69]
	;; [unrolled: 1-line block ×16, first 2 shown]
	v_lshl_add_u64 v[138:139], s[56:57], 3, v[12:13]
	s_mov_b32 s70, s77
	s_mov_b32 s79, s36
	s_delay_alu instid0(SALU_CYCLE_1)
	s_cmp_eq_u32 s75, s79
	s_cselect_b32 s80, s73, 0
	s_and_saveexec_b32 s81, s0
	s_cbranch_execz .LBB36_107
.LBB36_103:                             ;   in Loop: Header=BB36_4 Depth=1
	v_cmp_le_i32_e32 vcc_lo, s80, v178
	s_cmp_lg_u32 s80, 0
	s_cselect_b32 s71, -1, 0
	s_delay_alu instid0(SALU_CYCLE_1) | instskip(NEXT) | instid1(SALU_CYCLE_1)
	s_and_b32 s71, s71, vcc_lo
	s_and_saveexec_b32 s82, s71
	s_delay_alu instid0(SALU_CYCLE_1)
	s_xor_b32 s71, exec_lo, s82
; %bb.104:                              ;   in Loop: Header=BB36_4 Depth=1
	ds_store_b64 v200, v[102:103]
; %bb.105:                              ;   in Loop: Header=BB36_4 Depth=1
	s_and_not1_saveexec_b32 s71, s71
	s_cbranch_execz .LBB36_107
; %bb.106:                              ;   in Loop: Header=BB36_4 Depth=1
	s_ashr_i32 s71, s70, 31
	s_delay_alu instid0(SALU_CYCLE_1) | instskip(NEXT) | instid1(SALU_CYCLE_1)
	s_mul_u64 s[82:83], s[34:35], s[70:71]
	v_lshl_add_u64 v[0:1], s[82:83], 3, v[138:139]
	flat_load_b64 v[0:1], v[0:1]
	s_wait_loadcnt_dscnt 0x0
	ds_store_b64 v200, v[0:1]
.LBB36_107:                             ;   Parent Loop BB36_4 Depth=1
                                        ; =>  This Inner Loop Header: Depth=2
	s_wait_xcnt 0x0
	s_or_b32 exec_lo, exec_lo, s81
	s_cmp_eq_u32 s80, 0
	v_add_nc_u64_e32 v[0:1], v[106:107], v[60:61]
	s_cselect_b32 s71, -1, 0
	s_cmp_lg_u32 s80, 0
	s_wait_dscnt 0x0
	s_cselect_b32 s81, -1, 0
	s_barrier_signal -1
	s_and_b32 vcc_lo, exec_lo, s81
	s_barrier_wait -1
	s_cbranch_vccz .LBB36_115
; %bb.108:                              ;   in Loop: Header=BB36_107 Depth=2
	v_mov_b64_e32 v[140:141], 0
	v_mov_b64_e32 v[142:143], 0
	s_mov_b32 s82, exec_lo
	v_cmpx_gt_i32_e64 s80, v188
	s_cbranch_execz .LBB36_110
; %bb.109:                              ;   in Loop: Header=BB36_107 Depth=2
	flat_load_b64 v[142:143], v[0:1]
.LBB36_110:                             ;   in Loop: Header=BB36_107 Depth=2
	s_wait_xcnt 0x0
	s_or_b32 exec_lo, exec_lo, s82
	s_delay_alu instid0(SALU_CYCLE_1)
	s_mov_b32 s82, exec_lo
	v_cmpx_gt_i32_e64 s80, v202
	s_cbranch_execz .LBB36_112
; %bb.111:                              ;   in Loop: Header=BB36_107 Depth=2
	v_add_nc_u64_e32 v[2:3], v[110:111], v[60:61]
	flat_load_b64 v[140:141], v[2:3]
.LBB36_112:                             ;   in Loop: Header=BB36_107 Depth=2
	s_wait_xcnt 0x0
	s_or_b32 exec_lo, exec_lo, s82
	v_mov_b64_e32 v[144:145], 0
	s_mov_b32 s82, exec_lo
	v_cmpx_gt_i32_e64 s80, v203
	s_cbranch_execz .LBB36_114
; %bb.113:                              ;   in Loop: Header=BB36_107 Depth=2
	v_add_nc_u64_e32 v[2:3], v[108:109], v[60:61]
	flat_load_b64 v[144:145], v[2:3]
.LBB36_114:                             ;   in Loop: Header=BB36_107 Depth=2
	s_wait_xcnt 0x0
	s_or_b32 exec_lo, exec_lo, s82
	v_cmp_gt_i32_e64 s82, s80, v204
	s_branch .LBB36_117
.LBB36_115:                             ;   in Loop: Header=BB36_107 Depth=2
	s_mov_b32 s82, 0
                                        ; implicit-def: $vgpr144_vgpr145
                                        ; implicit-def: $vgpr140_vgpr141
                                        ; implicit-def: $vgpr142_vgpr143
	s_cbranch_execz .LBB36_117
; %bb.116:                              ;   in Loop: Header=BB36_107 Depth=2
	v_add_nc_u64_e32 v[2:3], v[110:111], v[60:61]
	v_add_nc_u64_e32 v[4:5], v[108:109], v[60:61]
	s_or_b32 s82, s82, exec_lo
	s_wait_loadcnt_dscnt 0x0
	flat_load_b64 v[142:143], v[0:1]
	flat_load_b64 v[140:141], v[2:3]
	;; [unrolled: 1-line block ×3, first 2 shown]
.LBB36_117:                             ;   in Loop: Header=BB36_107 Depth=2
	v_dual_mov_b32 v146, 0 :: v_dual_mov_b32 v148, 0
	s_wait_xcnt 0x0
	s_delay_alu instid0(VALU_DEP_2)
	s_and_saveexec_b32 s83, s82
	s_cbranch_execz .LBB36_119
; %bb.118:                              ;   in Loop: Header=BB36_107 Depth=2
	v_add_nc_u64_e32 v[0:1], v[112:113], v[60:61]
	flat_load_b64 v[146:147], v[0:1]
	s_wait_loadcnt_dscnt 0x0
	v_mov_b32_e32 v148, v147
.LBB36_119:                             ;   in Loop: Header=BB36_107 Depth=2
	s_wait_xcnt 0x0
	s_or_b32 exec_lo, exec_lo, s83
	ds_load_b64 v[4:5], v196
	ds_load_b128 v[0:3], v201
	v_cndmask_b32_e64 v40, 0, 1, s81
	s_and_not1_b32 vcc_lo, exec_lo, s81
	s_wait_loadcnt_dscnt 0x1
	v_pk_mul_f32 v[6:7], v[142:143], v[4:5] op_sel:[1,0]
	v_pk_mul_f32 v[8:9], v[140:141], v[4:5] op_sel:[1,0]
	;; [unrolled: 1-line block ×3, first 2 shown]
	v_pk_mul_f32 v[12:13], v[148:149], v[4:5] op_sel_hi:[0,1]
	s_delay_alu instid0(VALU_DEP_4)
	v_pk_fma_f32 v[14:15], v[142:143], v[4:5], v[6:7] op_sel:[0,0,1] op_sel_hi:[1,1,0]
	v_pk_fma_f32 v[6:7], v[142:143], v[4:5], v[6:7] op_sel:[0,0,1] op_sel_hi:[0,1,0] neg_lo:[0,0,1] neg_hi:[0,0,1]
	v_pk_fma_f32 v[16:17], v[140:141], v[4:5], v[8:9] op_sel:[0,0,1] op_sel_hi:[1,1,0]
	v_pk_fma_f32 v[8:9], v[140:141], v[4:5], v[8:9] op_sel:[0,0,1] op_sel_hi:[0,1,0] neg_lo:[0,0,1] neg_hi:[0,0,1]
	v_pk_fma_f32 v[18:19], v[144:145], v[4:5], v[10:11] op_sel:[0,0,1] op_sel_hi:[1,1,0]
	v_pk_fma_f32 v[10:11], v[144:145], v[4:5], v[10:11] op_sel:[0,0,1] op_sel_hi:[0,1,0] neg_lo:[0,0,1] neg_hi:[0,0,1]
	v_pk_fma_f32 v[20:21], v[146:147], v[4:5], v[12:13] op_sel:[0,0,1] op_sel_hi:[0,1,0] neg_lo:[0,0,1] neg_hi:[0,0,1]
	v_pk_fma_f32 v[12:13], v[146:147], v[4:5], v[12:13] op_sel:[0,0,1] op_sel_hi:[1,1,0]
	v_dual_mov_b32 v15, v7 :: v_dual_mov_b32 v17, v9
	s_delay_alu instid0(VALU_DEP_3)
	v_dual_mov_b32 v19, v11 :: v_dual_mov_b32 v13, v21
	ds_load_b128 v[4:7], v201 offset:16
	ds_store_2addr_b64 v192, v[14:15], v[16:17] offset1:67
	ds_store_2addr_b64 v192, v[18:19], v[12:13] offset0:134 offset1:201
	s_wait_dscnt 0x0
	s_barrier_signal -1
	s_barrier_wait -1
	ds_load_2addr_b64 v[20:23], v185 offset1:1
	ds_load_2addr_b64 v[16:19], v185 offset0:2 offset1:3
	v_add_nc_u64_e32 v[8:9], v[114:115], v[60:61]
	s_wait_dscnt 0x0
	s_barrier_signal -1
	s_barrier_wait -1
	s_cbranch_vccnz .LBB36_127
; %bb.120:                              ;   in Loop: Header=BB36_107 Depth=2
	v_mov_b64_e32 v[150:151], 0
	v_mov_b64_e32 v[152:153], 0
	s_mov_b32 s81, exec_lo
	v_cmpx_gt_i32_e64 s80, v205
	s_cbranch_execz .LBB36_122
; %bb.121:                              ;   in Loop: Header=BB36_107 Depth=2
	flat_load_b64 v[152:153], v[8:9]
.LBB36_122:                             ;   in Loop: Header=BB36_107 Depth=2
	s_wait_xcnt 0x0
	s_or_b32 exec_lo, exec_lo, s81
	s_delay_alu instid0(SALU_CYCLE_1)
	s_mov_b32 s81, exec_lo
	v_cmpx_gt_i32_e64 s80, v206
	s_cbranch_execz .LBB36_124
; %bb.123:                              ;   in Loop: Header=BB36_107 Depth=2
	v_add_nc_u64_e32 v[10:11], v[118:119], v[60:61]
	flat_load_b64 v[150:151], v[10:11]
.LBB36_124:                             ;   in Loop: Header=BB36_107 Depth=2
	s_wait_xcnt 0x0
	s_or_b32 exec_lo, exec_lo, s81
	v_mov_b64_e32 v[154:155], 0
	s_mov_b32 s81, exec_lo
	v_cmpx_gt_i32_e64 s80, v207
	s_cbranch_execz .LBB36_126
; %bb.125:                              ;   in Loop: Header=BB36_107 Depth=2
	v_add_nc_u64_e32 v[10:11], v[116:117], v[60:61]
	flat_load_b64 v[154:155], v[10:11]
.LBB36_126:                             ;   in Loop: Header=BB36_107 Depth=2
	s_wait_xcnt 0x0
	s_or_b32 exec_lo, exec_lo, s81
	v_cmp_gt_i32_e64 s81, s80, v208
	s_branch .LBB36_129
.LBB36_127:                             ;   in Loop: Header=BB36_107 Depth=2
	s_mov_b32 s81, 0
                                        ; implicit-def: $vgpr154_vgpr155
                                        ; implicit-def: $vgpr150_vgpr151
                                        ; implicit-def: $vgpr152_vgpr153
	s_cbranch_execz .LBB36_129
; %bb.128:                              ;   in Loop: Header=BB36_107 Depth=2
	v_add_nc_u64_e32 v[10:11], v[118:119], v[60:61]
	v_add_nc_u64_e32 v[12:13], v[116:117], v[60:61]
	s_or_b32 s81, s81, exec_lo
	s_wait_loadcnt_dscnt 0x0
	flat_load_b64 v[152:153], v[8:9]
	flat_load_b64 v[150:151], v[10:11]
	;; [unrolled: 1-line block ×3, first 2 shown]
.LBB36_129:                             ;   in Loop: Header=BB36_107 Depth=2
	v_dual_mov_b32 v156, 0 :: v_dual_mov_b32 v58, 0
	s_wait_xcnt 0x0
	s_delay_alu instid0(VALU_DEP_2)
	s_and_saveexec_b32 s82, s81
	s_cbranch_execz .LBB36_131
; %bb.130:                              ;   in Loop: Header=BB36_107 Depth=2
	v_add_nc_u64_e32 v[8:9], v[120:121], v[60:61]
	flat_load_b64 v[156:157], v[8:9]
	s_wait_loadcnt_dscnt 0x0
	v_mov_b32_e32 v58, v157
.LBB36_131:                             ;   in Loop: Header=BB36_107 Depth=2
	s_wait_xcnt 0x0
	s_or_b32 exec_lo, exec_lo, s82
	ds_load_b64 v[8:9], v196
	v_cmp_ne_u32_e32 vcc_lo, 1, v40
	s_and_b32 vcc_lo, exec_lo, vcc_lo
	s_wait_loadcnt_dscnt 0x0
	v_pk_mul_f32 v[10:11], v[152:153], v[8:9] op_sel:[1,1] op_sel_hi:[1,0]
	v_pk_mul_f32 v[12:13], v[150:151], v[8:9] op_sel:[1,1] op_sel_hi:[1,0]
	v_pk_mul_f32 v[14:15], v[154:155], v[8:9] op_sel:[1,1] op_sel_hi:[1,0]
	v_pk_mul_f32 v[24:25], v[58:59], v[8:9] op_sel:[0,1] op_sel_hi:[0,0]
	s_delay_alu instid0(VALU_DEP_4)
	v_pk_fma_f32 v[26:27], v[152:153], v[8:9], v[10:11]
	v_pk_fma_f32 v[10:11], v[152:153], v[8:9], v[10:11] op_sel_hi:[0,1,1] neg_lo:[0,0,1] neg_hi:[0,0,1]
	v_pk_fma_f32 v[28:29], v[150:151], v[8:9], v[12:13]
	v_pk_fma_f32 v[12:13], v[150:151], v[8:9], v[12:13] op_sel_hi:[0,1,1] neg_lo:[0,0,1] neg_hi:[0,0,1]
	;; [unrolled: 2-line block ×3, first 2 shown]
	v_pk_fma_f32 v[32:33], v[156:157], v[8:9], v[24:25] op_sel_hi:[0,1,1] neg_lo:[0,0,1] neg_hi:[0,0,1]
	v_pk_fma_f32 v[24:25], v[156:157], v[8:9], v[24:25]
	v_dual_mov_b32 v27, v11 :: v_dual_mov_b32 v29, v13
	s_delay_alu instid0(VALU_DEP_3)
	v_dual_mov_b32 v31, v15 :: v_dual_mov_b32 v25, v33
	ds_load_b128 v[12:15], v201 offset:128
	ds_load_b128 v[8:11], v201 offset:144
	ds_store_2addr_b64 v192, v[26:27], v[28:29] offset1:67
	ds_store_2addr_b64 v192, v[30:31], v[24:25] offset0:134 offset1:201
	s_wait_dscnt 0x0
	s_barrier_signal -1
	s_barrier_wait -1
	ds_load_2addr_b64 v[36:39], v185 offset1:1
	ds_load_2addr_b64 v[32:35], v185 offset0:2 offset1:3
	v_add_nc_u64_e32 v[24:25], v[122:123], v[60:61]
	s_wait_dscnt 0x0
	s_barrier_signal -1
	s_barrier_wait -1
	s_cbranch_vccnz .LBB36_139
; %bb.132:                              ;   in Loop: Header=BB36_107 Depth=2
	v_mov_b64_e32 v[158:159], 0
	v_mov_b64_e32 v[160:161], 0
	s_mov_b32 s81, exec_lo
	v_cmpx_gt_i32_e64 s80, v209
	s_cbranch_execz .LBB36_134
; %bb.133:                              ;   in Loop: Header=BB36_107 Depth=2
	flat_load_b64 v[160:161], v[24:25]
.LBB36_134:                             ;   in Loop: Header=BB36_107 Depth=2
	s_wait_xcnt 0x0
	s_or_b32 exec_lo, exec_lo, s81
	s_delay_alu instid0(SALU_CYCLE_1)
	s_mov_b32 s81, exec_lo
	v_cmpx_gt_i32_e64 s80, v210
	s_cbranch_execz .LBB36_136
; %bb.135:                              ;   in Loop: Header=BB36_107 Depth=2
	v_add_nc_u64_e32 v[26:27], v[126:127], v[60:61]
	flat_load_b64 v[158:159], v[26:27]
.LBB36_136:                             ;   in Loop: Header=BB36_107 Depth=2
	s_wait_xcnt 0x0
	s_or_b32 exec_lo, exec_lo, s81
	v_mov_b64_e32 v[162:163], 0
	s_mov_b32 s81, exec_lo
	v_cmpx_gt_i32_e64 s80, v211
	s_cbranch_execz .LBB36_138
; %bb.137:                              ;   in Loop: Header=BB36_107 Depth=2
	v_add_nc_u64_e32 v[26:27], v[124:125], v[60:61]
	flat_load_b64 v[162:163], v[26:27]
.LBB36_138:                             ;   in Loop: Header=BB36_107 Depth=2
	s_wait_xcnt 0x0
	s_or_b32 exec_lo, exec_lo, s81
	v_cmp_gt_i32_e64 s81, s80, v212
	s_branch .LBB36_141
.LBB36_139:                             ;   in Loop: Header=BB36_107 Depth=2
	s_mov_b32 s81, 0
                                        ; implicit-def: $vgpr162_vgpr163
                                        ; implicit-def: $vgpr158_vgpr159
                                        ; implicit-def: $vgpr160_vgpr161
	s_cbranch_execz .LBB36_141
; %bb.140:                              ;   in Loop: Header=BB36_107 Depth=2
	v_add_nc_u64_e32 v[26:27], v[126:127], v[60:61]
	v_add_nc_u64_e32 v[28:29], v[124:125], v[60:61]
	s_or_b32 s81, s81, exec_lo
	s_wait_loadcnt_dscnt 0x0
	flat_load_b64 v[160:161], v[24:25]
	flat_load_b64 v[158:159], v[26:27]
	;; [unrolled: 1-line block ×3, first 2 shown]
.LBB36_141:                             ;   in Loop: Header=BB36_107 Depth=2
	v_dual_mov_b32 v164, 0 :: v_dual_mov_b32 v166, 0
	s_wait_xcnt 0x0
	s_delay_alu instid0(VALU_DEP_2)
	s_and_saveexec_b32 s82, s81
	s_cbranch_execz .LBB36_143
; %bb.142:                              ;   in Loop: Header=BB36_107 Depth=2
	v_add_nc_u64_e32 v[24:25], v[128:129], v[60:61]
	flat_load_b64 v[164:165], v[24:25]
	s_wait_loadcnt_dscnt 0x0
	v_mov_b32_e32 v166, v165
.LBB36_143:                             ;   in Loop: Header=BB36_107 Depth=2
	s_wait_xcnt 0x0
	s_or_b32 exec_lo, exec_lo, s82
	ds_load_b64 v[24:25], v196
	v_cmp_ne_u32_e32 vcc_lo, 1, v40
	v_add_nc_u64_e32 v[40:41], v[130:131], v[60:61]
	s_and_b32 vcc_lo, exec_lo, vcc_lo
	s_wait_loadcnt_dscnt 0x0
	v_pk_mul_f32 v[26:27], v[160:161], v[24:25] op_sel:[1,0]
	v_pk_mul_f32 v[28:29], v[158:159], v[24:25] op_sel:[1,0]
	;; [unrolled: 1-line block ×3, first 2 shown]
	v_pk_mul_f32 v[42:43], v[166:167], v[24:25] op_sel_hi:[0,1]
	s_delay_alu instid0(VALU_DEP_4)
	v_pk_fma_f32 v[44:45], v[160:161], v[24:25], v[26:27] op_sel:[0,0,1] op_sel_hi:[1,1,0]
	v_pk_fma_f32 v[26:27], v[160:161], v[24:25], v[26:27] op_sel:[0,0,1] op_sel_hi:[0,1,0] neg_lo:[0,0,1] neg_hi:[0,0,1]
	v_pk_fma_f32 v[46:47], v[158:159], v[24:25], v[28:29] op_sel:[0,0,1] op_sel_hi:[1,1,0]
	v_pk_fma_f32 v[28:29], v[158:159], v[24:25], v[28:29] op_sel:[0,0,1] op_sel_hi:[0,1,0] neg_lo:[0,0,1] neg_hi:[0,0,1]
	v_pk_fma_f32 v[48:49], v[162:163], v[24:25], v[30:31] op_sel:[0,0,1] op_sel_hi:[1,1,0]
	v_pk_fma_f32 v[30:31], v[162:163], v[24:25], v[30:31] op_sel:[0,0,1] op_sel_hi:[0,1,0] neg_lo:[0,0,1] neg_hi:[0,0,1]
	v_pk_fma_f32 v[50:51], v[164:165], v[24:25], v[42:43] op_sel:[0,0,1] op_sel_hi:[0,1,0] neg_lo:[0,0,1] neg_hi:[0,0,1]
	v_pk_fma_f32 v[42:43], v[164:165], v[24:25], v[42:43] op_sel:[0,0,1] op_sel_hi:[1,1,0]
	v_dual_mov_b32 v45, v27 :: v_dual_mov_b32 v47, v29
	s_delay_alu instid0(VALU_DEP_3)
	v_dual_mov_b32 v49, v31 :: v_dual_mov_b32 v43, v51
	ds_load_b128 v[28:31], v201 offset:256
	ds_load_b128 v[24:27], v201 offset:272
	ds_store_2addr_b64 v192, v[44:45], v[46:47] offset1:67
	ds_store_2addr_b64 v192, v[48:49], v[42:43] offset0:134 offset1:201
	s_wait_dscnt 0x0
	s_barrier_signal -1
	s_barrier_wait -1
	ds_load_2addr_b64 v[52:55], v185 offset1:1
	ds_load_2addr_b64 v[48:51], v185 offset0:2 offset1:3
	s_wait_dscnt 0x0
	s_barrier_signal -1
	s_barrier_wait -1
	s_cbranch_vccnz .LBB36_151
; %bb.144:                              ;   in Loop: Header=BB36_107 Depth=2
	v_mov_b64_e32 v[168:169], 0
	v_mov_b64_e32 v[170:171], 0
	s_mov_b32 s81, exec_lo
	v_cmpx_gt_i32_e64 s80, v213
	s_cbranch_execz .LBB36_146
; %bb.145:                              ;   in Loop: Header=BB36_107 Depth=2
	flat_load_b64 v[170:171], v[40:41]
.LBB36_146:                             ;   in Loop: Header=BB36_107 Depth=2
	s_wait_xcnt 0x0
	s_or_b32 exec_lo, exec_lo, s81
	s_delay_alu instid0(SALU_CYCLE_1)
	s_mov_b32 s81, exec_lo
	v_cmpx_gt_i32_e64 s80, v214
	s_cbranch_execz .LBB36_148
; %bb.147:                              ;   in Loop: Header=BB36_107 Depth=2
	v_add_nc_u64_e32 v[42:43], v[134:135], v[60:61]
	flat_load_b64 v[168:169], v[42:43]
.LBB36_148:                             ;   in Loop: Header=BB36_107 Depth=2
	s_wait_xcnt 0x0
	s_or_b32 exec_lo, exec_lo, s81
	v_mov_b64_e32 v[172:173], 0
	s_mov_b32 s81, exec_lo
	v_cmpx_gt_i32_e64 s80, v215
	s_cbranch_execz .LBB36_150
; %bb.149:                              ;   in Loop: Header=BB36_107 Depth=2
	v_add_nc_u64_e32 v[42:43], v[132:133], v[60:61]
	flat_load_b64 v[172:173], v[42:43]
.LBB36_150:                             ;   in Loop: Header=BB36_107 Depth=2
	s_wait_xcnt 0x0
	s_or_b32 exec_lo, exec_lo, s81
	v_cmp_gt_i32_e64 s81, s80, v216
	s_branch .LBB36_153
.LBB36_151:                             ;   in Loop: Header=BB36_107 Depth=2
	s_mov_b32 s81, 0
                                        ; implicit-def: $vgpr172_vgpr173
                                        ; implicit-def: $vgpr168_vgpr169
                                        ; implicit-def: $vgpr170_vgpr171
	s_cbranch_execz .LBB36_153
; %bb.152:                              ;   in Loop: Header=BB36_107 Depth=2
	v_add_nc_u64_e32 v[42:43], v[134:135], v[60:61]
	v_add_nc_u64_e32 v[44:45], v[132:133], v[60:61]
	s_or_b32 s81, s81, exec_lo
	s_wait_loadcnt_dscnt 0x0
	flat_load_b64 v[170:171], v[40:41]
	flat_load_b64 v[168:169], v[42:43]
	;; [unrolled: 1-line block ×3, first 2 shown]
.LBB36_153:                             ;   in Loop: Header=BB36_107 Depth=2
	v_dual_mov_b32 v174, 0 :: v_dual_mov_b32 v176, 0
	s_wait_xcnt 0x0
	s_delay_alu instid0(VALU_DEP_2)
	s_and_saveexec_b32 s82, s81
	s_cbranch_execz .LBB36_155
; %bb.154:                              ;   in Loop: Header=BB36_107 Depth=2
	v_add_nc_u64_e32 v[40:41], v[136:137], v[60:61]
	flat_load_b64 v[174:175], v[40:41]
	s_wait_loadcnt_dscnt 0x0
	v_mov_b32_e32 v176, v175
.LBB36_155:                             ;   in Loop: Header=BB36_107 Depth=2
	s_wait_xcnt 0x0
	s_or_b32 exec_lo, exec_lo, s82
	ds_load_b64 v[44:45], v196
	ds_load_b128 v[40:43], v201 offset:384
	v_pk_add_f32 v[36:37], v[36:37], 0 op_sel_hi:[1,0]
	v_pk_add_f32 v[20:21], v[20:21], 0 op_sel_hi:[1,0]
	v_pk_add_f32 v[52:53], v[52:53], 0 op_sel_hi:[1,0]
	v_cmp_gt_i32_e32 vcc_lo, s80, v178
	s_delay_alu instid0(VALU_DEP_4) | instskip(NEXT) | instid1(VALU_DEP_4)
	v_pk_add_f32 v[36:37], v[36:37], v[38:39]
	v_pk_add_f32 v[20:21], v[20:21], v[22:23]
	s_delay_alu instid0(VALU_DEP_4) | instskip(SKIP_1) | instid1(VALU_DEP_3)
	v_pk_add_f32 v[52:53], v[52:53], v[54:55]
	s_or_b32 s71, s71, vcc_lo
	v_pk_add_f32 v[32:33], v[36:37], v[32:33]
	s_delay_alu instid0(VALU_DEP_3) | instskip(NEXT) | instid1(VALU_DEP_3)
	v_pk_add_f32 v[16:17], v[20:21], v[16:17]
	v_pk_add_f32 v[38:39], v[52:53], v[48:49]
	s_and_b32 s80, s20, s71
	s_delay_alu instid0(VALU_DEP_3) | instskip(NEXT) | instid1(VALU_DEP_3)
	v_pk_add_f32 v[32:33], v[32:33], v[34:35]
	v_pk_add_f32 v[16:17], v[16:17], v[18:19]
	s_wait_loadcnt_dscnt 0x1
	v_pk_mul_f32 v[46:47], v[170:171], v[44:45] op_sel:[1,0]
	v_pk_mul_f32 v[218:219], v[168:169], v[44:45] op_sel:[1,0]
	;; [unrolled: 1-line block ×3, first 2 shown]
	v_pk_mul_f32 v[222:223], v[176:177], v[44:45] op_sel_hi:[0,1]
	s_delay_alu instid0(VALU_DEP_4)
	v_pk_fma_f32 v[224:225], v[170:171], v[44:45], v[46:47] op_sel:[0,0,1] op_sel_hi:[1,1,0]
	v_pk_fma_f32 v[46:47], v[170:171], v[44:45], v[46:47] op_sel:[0,0,1] op_sel_hi:[0,1,0] neg_lo:[0,0,1] neg_hi:[0,0,1]
	v_pk_fma_f32 v[226:227], v[168:169], v[44:45], v[218:219] op_sel:[0,0,1] op_sel_hi:[1,1,0]
	v_pk_fma_f32 v[218:219], v[168:169], v[44:45], v[218:219] op_sel:[0,0,1] op_sel_hi:[0,1,0] neg_lo:[0,0,1] neg_hi:[0,0,1]
	;; [unrolled: 2-line block ×3, first 2 shown]
	v_pk_fma_f32 v[230:231], v[174:175], v[44:45], v[222:223] op_sel:[0,0,1] op_sel_hi:[0,1,0] neg_lo:[0,0,1] neg_hi:[0,0,1]
	v_pk_fma_f32 v[222:223], v[174:175], v[44:45], v[222:223] op_sel:[0,0,1] op_sel_hi:[1,1,0]
	v_dual_mov_b32 v225, v47 :: v_dual_mov_b32 v227, v219
	s_delay_alu instid0(VALU_DEP_3)
	v_dual_mov_b32 v229, v221 :: v_dual_mov_b32 v223, v231
	ds_load_b128 v[44:47], v201 offset:400
	ds_store_2addr_b64 v192, v[224:225], v[226:227] offset1:67
	ds_store_2addr_b64 v192, v[228:229], v[222:223] offset0:134 offset1:201
	s_wait_dscnt 0x0
	s_barrier_signal -1
	s_barrier_wait -1
	ds_load_2addr_b64 v[218:221], v185 offset1:1
	ds_load_2addr_b64 v[222:225], v185 offset0:2 offset1:3
	s_wait_dscnt 0x0
	s_barrier_signal -1
	s_barrier_wait -1
	v_pk_add_f32 v[218:219], v[218:219], 0 op_sel_hi:[1,0]
	s_delay_alu instid0(VALU_DEP_1) | instskip(NEXT) | instid1(VALU_DEP_1)
	v_pk_add_f32 v[22:23], v[218:219], v[220:221]
	v_pk_add_f32 v[20:21], v[22:23], v[222:223]
	;; [unrolled: 1-line block ×3, first 2 shown]
	s_delay_alu instid0(VALU_DEP_2)
	v_pk_add_f32 v[18:19], v[20:21], v[224:225]
	ds_store_2addr_b64 v195, v[16:17], v[32:33] offset1:16
	ds_store_2addr_b64 v195, v[22:23], v[18:19] offset0:32 offset1:48
	s_wait_dscnt 0x0
	s_barrier_signal -1
	s_barrier_wait -1
	s_and_saveexec_b32 s71, s80
	s_cbranch_execz .LBB36_157
; %bb.156:                              ;   in Loop: Header=BB36_107 Depth=2
	ds_load_b64 v[36:37], v186
	ds_load_2addr_b64 v[16:19], v186 offset0:1 offset1:2
	ds_load_2addr_b64 v[20:23], v186 offset0:3 offset1:4
	;; [unrolled: 1-line block ×3, first 2 shown]
	s_wait_dscnt 0x2
	v_dual_add_f32 v16, v16, v36 :: v_dual_add_f32 v17, v17, v37
	s_delay_alu instid0(VALU_DEP_1) | instskip(SKIP_3) | instid1(VALU_DEP_1)
	v_dual_add_f32 v36, v18, v16 :: v_dual_add_f32 v37, v19, v17
	ds_load_2addr_b64 v[16:19], v186 offset0:7 offset1:8
	s_wait_dscnt 0x2
	v_dual_add_f32 v20, v36, v20 :: v_dual_add_f32 v21, v37, v21
	v_dual_add_f32 v36, v20, v22 :: v_dual_add_f32 v37, v21, v23
	ds_load_2addr_b64 v[20:23], v186 offset0:9 offset1:10
	s_wait_dscnt 0x2
	v_pk_add_f32 v[32:33], v[36:37], v[32:33]
	s_delay_alu instid0(VALU_DEP_1) | instskip(SKIP_3) | instid1(VALU_DEP_1)
	v_pk_add_f32 v[36:37], v[32:33], v[34:35]
	ds_load_2addr_b64 v[32:35], v186 offset0:11 offset1:12
	s_wait_dscnt 0x2
	v_pk_add_f32 v[16:17], v[36:37], v[16:17]
	v_pk_add_f32 v[16:17], v[16:17], v[18:19]
	s_wait_dscnt 0x1
	s_delay_alu instid0(VALU_DEP_1)
	v_pk_add_f32 v[20:21], v[16:17], v[20:21]
	ds_load_2addr_b64 v[16:19], v186 offset0:13 offset1:14
	v_pk_add_f32 v[20:21], v[20:21], v[22:23]
	ds_load_b64 v[22:23], v187
	s_wait_dscnt 0x2
	v_pk_add_f32 v[20:21], v[20:21], v[32:33]
	s_delay_alu instid0(VALU_DEP_1) | instskip(SKIP_1) | instid1(VALU_DEP_1)
	v_pk_add_f32 v[20:21], v[20:21], v[34:35]
	s_wait_dscnt 0x1
	v_pk_add_f32 v[16:17], v[20:21], v[16:17]
	s_delay_alu instid0(VALU_DEP_1) | instskip(SKIP_2) | instid1(VALU_DEP_2)
	v_pk_add_f32 v[16:17], v[16:17], v[18:19]
	v_add_nc_u32_e32 v18, s70, v178
	s_wait_dscnt 0x0
	v_pk_add_f32 v[16:17], v[16:17], v[22:23]
	global_store_b64 v18, v[16:17], s[68:69] scale_offset
.LBB36_157:                             ;   in Loop: Header=BB36_107 Depth=2
	s_wait_xcnt 0x0
	s_or_b32 exec_lo, exec_lo, s71
	v_dual_mov_b32 v16, v142 :: v_dual_mov_b32 v17, v142
	v_dual_mov_b32 v142, v143 :: v_dual_mov_b32 v18, v140
	;; [unrolled: 1-line block ×4, first 2 shown]
	s_delay_alu instid0(VALU_DEP_3) | instskip(SKIP_1) | instid1(VALU_DEP_4)
	v_pk_mul_f32 v[20:21], v[142:143], v[0:1]
	v_dual_mov_b32 v144, v145 :: v_dual_mov_b32 v147, v146
	v_pk_mul_f32 v[34:35], v[140:141], v[2:3]
	v_dual_mov_b32 v175, v174 :: v_dual_mov_b32 v177, v176
	s_delay_alu instid0(VALU_DEP_4)
	v_pk_fma_f32 v[32:33], v[16:17], v[0:1], v[20:21] op_sel:[0,0,1] op_sel_hi:[1,1,0]
	v_pk_fma_f32 v[0:1], v[16:17], v[0:1], v[20:21] op_sel:[0,0,1] op_sel_hi:[1,1,0] neg_lo:[0,0,1] neg_hi:[0,0,1]
	v_mov_b32_e32 v149, v148
	v_pk_fma_f32 v[16:17], v[18:19], v[2:3], v[34:35] op_sel:[0,0,1] op_sel_hi:[1,1,0]
	v_pk_mul_f32 v[20:21], v[144:145], v[4:5]
	v_mov_b32_e32 v1, v33
	v_pk_fma_f32 v[2:3], v[18:19], v[2:3], v[34:35] op_sel:[0,0,1] op_sel_hi:[1,1,0] neg_lo:[0,0,1] neg_hi:[0,0,1]
	v_pk_mul_f32 v[32:33], v[148:149], v[6:7]
	v_mov_b32_e32 v3, v17
	v_pk_fma_f32 v[16:17], v[22:23], v[4:5], v[20:21] op_sel:[0,0,1] op_sel_hi:[1,1,0]
	v_pk_add_f32 v[0:1], v[104:105], v[0:1]
	v_pk_fma_f32 v[4:5], v[22:23], v[4:5], v[20:21] op_sel:[0,0,1] op_sel_hi:[1,1,0] neg_lo:[0,0,1] neg_hi:[0,0,1]
	v_pk_fma_f32 v[18:19], v[146:147], v[6:7], v[32:33] op_sel:[0,0,1] op_sel_hi:[1,1,0]
	s_delay_alu instid0(VALU_DEP_4) | instskip(NEXT) | instid1(VALU_DEP_4)
	v_dual_mov_b32 v16, v15 :: v_dual_mov_b32 v5, v17
	v_pk_add_f32 v[0:1], v[0:1], v[2:3]
	v_pk_fma_f32 v[2:3], v[146:147], v[6:7], v[32:33] op_sel:[0,0,1] op_sel_hi:[1,1,0] neg_lo:[0,0,1] neg_hi:[0,0,1]
	v_pk_mul_f32 v[6:7], v[152:153], v[12:13] op_sel:[1,1] op_sel_hi:[0,1]
	v_mov_b32_e32 v3, v19
	v_pk_mul_f32 v[16:17], v[150:151], v[16:17] op_sel:[1,0] op_sel_hi:[0,0]
	v_pk_add_f32 v[0:1], v[0:1], v[4:5]
	v_add_nc_u64_e32 v[106:107], s[60:61], v[106:107]
	v_pk_fma_f32 v[4:5], v[152:153], v[12:13], v[6:7] op_sel_hi:[1,0,1]
	v_dual_mov_b32 v157, v58 :: v_dual_mov_b32 v4, v160
	s_delay_alu instid0(VALU_DEP_4) | instskip(SKIP_1) | instid1(VALU_DEP_4)
	v_pk_add_f32 v[0:1], v[0:1], v[2:3]
	v_pk_fma_f32 v[2:3], v[152:153], v[12:13], v[6:7] neg_lo:[0,0,1] neg_hi:[0,0,1]
	v_mov_b32_e32 v3, v5
	v_pk_fma_f32 v[6:7], v[150:151], v[14:15], v[16:17] op_sel_hi:[1,0,1]
	v_pk_fma_f32 v[12:13], v[150:151], v[14:15], v[16:17] neg_lo:[0,0,1] neg_hi:[0,0,1]
	v_dual_mov_b32 v5, v160 :: v_dual_mov_b32 v160, v161
	s_delay_alu instid0(VALU_DEP_4) | instskip(SKIP_3) | instid1(VALU_DEP_3)
	v_pk_add_f32 v[0:1], v[0:1], v[2:3]
	v_pk_mul_f32 v[2:3], v[154:155], v[8:9] op_sel:[1,1] op_sel_hi:[0,1]
	v_dual_mov_b32 v13, v7 :: v_dual_mov_b32 v6, v11
	v_dual_mov_b32 v14, v158 :: v_dual_mov_b32 v165, v164
	v_pk_fma_f32 v[16:17], v[154:155], v[8:9], v[2:3] op_sel_hi:[1,0,1]
	v_pk_fma_f32 v[2:3], v[154:155], v[8:9], v[2:3] neg_lo:[0,0,1] neg_hi:[0,0,1]
	v_mov_b32_e32 v15, v158
	v_pk_add_f32 v[0:1], v[0:1], v[12:13]
	v_pk_mul_f32 v[6:7], v[156:157], v[6:7] op_sel:[1,0] op_sel_hi:[0,0]
	v_dual_mov_b32 v3, v17 :: v_dual_mov_b32 v158, v159
	v_mov_b32_e32 v8, v162
	v_add_nc_u64_e32 v[108:109], s[60:61], v[108:109]
	s_delay_alu instid0(VALU_DEP_4) | instskip(NEXT) | instid1(VALU_DEP_4)
	v_pk_fma_f32 v[12:13], v[156:157], v[10:11], v[6:7] op_sel_hi:[1,0,1]
	v_pk_add_f32 v[0:1], v[0:1], v[2:3]
	v_pk_mul_f32 v[2:3], v[160:161], v[28:29]
	v_pk_fma_f32 v[6:7], v[156:157], v[10:11], v[6:7] neg_lo:[0,0,1] neg_hi:[0,0,1]
	s_delay_alu instid0(VALU_DEP_4) | instskip(SKIP_1) | instid1(VALU_DEP_4)
	v_dual_mov_b32 v9, v162 :: v_dual_mov_b32 v7, v13
	v_mov_b32_e32 v162, v163
	v_pk_fma_f32 v[10:11], v[4:5], v[28:29], v[2:3] op_sel:[0,0,1] op_sel_hi:[1,1,0]
	v_pk_fma_f32 v[2:3], v[4:5], v[28:29], v[2:3] op_sel:[0,0,1] op_sel_hi:[1,1,0] neg_lo:[0,0,1] neg_hi:[0,0,1]
	v_mov_b32_e32 v167, v166
	v_pk_add_f32 v[0:1], v[0:1], v[6:7]
	v_pk_mul_f32 v[6:7], v[158:159], v[30:31]
	v_dual_mov_b32 v3, v11 :: v_dual_mov_b32 v4, v170
	v_mov_b32_e32 v5, v170
	v_add_nc_u64_e32 v[110:111], s[60:61], v[110:111]
	s_delay_alu instid0(VALU_DEP_4) | instskip(NEXT) | instid1(VALU_DEP_4)
	v_pk_fma_f32 v[10:11], v[14:15], v[30:31], v[6:7] op_sel:[0,0,1] op_sel_hi:[1,1,0]
	v_pk_add_f32 v[0:1], v[0:1], v[2:3]
	v_pk_mul_f32 v[2:3], v[162:163], v[24:25]
	v_pk_fma_f32 v[6:7], v[14:15], v[30:31], v[6:7] op_sel:[0,0,1] op_sel_hi:[1,1,0] neg_lo:[0,0,1] neg_hi:[0,0,1]
	s_delay_alu instid0(VALU_DEP_4) | instskip(SKIP_1) | instid1(VALU_DEP_4)
	v_dual_mov_b32 v170, v171 :: v_dual_mov_b32 v7, v11
	v_dual_mov_b32 v10, v168 :: v_dual_mov_b32 v11, v168
	v_pk_fma_f32 v[12:13], v[8:9], v[24:25], v[2:3] op_sel:[0,0,1] op_sel_hi:[1,1,0]
	v_pk_fma_f32 v[2:3], v[8:9], v[24:25], v[2:3] op_sel:[0,0,1] op_sel_hi:[1,1,0] neg_lo:[0,0,1] neg_hi:[0,0,1]
	v_mov_b32_e32 v168, v169
	v_pk_add_f32 v[0:1], v[0:1], v[6:7]
	v_pk_mul_f32 v[6:7], v[166:167], v[26:27]
	v_dual_mov_b32 v3, v13 :: v_dual_mov_b32 v8, v172
	v_mov_b32_e32 v9, v172
	v_add_nc_u64_e32 v[112:113], s[60:61], v[112:113]
	s_delay_alu instid0(VALU_DEP_4) | instskip(NEXT) | instid1(VALU_DEP_4)
	v_pk_fma_f32 v[12:13], v[164:165], v[26:27], v[6:7] op_sel:[0,0,1] op_sel_hi:[1,1,0]
	v_pk_add_f32 v[0:1], v[0:1], v[2:3]
	v_pk_fma_f32 v[2:3], v[164:165], v[26:27], v[6:7] op_sel:[0,0,1] op_sel_hi:[1,1,0] neg_lo:[0,0,1] neg_hi:[0,0,1]
	v_pk_mul_f32 v[6:7], v[170:171], v[40:41]
	s_delay_alu instid0(VALU_DEP_4) | instskip(SKIP_2) | instid1(VALU_DEP_4)
	v_dual_mov_b32 v172, v173 :: v_dual_mov_b32 v3, v13
	v_pk_mul_f32 v[12:13], v[168:169], v[42:43]
	v_add_nc_u64_e32 v[114:115], s[60:61], v[114:115]
	v_pk_fma_f32 v[14:15], v[4:5], v[40:41], v[6:7] op_sel:[0,0,1] op_sel_hi:[1,1,0]
	v_pk_fma_f32 v[4:5], v[4:5], v[40:41], v[6:7] op_sel:[0,0,1] op_sel_hi:[1,1,0] neg_lo:[0,0,1] neg_hi:[0,0,1]
	v_pk_add_f32 v[0:1], v[0:1], v[2:3]
	v_pk_fma_f32 v[2:3], v[10:11], v[42:43], v[12:13] op_sel:[0,0,1] op_sel_hi:[1,1,0]
	v_pk_mul_f32 v[16:17], v[172:173], v[44:45]
	v_mov_b32_e32 v5, v15
	v_pk_fma_f32 v[6:7], v[10:11], v[42:43], v[12:13] op_sel:[0,0,1] op_sel_hi:[1,1,0] neg_lo:[0,0,1] neg_hi:[0,0,1]
	v_pk_mul_f32 v[10:11], v[176:177], v[46:47]
	v_mov_b32_e32 v7, v3
	v_pk_fma_f32 v[2:3], v[8:9], v[44:45], v[16:17] op_sel:[0,0,1] op_sel_hi:[1,1,0]
	v_pk_add_f32 v[0:1], v[0:1], v[4:5]
	v_pk_fma_f32 v[4:5], v[8:9], v[44:45], v[16:17] op_sel:[0,0,1] op_sel_hi:[1,1,0] neg_lo:[0,0,1] neg_hi:[0,0,1]
	v_add_nc_u64_e32 v[116:117], s[60:61], v[116:117]
	v_add_nc_u64_e32 v[118:119], s[60:61], v[118:119]
	v_mov_b32_e32 v5, v3
	v_pk_fma_f32 v[2:3], v[174:175], v[46:47], v[10:11] op_sel:[0,0,1] op_sel_hi:[1,1,0]
	v_pk_add_f32 v[0:1], v[0:1], v[6:7]
	v_pk_fma_f32 v[6:7], v[174:175], v[46:47], v[10:11] op_sel:[0,0,1] op_sel_hi:[1,1,0] neg_lo:[0,0,1] neg_hi:[0,0,1]
	v_add_nc_u64_e32 v[120:121], s[60:61], v[120:121]
	v_add_nc_u64_e32 v[122:123], s[60:61], v[122:123]
	v_mov_b32_e32 v7, v3
	v_pk_add_f32 v[0:1], v[0:1], v[4:5]
	v_add_nc_u64_e32 v[124:125], s[60:61], v[124:125]
	v_add_nc_u64_e32 v[126:127], s[60:61], v[126:127]
	;; [unrolled: 1-line block ×7, first 2 shown]
	v_pk_add_f32 v[104:105], v[0:1], v[6:7]
	s_add_co_i32 s71, s79, 1
	s_add_co_i32 s79, s79, 2
	;; [unrolled: 1-line block ×3, first 2 shown]
	s_cmp_ge_u32 s79, s38
	s_wait_storecnt 0x0
	s_barrier_signal -1
	s_barrier_wait -1
	s_cbranch_scc1 .LBB36_159
; %bb.158:                              ;   in Loop: Header=BB36_107 Depth=2
	s_mov_b32 s79, s71
	s_delay_alu instid0(SALU_CYCLE_1)
	s_cmp_eq_u32 s75, s79
	s_cselect_b32 s80, s73, 0
	s_and_saveexec_b32 s81, s0
	s_cbranch_execnz .LBB36_103
	s_branch .LBB36_107
.LBB36_159:                             ;   in Loop: Header=BB36_4 Depth=1
	ds_store_b64 v193, v[104:105]
	s_wait_dscnt 0x0
	s_barrier_signal -1
	s_barrier_wait -1
	s_and_saveexec_b32 s70, s76
	s_cbranch_execz .LBB36_2
; %bb.160:                              ;   in Loop: Header=BB36_4 Depth=1
	ds_load_2addr_b64 v[0:3], v60 offset1:67
	ds_load_2addr_b64 v[4:7], v60 offset0:134 offset1:201
	s_wait_dscnt 0x1
	v_pk_add_f32 v[0:1], v[2:3], v[0:1]
	v_lshl_add_u64 v[2:3], v[64:65], 3, s[68:69]
	s_wait_dscnt 0x0
	s_delay_alu instid0(VALU_DEP_2) | instskip(NEXT) | instid1(VALU_DEP_1)
	v_pk_add_f32 v[0:1], v[4:5], v[0:1]
	v_pk_add_f32 v[0:1], v[0:1], v[6:7]
	global_store_b64 v[2:3], v[0:1], off
	s_branch .LBB36_2
.LBB36_161:                             ;   in Loop: Header=BB36_4 Depth=1
	ds_load_b64 v[4:5], v191
	s_mov_b32 s68, exec_lo
	s_wait_dscnt 0x0
	v_xor_b32_e32 v2, 0x80000000, v5
	ds_store_b32 v197, v4
	s_or_saveexec_b32 s69, s69
	v_mov_b32_e32 v3, v197
	s_xor_b32 exec_lo, exec_lo, s69
	s_cbranch_execz .LBB36_33
.LBB36_162:                             ;   in Loop: Header=BB36_4 Depth=1
	v_dual_mov_b32 v2, 0 :: v_dual_mov_b32 v3, v179
	s_and_not1_b32 s68, s68, exec_lo
	s_and_b32 s70, s13, exec_lo
	s_delay_alu instid0(SALU_CYCLE_1)
	s_or_b32 s68, s68, s70
	s_or_b32 exec_lo, exec_lo, s69
	s_and_saveexec_b32 s69, s68
	s_cbranch_execnz .LBB36_34
	s_branch .LBB36_35
.LBB36_163:                             ;   in Loop: Header=BB36_4 Depth=1
	ds_load_b64 v[4:5], v191
	s_mov_b32 s68, exec_lo
	s_wait_dscnt 0x0
	v_xor_b32_e32 v2, 0x80000000, v5
	ds_store_b32 v197, v4
	s_or_saveexec_b32 s69, s69
	v_mov_b32_e32 v3, v197
	s_xor_b32 exec_lo, exec_lo, s69
	s_cbranch_execz .LBB36_69
.LBB36_164:                             ;   in Loop: Header=BB36_4 Depth=1
	v_dual_mov_b32 v2, 0 :: v_dual_mov_b32 v3, v179
	s_and_not1_b32 s68, s68, exec_lo
	s_and_b32 s70, s13, exec_lo
	s_delay_alu instid0(SALU_CYCLE_1)
	s_or_b32 s68, s68, s70
	s_or_b32 exec_lo, exec_lo, s69
	s_and_saveexec_b32 s69, s68
	s_cbranch_execnz .LBB36_70
	s_branch .LBB36_71
.LBB36_165:
	s_sendmsg sendmsg(MSG_DEALLOC_VGPRS)
	s_endpgm
	.section	.rodata,"a",@progbits
	.p2align	6, 0x0
	.amdhsa_kernel _ZL26rocblas_hemvn_kernel_upperILb1ELi64ELi4ELi33ELi32ELi16El19rocblas_complex_numIfEPKPKS1_PS1_EviT6_lT7_lT5_lS8_lS9_lS7_lT8_i
		.amdhsa_group_segment_fixed_size 9600
		.amdhsa_private_segment_fixed_size 0
		.amdhsa_kernarg_size 376
		.amdhsa_user_sgpr_count 2
		.amdhsa_user_sgpr_dispatch_ptr 0
		.amdhsa_user_sgpr_queue_ptr 0
		.amdhsa_user_sgpr_kernarg_segment_ptr 1
		.amdhsa_user_sgpr_dispatch_id 0
		.amdhsa_user_sgpr_kernarg_preload_length 0
		.amdhsa_user_sgpr_kernarg_preload_offset 0
		.amdhsa_user_sgpr_private_segment_size 0
		.amdhsa_wavefront_size32 1
		.amdhsa_uses_dynamic_stack 0
		.amdhsa_enable_private_segment 0
		.amdhsa_system_sgpr_workgroup_id_x 1
		.amdhsa_system_sgpr_workgroup_id_y 0
		.amdhsa_system_sgpr_workgroup_id_z 1
		.amdhsa_system_sgpr_workgroup_info 0
		.amdhsa_system_vgpr_workitem_id 1
		.amdhsa_next_free_vgpr 232
		.amdhsa_next_free_sgpr 84
		.amdhsa_named_barrier_count 0
		.amdhsa_reserve_vcc 1
		.amdhsa_float_round_mode_32 0
		.amdhsa_float_round_mode_16_64 0
		.amdhsa_float_denorm_mode_32 3
		.amdhsa_float_denorm_mode_16_64 3
		.amdhsa_fp16_overflow 0
		.amdhsa_memory_ordered 1
		.amdhsa_forward_progress 1
		.amdhsa_inst_pref_size 73
		.amdhsa_round_robin_scheduling 0
		.amdhsa_exception_fp_ieee_invalid_op 0
		.amdhsa_exception_fp_denorm_src 0
		.amdhsa_exception_fp_ieee_div_zero 0
		.amdhsa_exception_fp_ieee_overflow 0
		.amdhsa_exception_fp_ieee_underflow 0
		.amdhsa_exception_fp_ieee_inexact 0
		.amdhsa_exception_int_div_zero 0
	.end_amdhsa_kernel
	.section	.text._ZL26rocblas_hemvn_kernel_upperILb1ELi64ELi4ELi33ELi32ELi16El19rocblas_complex_numIfEPKPKS1_PS1_EviT6_lT7_lT5_lS8_lS9_lS7_lT8_i,"axG",@progbits,_ZL26rocblas_hemvn_kernel_upperILb1ELi64ELi4ELi33ELi32ELi16El19rocblas_complex_numIfEPKPKS1_PS1_EviT6_lT7_lT5_lS8_lS9_lS7_lT8_i,comdat
.Lfunc_end36:
	.size	_ZL26rocblas_hemvn_kernel_upperILb1ELi64ELi4ELi33ELi32ELi16El19rocblas_complex_numIfEPKPKS1_PS1_EviT6_lT7_lT5_lS8_lS9_lS7_lT8_i, .Lfunc_end36-_ZL26rocblas_hemvn_kernel_upperILb1ELi64ELi4ELi33ELi32ELi16El19rocblas_complex_numIfEPKPKS1_PS1_EviT6_lT7_lT5_lS8_lS9_lS7_lT8_i
                                        ; -- End function
	.set _ZL26rocblas_hemvn_kernel_upperILb1ELi64ELi4ELi33ELi32ELi16El19rocblas_complex_numIfEPKPKS1_PS1_EviT6_lT7_lT5_lS8_lS9_lS7_lT8_i.num_vgpr, 232
	.set _ZL26rocblas_hemvn_kernel_upperILb1ELi64ELi4ELi33ELi32ELi16El19rocblas_complex_numIfEPKPKS1_PS1_EviT6_lT7_lT5_lS8_lS9_lS7_lT8_i.num_agpr, 0
	.set _ZL26rocblas_hemvn_kernel_upperILb1ELi64ELi4ELi33ELi32ELi16El19rocblas_complex_numIfEPKPKS1_PS1_EviT6_lT7_lT5_lS8_lS9_lS7_lT8_i.numbered_sgpr, 84
	.set _ZL26rocblas_hemvn_kernel_upperILb1ELi64ELi4ELi33ELi32ELi16El19rocblas_complex_numIfEPKPKS1_PS1_EviT6_lT7_lT5_lS8_lS9_lS7_lT8_i.num_named_barrier, 0
	.set _ZL26rocblas_hemvn_kernel_upperILb1ELi64ELi4ELi33ELi32ELi16El19rocblas_complex_numIfEPKPKS1_PS1_EviT6_lT7_lT5_lS8_lS9_lS7_lT8_i.private_seg_size, 0
	.set _ZL26rocblas_hemvn_kernel_upperILb1ELi64ELi4ELi33ELi32ELi16El19rocblas_complex_numIfEPKPKS1_PS1_EviT6_lT7_lT5_lS8_lS9_lS7_lT8_i.uses_vcc, 1
	.set _ZL26rocblas_hemvn_kernel_upperILb1ELi64ELi4ELi33ELi32ELi16El19rocblas_complex_numIfEPKPKS1_PS1_EviT6_lT7_lT5_lS8_lS9_lS7_lT8_i.uses_flat_scratch, 1
	.set _ZL26rocblas_hemvn_kernel_upperILb1ELi64ELi4ELi33ELi32ELi16El19rocblas_complex_numIfEPKPKS1_PS1_EviT6_lT7_lT5_lS8_lS9_lS7_lT8_i.has_dyn_sized_stack, 0
	.set _ZL26rocblas_hemvn_kernel_upperILb1ELi64ELi4ELi33ELi32ELi16El19rocblas_complex_numIfEPKPKS1_PS1_EviT6_lT7_lT5_lS8_lS9_lS7_lT8_i.has_recursion, 0
	.set _ZL26rocblas_hemvn_kernel_upperILb1ELi64ELi4ELi33ELi32ELi16El19rocblas_complex_numIfEPKPKS1_PS1_EviT6_lT7_lT5_lS8_lS9_lS7_lT8_i.has_indirect_call, 0
	.section	.AMDGPU.csdata,"",@progbits
; Kernel info:
; codeLenInByte = 9232
; TotalNumSgprs: 86
; NumVgprs: 232
; ScratchSize: 0
; MemoryBound: 1
; FloatMode: 240
; IeeeMode: 1
; LDSByteSize: 9600 bytes/workgroup (compile time only)
; SGPRBlocks: 0
; VGPRBlocks: 14
; NumSGPRsForWavesPerEU: 86
; NumVGPRsForWavesPerEU: 232
; NamedBarCnt: 0
; Occupancy: 4
; WaveLimiterHint : 1
; COMPUTE_PGM_RSRC2:SCRATCH_EN: 0
; COMPUTE_PGM_RSRC2:USER_SGPR: 2
; COMPUTE_PGM_RSRC2:TRAP_HANDLER: 0
; COMPUTE_PGM_RSRC2:TGID_X_EN: 1
; COMPUTE_PGM_RSRC2:TGID_Y_EN: 0
; COMPUTE_PGM_RSRC2:TGID_Z_EN: 1
; COMPUTE_PGM_RSRC2:TIDIG_COMP_CNT: 1
	.section	.text._ZL36rocblas_hemvn_kernel_upper_block_sumILi64El19rocblas_complex_numIfEPKPS1_S1_EviT1_lS5_lT2_lT0_lPT3_i,"axG",@progbits,_ZL36rocblas_hemvn_kernel_upper_block_sumILi64El19rocblas_complex_numIfEPKPS1_S1_EviT1_lS5_lT2_lT0_lPT3_i,comdat
	.globl	_ZL36rocblas_hemvn_kernel_upper_block_sumILi64El19rocblas_complex_numIfEPKPS1_S1_EviT1_lS5_lT2_lT0_lPT3_i ; -- Begin function _ZL36rocblas_hemvn_kernel_upper_block_sumILi64El19rocblas_complex_numIfEPKPS1_S1_EviT1_lS5_lT2_lT0_lPT3_i
	.p2align	8
	.type	_ZL36rocblas_hemvn_kernel_upper_block_sumILi64El19rocblas_complex_numIfEPKPS1_S1_EviT1_lS5_lT2_lT0_lPT3_i,@function
_ZL36rocblas_hemvn_kernel_upper_block_sumILi64El19rocblas_complex_numIfEPKPS1_S1_EviT1_lS5_lT2_lT0_lPT3_i: ; @_ZL36rocblas_hemvn_kernel_upper_block_sumILi64El19rocblas_complex_numIfEPKPS1_S1_EviT1_lS5_lT2_lT0_lPT3_i
; %bb.0:
	s_load_b32 s3, s[0:1], 0x50
	s_bfe_u32 s2, ttmp6, 0x40014
	s_lshr_b32 s4, ttmp7, 16
	s_add_co_i32 s2, s2, 1
	s_bfe_u32 s6, ttmp6, 0x40008
	s_mul_i32 s5, s4, s2
	s_getreg_b32 s2, hwreg(HW_REG_IB_STS2, 6, 4)
	s_add_co_i32 s6, s6, s5
	s_cmp_eq_u32 s2, 0
	s_mov_b32 s9, 0
	s_cselect_b32 s8, s4, s6
	s_wait_kmcnt 0x0
	s_cmp_ge_u32 s8, s3
	s_cbranch_scc1 .LBB37_21
; %bb.1:
	s_clause 0x3
	s_load_b64 s[10:11], s[0:1], 0x4
	s_load_b64 s[12:13], s[0:1], 0x18
	s_load_b32 s18, s[0:1], 0x0
	s_load_b64 s[20:21], s[0:1], 0x48
	s_wait_kmcnt 0x0
	s_or_b32 s4, s10, s11
	s_delay_alu instid0(SALU_CYCLE_1) | instskip(NEXT) | instid1(SALU_CYCLE_1)
	s_bitset0_b32 s4, 31
	s_cmp_eq_u32 s4, 0
	s_cselect_b32 s22, -1, 0
	s_cmp_lg_u32 s4, 0
	s_load_b128 s[4:7], s[0:1], 0x30
	s_cselect_b32 s25, -1, 0
	s_cmp_neq_f32 s12, 1.0
	s_cselect_b32 s14, -1, 0
	s_cmp_neq_f32 s13, 0
	s_cselect_b32 s15, -1, 0
	s_bfe_u32 s16, ttmp6, 0x4000c
	s_and_b32 s17, ttmp6, 15
	s_add_co_i32 s16, s16, 1
	s_delay_alu instid0(SALU_CYCLE_1) | instskip(NEXT) | instid1(SALU_CYCLE_1)
	s_mul_i32 s16, ttmp9, s16
	s_add_co_i32 s17, s17, s16
	s_cmp_eq_u32 s2, 0
	s_cselect_b32 s26, ttmp9, s17
	s_cmp_neq_f32 s12, 0
	v_lshl_or_b32 v2, s26, 6, v0
	s_mov_b32 s17, s12
	s_cselect_b32 s16, -1, 0
	s_delay_alu instid0(VALU_DEP_1) | instskip(SKIP_1) | instid1(SALU_CYCLE_1)
	v_ashrrev_i32_e32 v3, 31, v2
	s_or_b32 s16, s16, s15
	s_xor_b32 s23, s16, -1
	v_cndmask_b32_e64 v10, 0, 1, s16
	s_wait_kmcnt 0x0
	v_mul_u64_e32 v[0:1], s[6:7], v[2:3]
	s_load_b64 s[6:7], s[0:1], 0x28
	s_ashr_i32 s19, s18, 31
	s_cmp_gt_i32 s26, -1
	v_cmp_gt_i32_e64 s2, s18, v2
	v_lshl_add_u64 v[2:3], v[2:3], 3, s[20:21]
	s_cselect_b32 s24, -1, 0
	s_or_b32 s27, s14, s15
	s_wait_xcnt 0x0
	s_add_nc_u64 s[0:1], s[0:1], 0x58
	s_mov_b32 s14, s11
	s_mov_b32 s15, s10
	s_mov_b32 s16, s13
	s_or_b32 s25, s27, s25
	s_add_co_i32 s26, s26, 1
	s_lshl_b64 s[18:19], s[18:19], 3
	s_lshl_b64 s[4:5], s[4:5], 3
	s_branch .LBB37_5
.LBB37_2:                               ;   in Loop: Header=BB37_5 Depth=1
	flat_store_b64 v[6:7], v[8:9]
.LBB37_3:                               ;   in Loop: Header=BB37_5 Depth=1
	s_wait_xcnt 0x0
	s_or_b32 exec_lo, exec_lo, s27
.LBB37_4:                               ;   in Loop: Header=BB37_5 Depth=1
	s_add_co_i32 s8, s8, 0x10000
	s_delay_alu instid0(SALU_CYCLE_1)
	s_cmp_lt_u32 s8, s3
	s_cbranch_scc0 .LBB37_21
.LBB37_5:                               ; =>This Loop Header: Depth=1
                                        ;     Child Loop BB37_16 Depth 2
	s_and_not1_b32 vcc_lo, exec_lo, s25
	s_cbranch_vccnz .LBB37_4
; %bb.6:                                ;   in Loop: Header=BB37_5 Depth=1
	s_lshl_b64 s[20:21], s[8:9], 3
	s_and_not1_b32 vcc_lo, exec_lo, s22
	s_wait_kmcnt 0x0
	s_add_nc_u64 s[20:21], s[6:7], s[20:21]
	s_mov_b32 s27, -1
	s_load_b64 s[20:21], s[20:21], 0x0
	s_wait_kmcnt 0x0
	s_wait_xcnt 0x0
	s_add_nc_u64 s[20:21], s[20:21], s[4:5]
	s_cbranch_vccnz .LBB37_12
; %bb.7:                                ;   in Loop: Header=BB37_5 Depth=1
	s_and_saveexec_b32 s27, s2
	s_cbranch_execz .LBB37_11
; %bb.8:                                ;   in Loop: Header=BB37_5 Depth=1
	v_cmp_ne_u32_e32 vcc_lo, 1, v10
	v_dual_mov_b32 v4, 0 :: v_dual_mov_b32 v5, 0
	s_cbranch_vccnz .LBB37_10
; %bb.9:                                ;   in Loop: Header=BB37_5 Depth=1
	v_lshl_add_u64 v[4:5], v[0:1], 3, s[20:21]
	v_mov_b64_e32 v[6:7], s[16:17]
	v_mov_b64_e32 v[8:9], s[12:13]
	flat_load_b64 v[4:5], v[4:5]
	s_wait_loadcnt_dscnt 0x0
	v_pk_mul_f32 v[6:7], v[4:5], v[6:7] op_sel:[1,0]
	s_delay_alu instid0(VALU_DEP_1) | instskip(SKIP_2) | instid1(VALU_DEP_2)
	v_pk_fma_f32 v[12:13], v[4:5], v[8:9], v[6:7] op_sel_hi:[0,1,1]
	s_wait_xcnt 0x0
	v_pk_fma_f32 v[4:5], v[4:5], v[8:9], v[6:7] neg_lo:[0,0,1] neg_hi:[0,0,1]
	v_mov_b32_e32 v5, v13
.LBB37_10:                              ;   in Loop: Header=BB37_5 Depth=1
	v_lshl_add_u64 v[6:7], v[0:1], 3, s[20:21]
	flat_store_b64 v[6:7], v[4:5]
.LBB37_11:                              ;   in Loop: Header=BB37_5 Depth=1
	s_wait_xcnt 0x0
	s_or_b32 exec_lo, exec_lo, s27
	s_mov_b32 s27, 0
.LBB37_12:                              ;   in Loop: Header=BB37_5 Depth=1
	s_delay_alu instid0(SALU_CYCLE_1)
	s_and_not1_b32 vcc_lo, exec_lo, s27
	s_cbranch_vccnz .LBB37_4
; %bb.13:                               ;   in Loop: Header=BB37_5 Depth=1
	s_and_saveexec_b32 s27, s2
	s_cbranch_execz .LBB37_3
; %bb.14:                               ;   in Loop: Header=BB37_5 Depth=1
	v_mov_b32_e32 v5, 0
	s_and_not1_b32 vcc_lo, exec_lo, s24
	s_delay_alu instid0(VALU_DEP_1)
	v_mov_b32_e32 v4, v5
	s_cbranch_vccnz .LBB37_17
; %bb.15:                               ;   in Loop: Header=BB37_5 Depth=1
	s_load_b32 s28, s[0:1], 0x0
	s_mov_b32 s29, s9
	v_mov_b32_e32 v4, 0
	s_delay_alu instid0(VALU_DEP_1) | instskip(SKIP_2) | instid1(SALU_CYCLE_1)
	v_mov_b32_e32 v5, v4
	s_wait_kmcnt 0x0
	s_mul_u64 s[28:29], s[18:19], s[28:29]
	v_mad_nc_u64_u32 v[6:7], s28, s8, v[2:3]
	s_mov_b32 s28, s26
	s_delay_alu instid0(VALU_DEP_1)
	v_mad_u32 v7, s29, s8, v7
.LBB37_16:                              ;   Parent Loop BB37_5 Depth=1
                                        ; =>  This Inner Loop Header: Depth=2
	global_load_b64 v[8:9], v[6:7], off
	s_wait_xcnt 0x0
	v_add_nc_u64_e32 v[6:7], s[18:19], v[6:7]
	s_add_co_i32 s28, s28, -1
	s_delay_alu instid0(SALU_CYCLE_1)
	s_cmp_eq_u32 s28, 0
	s_wait_loadcnt 0x0
	v_pk_add_f32 v[4:5], v[4:5], v[8:9]
	s_cbranch_scc0 .LBB37_16
.LBB37_17:                              ;   in Loop: Header=BB37_5 Depth=1
	s_and_b32 vcc_lo, exec_lo, s23
	s_mov_b32 s28, -1
                                        ; implicit-def: $vgpr9
	s_cbranch_vccz .LBB37_19
; %bb.18:                               ;   in Loop: Header=BB37_5 Depth=1
	v_mov_b64_e32 v[6:7], s[14:15]
	v_mov_b64_e32 v[8:9], s[10:11]
	s_mov_b32 s28, 0
	s_delay_alu instid0(VALU_DEP_2) | instskip(NEXT) | instid1(VALU_DEP_2)
	v_pk_mul_f32 v[6:7], v[4:5], v[6:7] op_sel:[1,0]
	v_pk_mul_f32 v[12:13], v[4:5], v[8:9] op_sel_hi:[0,1]
	s_delay_alu instid0(VALU_DEP_2) | instskip(NEXT) | instid1(VALU_DEP_2)
	v_pk_fma_f32 v[8:9], v[4:5], v[8:9], v[6:7] op_sel_hi:[0,1,1]
	v_sub_f32_e32 v8, v12, v6
.LBB37_19:                              ;   in Loop: Header=BB37_5 Depth=1
	v_lshl_add_u64 v[6:7], v[0:1], 3, s[20:21]
	s_and_not1_b32 vcc_lo, exec_lo, s28
	s_cbranch_vccnz .LBB37_2
; %bb.20:                               ;   in Loop: Header=BB37_5 Depth=1
	flat_load_b64 v[8:9], v[6:7]
	v_mov_b64_e32 v[12:13], s[16:17]
	v_mov_b64_e32 v[14:15], s[14:15]
	;; [unrolled: 1-line block ×4, first 2 shown]
	s_delay_alu instid0(VALU_DEP_3) | instskip(NEXT) | instid1(VALU_DEP_1)
	v_pk_mul_f32 v[14:15], v[4:5], v[14:15] op_sel:[1,0]
	v_pk_fma_f32 v[22:23], v[4:5], v[18:19], v[14:15] op_sel_hi:[0,1,1]
	v_pk_fma_f32 v[4:5], v[4:5], v[18:19], v[14:15] neg_lo:[0,0,1] neg_hi:[0,0,1]
	s_delay_alu instid0(VALU_DEP_2) | instskip(SKIP_2) | instid1(VALU_DEP_1)
	v_mov_b32_e32 v5, v23
	s_wait_loadcnt_dscnt 0x0
	v_pk_mul_f32 v[12:13], v[8:9], v[12:13] op_sel:[1,0]
	v_pk_fma_f32 v[20:21], v[8:9], v[16:17], v[12:13] op_sel_hi:[0,1,1]
	v_pk_fma_f32 v[8:9], v[8:9], v[16:17], v[12:13] neg_lo:[0,0,1] neg_hi:[0,0,1]
	s_delay_alu instid0(VALU_DEP_2) | instskip(NEXT) | instid1(VALU_DEP_1)
	v_mov_b32_e32 v9, v21
	v_pk_add_f32 v[8:9], v[4:5], v[8:9]
	s_branch .LBB37_2
.LBB37_21:
	s_endpgm
	.section	.rodata,"a",@progbits
	.p2align	6, 0x0
	.amdhsa_kernel _ZL36rocblas_hemvn_kernel_upper_block_sumILi64El19rocblas_complex_numIfEPKPS1_S1_EviT1_lS5_lT2_lT0_lPT3_i
		.amdhsa_group_segment_fixed_size 0
		.amdhsa_private_segment_fixed_size 0
		.amdhsa_kernarg_size 344
		.amdhsa_user_sgpr_count 2
		.amdhsa_user_sgpr_dispatch_ptr 0
		.amdhsa_user_sgpr_queue_ptr 0
		.amdhsa_user_sgpr_kernarg_segment_ptr 1
		.amdhsa_user_sgpr_dispatch_id 0
		.amdhsa_user_sgpr_kernarg_preload_length 0
		.amdhsa_user_sgpr_kernarg_preload_offset 0
		.amdhsa_user_sgpr_private_segment_size 0
		.amdhsa_wavefront_size32 1
		.amdhsa_uses_dynamic_stack 0
		.amdhsa_enable_private_segment 0
		.amdhsa_system_sgpr_workgroup_id_x 1
		.amdhsa_system_sgpr_workgroup_id_y 0
		.amdhsa_system_sgpr_workgroup_id_z 1
		.amdhsa_system_sgpr_workgroup_info 0
		.amdhsa_system_vgpr_workitem_id 0
		.amdhsa_next_free_vgpr 24
		.amdhsa_next_free_sgpr 30
		.amdhsa_named_barrier_count 0
		.amdhsa_reserve_vcc 1
		.amdhsa_float_round_mode_32 0
		.amdhsa_float_round_mode_16_64 0
		.amdhsa_float_denorm_mode_32 3
		.amdhsa_float_denorm_mode_16_64 3
		.amdhsa_fp16_overflow 0
		.amdhsa_memory_ordered 1
		.amdhsa_forward_progress 1
		.amdhsa_inst_pref_size 7
		.amdhsa_round_robin_scheduling 0
		.amdhsa_exception_fp_ieee_invalid_op 0
		.amdhsa_exception_fp_denorm_src 0
		.amdhsa_exception_fp_ieee_div_zero 0
		.amdhsa_exception_fp_ieee_overflow 0
		.amdhsa_exception_fp_ieee_underflow 0
		.amdhsa_exception_fp_ieee_inexact 0
		.amdhsa_exception_int_div_zero 0
	.end_amdhsa_kernel
	.section	.text._ZL36rocblas_hemvn_kernel_upper_block_sumILi64El19rocblas_complex_numIfEPKPS1_S1_EviT1_lS5_lT2_lT0_lPT3_i,"axG",@progbits,_ZL36rocblas_hemvn_kernel_upper_block_sumILi64El19rocblas_complex_numIfEPKPS1_S1_EviT1_lS5_lT2_lT0_lPT3_i,comdat
.Lfunc_end37:
	.size	_ZL36rocblas_hemvn_kernel_upper_block_sumILi64El19rocblas_complex_numIfEPKPS1_S1_EviT1_lS5_lT2_lT0_lPT3_i, .Lfunc_end37-_ZL36rocblas_hemvn_kernel_upper_block_sumILi64El19rocblas_complex_numIfEPKPS1_S1_EviT1_lS5_lT2_lT0_lPT3_i
                                        ; -- End function
	.set _ZL36rocblas_hemvn_kernel_upper_block_sumILi64El19rocblas_complex_numIfEPKPS1_S1_EviT1_lS5_lT2_lT0_lPT3_i.num_vgpr, 24
	.set _ZL36rocblas_hemvn_kernel_upper_block_sumILi64El19rocblas_complex_numIfEPKPS1_S1_EviT1_lS5_lT2_lT0_lPT3_i.num_agpr, 0
	.set _ZL36rocblas_hemvn_kernel_upper_block_sumILi64El19rocblas_complex_numIfEPKPS1_S1_EviT1_lS5_lT2_lT0_lPT3_i.numbered_sgpr, 30
	.set _ZL36rocblas_hemvn_kernel_upper_block_sumILi64El19rocblas_complex_numIfEPKPS1_S1_EviT1_lS5_lT2_lT0_lPT3_i.num_named_barrier, 0
	.set _ZL36rocblas_hemvn_kernel_upper_block_sumILi64El19rocblas_complex_numIfEPKPS1_S1_EviT1_lS5_lT2_lT0_lPT3_i.private_seg_size, 0
	.set _ZL36rocblas_hemvn_kernel_upper_block_sumILi64El19rocblas_complex_numIfEPKPS1_S1_EviT1_lS5_lT2_lT0_lPT3_i.uses_vcc, 1
	.set _ZL36rocblas_hemvn_kernel_upper_block_sumILi64El19rocblas_complex_numIfEPKPS1_S1_EviT1_lS5_lT2_lT0_lPT3_i.uses_flat_scratch, 0
	.set _ZL36rocblas_hemvn_kernel_upper_block_sumILi64El19rocblas_complex_numIfEPKPS1_S1_EviT1_lS5_lT2_lT0_lPT3_i.has_dyn_sized_stack, 0
	.set _ZL36rocblas_hemvn_kernel_upper_block_sumILi64El19rocblas_complex_numIfEPKPS1_S1_EviT1_lS5_lT2_lT0_lPT3_i.has_recursion, 0
	.set _ZL36rocblas_hemvn_kernel_upper_block_sumILi64El19rocblas_complex_numIfEPKPS1_S1_EviT1_lS5_lT2_lT0_lPT3_i.has_indirect_call, 0
	.section	.AMDGPU.csdata,"",@progbits
; Kernel info:
; codeLenInByte = 884
; TotalNumSgprs: 32
; NumVgprs: 24
; ScratchSize: 0
; MemoryBound: 0
; FloatMode: 240
; IeeeMode: 1
; LDSByteSize: 0 bytes/workgroup (compile time only)
; SGPRBlocks: 0
; VGPRBlocks: 1
; NumSGPRsForWavesPerEU: 32
; NumVGPRsForWavesPerEU: 24
; NamedBarCnt: 0
; Occupancy: 16
; WaveLimiterHint : 1
; COMPUTE_PGM_RSRC2:SCRATCH_EN: 0
; COMPUTE_PGM_RSRC2:USER_SGPR: 2
; COMPUTE_PGM_RSRC2:TRAP_HANDLER: 0
; COMPUTE_PGM_RSRC2:TGID_X_EN: 1
; COMPUTE_PGM_RSRC2:TGID_Y_EN: 0
; COMPUTE_PGM_RSRC2:TGID_Z_EN: 1
; COMPUTE_PGM_RSRC2:TIDIG_COMP_CNT: 0
	.section	.text._ZL26rocblas_hemvn_kernel_upperILb1ELi64ELi4ELi33ELi32ELi16Ei19rocblas_complex_numIfEPKPKS1_PS1_EviT6_lT7_lT5_lS8_lS9_lS7_lT8_i,"axG",@progbits,_ZL26rocblas_hemvn_kernel_upperILb1ELi64ELi4ELi33ELi32ELi16Ei19rocblas_complex_numIfEPKPKS1_PS1_EviT6_lT7_lT5_lS8_lS9_lS7_lT8_i,comdat
	.globl	_ZL26rocblas_hemvn_kernel_upperILb1ELi64ELi4ELi33ELi32ELi16Ei19rocblas_complex_numIfEPKPKS1_PS1_EviT6_lT7_lT5_lS8_lS9_lS7_lT8_i ; -- Begin function _ZL26rocblas_hemvn_kernel_upperILb1ELi64ELi4ELi33ELi32ELi16Ei19rocblas_complex_numIfEPKPKS1_PS1_EviT6_lT7_lT5_lS8_lS9_lS7_lT8_i
	.p2align	8
	.type	_ZL26rocblas_hemvn_kernel_upperILb1ELi64ELi4ELi33ELi32ELi16Ei19rocblas_complex_numIfEPKPKS1_PS1_EviT6_lT7_lT5_lS8_lS9_lS7_lT8_i,@function
_ZL26rocblas_hemvn_kernel_upperILb1ELi64ELi4ELi33ELi32ELi16Ei19rocblas_complex_numIfEPKPKS1_PS1_EviT6_lT7_lT5_lS8_lS9_lS7_lT8_i: ; @_ZL26rocblas_hemvn_kernel_upperILb1ELi64ELi4ELi33ELi32ELi16Ei19rocblas_complex_numIfEPKPKS1_PS1_EviT6_lT7_lT5_lS8_lS9_lS7_lT8_i
; %bb.0:
	s_clause 0x1
	s_load_b64 s[2:3], s[0:1], 0x84
	s_load_b32 s33, s[0:1], 0x70
	s_bfe_u32 s4, ttmp6, 0x40014
	s_lshr_b32 s5, ttmp7, 16
	s_add_co_i32 s4, s4, 1
	s_bfe_u32 s6, ttmp6, 0x40008
	s_mul_i32 s7, s5, s4
	s_getreg_b32 s4, hwreg(HW_REG_IB_STS2, 6, 4)
	s_add_co_i32 s6, s6, s7
	s_mov_b32 s23, 0
	s_wait_kmcnt 0x0
	s_lshr_b32 s7, s2, 16
	s_and_b32 s2, s2, 0xffff
	s_and_b32 s3, s3, 0xffff
	s_mul_i32 s2, s7, s2
	s_cmp_eq_u32 s4, 0
	s_mul_i32 s2, s2, s3
	s_cselect_b32 s22, s5, s6
	s_cmp_lg_u32 s2, 0x100
	s_cselect_b32 s2, -1, 0
	s_cmp_ge_u32 s22, s33
	s_cselect_b32 s3, -1, 0
	s_delay_alu instid0(SALU_CYCLE_1) | instskip(NEXT) | instid1(SALU_CYCLE_1)
	s_or_b32 s2, s2, s3
	s_and_b32 vcc_lo, exec_lo, s2
	s_cbranch_vccnz .LBB38_165
; %bb.1:
	s_clause 0x5
	s_load_b32 s2, s[0:1], 0x0
	s_load_b32 s60, s[0:1], 0x28
	s_load_b64 s[6:7], s[0:1], 0x4
	s_load_b128 s[24:27], s[0:1], 0x18
	s_load_b64 s[8:9], s[0:1], 0x58
	s_load_b64 s[10:11], s[0:1], 0x68
	s_bfe_u32 s3, ttmp6, 0x4000c
	s_and_b32 s5, ttmp6, 15
	s_add_co_i32 s3, s3, 1
	s_clause 0x1
	s_load_b128 s[28:31], s[0:1], 0x38
	s_load_b32 s62, s[0:1], 0x48
	s_mul_i32 s3, ttmp9, s3
	v_and_b32_e32 v194, 0x3ff, v0
	s_add_co_i32 s12, s5, s3
	v_bfe_u32 v1, v0, 10, 10
	v_and_b32_e32 v56, 31, v0
	s_mov_b32 s37, s23
	v_lshlrev_b32_e32 v195, 3, v194
	v_mov_b64_e32 v[110:111], 0
	v_lshl_add_u32 v4, v1, 6, v194
	v_lshl_add_u32 v204, v1, 5, 0x2180
	s_wait_kmcnt 0x0
	s_ashr_i32 s3, s2, 31
	s_ashr_i32 s61, s60, 31
	s_cmp_eq_u32 s4, 0
	s_add_nc_u64 s[4:5], s[0:1], 0x78
	s_cselect_b32 s34, ttmp9, s12
	s_or_b32 s6, s6, s7
	s_load_b32 s36, s[4:5], 0x0
	s_bitset0_b32 s6, 31
	v_and_b32_e32 v9, 0x7fe0, v4
	s_cmp_eq_u32 s6, 0
	v_cmp_eq_u32_e64 s0, 0, v1
	s_cselect_b32 s72, -1, 0
	s_cmp_lg_u32 s6, 0
	v_mad_u32_u24 v205, 0x860, v1, v195
	s_cselect_b32 s68, -1, 0
	s_cmp_neq_f32 s8, 1.0
	v_mad_u32_u24 v209, 0x218, v1, v195
	s_mul_i32 s50, s60, 24
	v_cmp_gt_u32_e64 s14, 32, v4
	s_cselect_b32 s56, -1, 0
	s_cmp_neq_f32 s9, 0
	v_cmp_gt_u32_e64 s21, 64, v4
	s_mul_i32 s70, s60, 3
	v_add_nc_u32_e32 v200, 0x2380, v9
	s_cselect_b32 s57, -1, 0
	s_lshr_b32 s1, s3, 26
	s_lshl_b32 s66, s34, 6
	s_add_co_i32 s1, s2, s1
	s_wait_kmcnt 0x0
	s_add_co_i32 s4, s36, -1
	s_and_not1_b32 s1, s1, 63
	v_dual_lshrrev_b32 v3, 5, v4 :: v_dual_add_nc_u32 v58, s66, v194
	s_sub_co_i32 s73, s2, s1
	v_lshlrev_b32_e32 v196, 3, v56
	s_cmp_eq_u32 s34, s4
	s_delay_alu instid0(VALU_DEP_2)
	v_add_nc_u32_e32 v2, 8, v3
	s_cselect_b32 s38, s73, 0
	s_mul_u64 s[40:41], s[36:37], s[2:3]
	s_cmp_lg_u32 s38, 0
	v_lshl_or_b32 v8, v56, 8, v196
	v_lshlrev_b32_e32 v7, 2, v3
	s_cselect_b32 s74, -1, 0
	s_cmp_eq_u32 s38, 0
	v_lshlrev_b32_e32 v202, 2, v1
	s_cselect_b32 s1, -1, 0
	s_ashr_i32 s35, s34, 31
	v_dual_add_nc_u32 v198, v8, v9 :: v_dual_bitop2_b32 v8, 2, v7 bitop3:0x54
	s_mul_u64 s[2:3], s[2:3], s[34:35]
	v_cmp_le_u32_e64 s6, v7, v56
	s_lshl_b64 s[2:3], s[2:3], 3
	v_cmp_eq_u32_e64 s7, v7, v56
	s_add_nc_u64 s[42:43], s[10:11], s[2:3]
	v_cmp_ge_u32_e64 s8, v7, v56
	v_cmp_le_u32_e64 s10, v8, v56
	v_cmp_eq_u32_e64 s11, v8, v56
	v_lshlrev_b32_e32 v8, 3, v3
	v_or_b32_e32 v10, 1, v7
	v_or_b32_e32 v7, 3, v7
	s_sub_co_i32 s19, s38, 32
	v_cmp_gt_i32_e64 s3, s38, v2
	v_cmp_gt_i32_e64 s17, s19, v2
	v_mad_u32 v2, s60, v202, v194
	v_dual_add_nc_u32 v5, 16, v3 :: v_dual_add_nc_u32 v6, 24, v3
	v_mul_lo_u32 v60, s62, v58
	v_mad_u32 v62, s60, v3, v56
	v_cmp_le_u32_e64 s12, v7, v56
	s_delay_alu instid0(VALU_DEP_4)
	v_cmp_gt_i32_e64 s4, s38, v5
	v_cmp_eq_u32_e64 s13, v7, v56
	v_or_b32_e32 v7, 32, v56
	v_cmp_gt_i32_e64 s18, s19, v5
	v_lshrrev_b32_e32 v5, 4, v4
	v_cmp_gt_i32_e64 s2, s38, v3
	v_mul_u32_u24_e32 v197, 0x108, v3
	v_cmp_gt_i32_e64 s5, s38, v6
	v_mul_u32_u24_e32 v11, 0x420, v3
	v_cmp_gt_i32_e64 s15, s38, v7
	v_cmp_gt_i32_e64 s16, s19, v3
	;; [unrolled: 1-line block ×3, first 2 shown]
	v_cmp_eq_u32_e64 s20, 1, v3
	v_mul_i32_i24_e32 v203, 0xffffffe8, v3
	v_dual_ashrrev_i32 v3, 31, v2 :: v_dual_bitop2_b32 v6, 15, v0 bitop3:0x40
	v_dual_lshlrev_b32 v7, 5, v5 :: v_dual_bitop2_b32 v0, 48, v0 bitop3:0x40
	v_dual_ashrrev_i32 v59, 31, v58 :: v_dual_ashrrev_i32 v61, 31, v60
	v_dual_mov_b32 v65, 0 :: v_dual_ashrrev_i32 v63, 31, v62
	s_delay_alu instid0(VALU_DEP_3)
	v_mad_u32_u24 v206, 0x218, v6, v7
	v_mul_i32_i24_e32 v7, 0xffffffe8, v5
	v_lshlrev_b32_e32 v0, 3, v0
	v_cmp_gt_i32_e32 vcc_lo, s38, v194
	v_mov_b32_e32 v57, v65
	s_lshl_b32 s52, s60, 5
	v_add_nc_u32_e32 v211, v206, v7
	v_mad_u32_u24 v207, 0x218, v6, v0
	v_lshlrev_b64_e32 v[0:1], 3, v[62:63]
	s_or_b32 s58, s1, vcc_lo
	s_mul_i32 s44, s60, s66
	s_lshl_b32 s46, s60, 3
	s_lshl_b32 s48, s60, 4
	s_ashr_i32 s53, s52, 31
	s_mul_i32 s54, s62, s66
	s_add_co_i32 s63, s34, 1
	s_xor_b32 s35, s58, -1
	s_ashr_i32 s67, s66, 31
	s_ashr_i32 s45, s44, 31
	;; [unrolled: 1-line block ×7, first 2 shown]
	v_sub_nc_u64_e32 v[66:67], 0, v[0:1]
	v_add_nc_u64_e32 v[0:1], s[52:53], v[2:3]
	s_cmp_lt_u32 s63, s36
	v_lshlrev_b64_e32 v[4:5], 3, v[2:3]
	s_cselect_b32 s37, -1, 0
	s_lshl_b32 s64, s60, 1
	s_lshl_b32 s76, s62, 6
	s_ashr_i32 s65, s64, 31
	s_mul_i32 s62, s62, s63
	s_lshl_b64 s[86:87], s[64:65], 3
	s_lshl_b32 s78, s62, 6
	s_lshl_b64 s[62:63], s[52:53], 3
	v_lshlrev_b64_e32 v[0:1], 3, v[0:1]
	s_lshl_b64 s[80:81], s[60:61], 3
	s_add_nc_u64 s[88:89], s[62:63], s[86:87]
	s_add_nc_u64 s[64:65], s[80:81], s[62:63]
	v_add_nc_u64_e32 v[74:75], s[88:89], v[4:5]
	s_lshl_b64 s[88:89], s[48:49], 3
	s_ashr_i32 s71, s70, 31
	v_add_nc_u64_e32 v[72:73], s[64:65], v[4:5]
	s_add_nc_u64 s[92:93], s[62:63], s[88:89]
	s_add_nc_u64 s[64:65], s[64:65], s[88:89]
	v_mad_nc_i64_i32 v[98:99], s48, 24, v[0:1]
	s_lshl_b64 s[82:83], s[60:61], 4
	s_lshl_b64 s[70:71], s[70:71], 3
	v_add_nc_u64_e32 v[82:83], s[64:65], v[4:5]
	s_add_nc_u64 s[64:65], s[92:93], s[86:87]
	v_mul_u32_u24_e32 v12, 0x108, v10
	v_cmp_eq_u32_e64 s9, v10, v56
	v_mul_u32_u24_e32 v10, 33, v56
	s_add_nc_u64 s[84:85], s[82:83], s[62:63]
	s_add_nc_u64 s[90:91], s[62:63], s[70:71]
	v_add_nc_u64_e32 v[84:85], s[64:65], v[4:5]
	s_lshl_b64 s[64:65], s[48:49], 4
	v_add_nc_u64_e32 v[68:69], s[62:63], v[4:5]
	v_add_nc_u64_e32 v[76:77], s[90:91], v[4:5]
	s_add_nc_u64 s[90:91], s[84:85], s[88:89]
	s_add_nc_u64 s[88:89], s[92:93], s[70:71]
	;; [unrolled: 1-line block ×4, first 2 shown]
	v_add_nc_u64_e32 v[70:71], s[84:85], v[4:5]
	v_add_nc_u64_e32 v[86:87], s[88:89], v[4:5]
	;; [unrolled: 1-line block ×4, first 2 shown]
	s_add_nc_u64 s[64:65], s[62:63], s[80:81]
	s_add_nc_u64 s[84:85], s[62:63], s[86:87]
	;; [unrolled: 1-line block ×3, first 2 shown]
	s_mul_u64 s[88:89], s[48:49], 24
	v_lshlrev_b32_e32 v199, 3, v10
	v_or_b32_e32 v9, 0x78, v195
	v_add_nc_u64_e32 v[96:97], s[62:63], v[4:5]
	s_add_nc_u64 s[62:63], s[88:89], s[82:83]
	v_add_nc_u64_e32 v[78:79], s[92:93], v[4:5]
	v_add_nc_u64_e32 v[80:81], s[90:91], v[4:5]
	;; [unrolled: 1-line block ×5, first 2 shown]
	v_sub_nc_u64_e32 v[102:103], 0, v[56:57]
	v_add_nc_u64_e32 v[104:105], s[80:81], v[98:99]
	v_add_nc_u64_e32 v[106:107], s[86:87], v[98:99]
	v_add_nc_u64_e32 v[108:109], s[70:71], v[98:99]
	v_cmp_gt_i32_e64 s1, s38, v56
	v_add_nc_u32_e32 v201, v199, v8
	v_mad_u32_u24 v208, 0x218, v6, v9
	v_add_nc_u32_e32 v210, 0x2380, v8
	v_dual_add_nc_u32 v212, v196, v11 :: v_dual_add_nc_u32 v213, v196, v12
	v_add_nc_u32_e32 v214, 0x2380, v195
	v_mad_u32_u24 v215, 0x108, v56, v196
	v_dual_add_nc_u32 v216, 8, v198 :: v_dual_add_nc_u32 v217, 16, v198
	v_add_nc_u32_e32 v218, 24, v198
	v_add_nc_u32_e32 v219, 0x2180, v195
	v_dual_add_nc_u32 v223, 16, v202 :: v_dual_bitop2_b32 v220, 1, v202 bitop3:0x54
	v_dual_add_nc_u32 v224, 17, v202 :: v_dual_bitop2_b32 v221, 2, v202 bitop3:0x54
	v_dual_add_nc_u32 v225, 18, v202 :: v_dual_bitop2_b32 v222, 3, v202 bitop3:0x54
	v_dual_add_nc_u32 v226, 19, v202 :: v_dual_add_nc_u32 v227, 32, v202
	v_dual_add_nc_u32 v228, 33, v202 :: v_dual_add_nc_u32 v229, 34, v202
	;; [unrolled: 1-line block ×4, first 2 shown]
	v_add_nc_u32_e32 v234, 51, v202
	v_add_nc_u32_e32 v235, 64, v58
	s_or_b32 s69, s56, s57
	s_sub_nc_u64 s[54:55], 0, s[54:55]
	s_add_co_i32 s75, s36, -2
	s_and_b32 s77, s0, s58
	s_sub_nc_u64 s[56:57], 0, s[38:39]
	s_lshl_b64 s[58:59], s[60:61], 6
	s_lshl_b64 s[60:61], s[48:49], 5
	s_mov_b64 s[62:63], 0xffffffffffffff00
	s_mov_b64 s[64:65], 0xfffffffffffffef8
	s_or_b32 s79, s69, s68
	s_lshl_b64 s[30:31], s[30:31], 3
	s_lshl_b64 s[26:27], s[26:27], 3
	;; [unrolled: 1-line block ×3, first 2 shown]
	s_branch .LBB38_4
.LBB38_2:                               ;   in Loop: Header=BB38_4 Depth=1
	s_wait_xcnt 0x0
	s_or_b32 exec_lo, exec_lo, s70
.LBB38_3:                               ;   in Loop: Header=BB38_4 Depth=1
	s_add_co_i32 s22, s22, 0x10000
	s_delay_alu instid0(SALU_CYCLE_1)
	s_cmp_lt_u32 s22, s33
	s_cbranch_scc0 .LBB38_165
.LBB38_4:                               ; =>This Loop Header: Depth=1
                                        ;     Child Loop BB38_107 Depth 2
	s_and_not1_b32 vcc_lo, exec_lo, s79
	s_cbranch_vccnz .LBB38_3
; %bb.5:                                ;   in Loop: Header=BB38_4 Depth=1
	s_and_b32 vcc_lo, exec_lo, s72
	s_mov_b32 s68, -1
	s_cbranch_vccz .LBB38_7
; %bb.6:                                ;   in Loop: Header=BB38_4 Depth=1
	s_mov_b32 s68, 0
.LBB38_7:                               ;   in Loop: Header=BB38_4 Depth=1
	s_delay_alu instid0(SALU_CYCLE_1)
	s_and_not1_b32 vcc_lo, exec_lo, s68
	s_cbranch_vccnz .LBB38_3
; %bb.8:                                ;   in Loop: Header=BB38_4 Depth=1
	v_mov_b32_e32 v0, s22
	s_clause 0x1
	global_load_b64 v[2:3], v0, s[28:29] scale_offset
	global_load_b64 v[0:1], v0, s[24:25] scale_offset
	s_wait_loadcnt 0x1
	v_add_nc_u64_e32 v[2:3], s[30:31], v[2:3]
	s_delay_alu instid0(VALU_DEP_1)
	v_lshl_add_u64 v[12:13], v[60:61], 3, v[2:3]
	s_wait_xcnt 0x0
	s_and_saveexec_b32 s68, s0
	s_cbranch_execz .LBB38_13
; %bb.9:                                ;   in Loop: Header=BB38_4 Depth=1
	s_and_saveexec_b32 s69, s35
	s_delay_alu instid0(SALU_CYCLE_1)
	s_xor_b32 s69, exec_lo, s69
; %bb.10:                               ;   in Loop: Header=BB38_4 Depth=1
	ds_store_b64 v214, v[110:111]
; %bb.11:                               ;   in Loop: Header=BB38_4 Depth=1
	s_and_not1_saveexec_b32 s69, s69
	s_cbranch_execz .LBB38_13
; %bb.12:                               ;   in Loop: Header=BB38_4 Depth=1
	flat_load_b64 v[2:3], v[12:13]
	s_wait_loadcnt_dscnt 0x0
	ds_store_b64 v214, v[2:3]
.LBB38_13:                              ;   in Loop: Header=BB38_4 Depth=1
	s_wait_xcnt 0x0
	s_or_b32 exec_lo, exec_lo, s68
	s_wait_loadcnt 0x0
	v_add_nc_u64_e32 v[0:1], s[26:27], v[0:1]
	s_and_b32 vcc_lo, exec_lo, s74
	s_mov_b32 s68, -1
	s_delay_alu instid0(VALU_DEP_1) | instskip(NEXT) | instid1(VALU_DEP_1)
	v_add_nc_u64_e32 v[0:1], s[66:67], v[0:1]
	v_lshl_add_u64 v[0:1], v[62:63], 3, v[0:1]
	s_delay_alu instid0(VALU_DEP_1)
	v_lshl_add_u64 v[2:3], s[44:45], 3, v[0:1]
                                        ; implicit-def: $vgpr0_vgpr1
	s_cbranch_vccz .LBB38_23
; %bb.14:                               ;   in Loop: Header=BB38_4 Depth=1
	s_delay_alu instid0(VALU_DEP_1) | instskip(SKIP_2) | instid1(VALU_DEP_3)
	v_lshl_add_u64 v[0:1], v[102:103], 3, v[2:3]
	v_dual_mov_b32 v6, 0 :: v_dual_mov_b32 v4, 0
	v_mov_b32_e32 v5, 0
	v_lshl_add_u64 v[0:1], s[38:39], 3, v[0:1]
	s_delay_alu instid0(VALU_DEP_1) | instskip(NEXT) | instid1(VALU_DEP_1)
	v_add_nc_u64_e32 v[0:1], -8, v[0:1]
	v_dual_cndmask_b32 v1, v1, v3, s1 :: v_dual_cndmask_b32 v0, v0, v2, s1
	s_and_saveexec_b32 s68, s2
	s_cbranch_execz .LBB38_16
; %bb.15:                               ;   in Loop: Header=BB38_4 Depth=1
	flat_load_b64 v[4:5], v[0:1]
.LBB38_16:                              ;   in Loop: Header=BB38_4 Depth=1
	s_wait_xcnt 0x0
	s_or_b32 exec_lo, exec_lo, s68
	v_dual_mov_b32 v7, 0 :: v_dual_add_nc_u32 v10, v196, v197
	s_wait_loadcnt_dscnt 0x0
	ds_store_b64 v10, v[4:5]
	s_and_saveexec_b32 s68, s3
	s_cbranch_execz .LBB38_18
; %bb.17:                               ;   in Loop: Header=BB38_4 Depth=1
	v_lshl_add_u64 v[4:5], s[46:47], 3, v[0:1]
	flat_load_b64 v[6:7], v[4:5]
.LBB38_18:                              ;   in Loop: Header=BB38_4 Depth=1
	s_wait_xcnt 0x0
	s_or_b32 exec_lo, exec_lo, s68
	v_dual_mov_b32 v4, 0 :: v_dual_mov_b32 v8, 0
	v_mov_b32_e32 v9, 0
	s_wait_loadcnt_dscnt 0x0
	ds_store_b64 v10, v[6:7] offset:2112
	s_and_saveexec_b32 s68, s4
	s_cbranch_execz .LBB38_20
; %bb.19:                               ;   in Loop: Header=BB38_4 Depth=1
	v_lshl_add_u64 v[6:7], s[48:49], 3, v[0:1]
	flat_load_b64 v[8:9], v[6:7]
.LBB38_20:                              ;   in Loop: Header=BB38_4 Depth=1
	s_wait_xcnt 0x0
	s_or_b32 exec_lo, exec_lo, s68
	v_mov_b32_e32 v5, 0
	s_wait_loadcnt_dscnt 0x0
	ds_store_b64 v10, v[8:9] offset:4224
	s_and_saveexec_b32 s68, s5
	s_cbranch_execz .LBB38_22
; %bb.21:                               ;   in Loop: Header=BB38_4 Depth=1
	v_lshl_add_u64 v[4:5], s[50:51], 3, v[0:1]
	flat_load_b64 v[4:5], v[4:5]
.LBB38_22:                              ;   in Loop: Header=BB38_4 Depth=1
	s_wait_xcnt 0x0
	s_or_b32 exec_lo, exec_lo, s68
	v_lshlrev_b32_e32 v64, 3, v56
	s_mov_b32 s68, 0
	s_wait_loadcnt_dscnt 0x0
	ds_store_b64 v10, v[4:5] offset:6336
	v_add_nc_u64_e32 v[0:1], v[0:1], v[64:65]
	s_delay_alu instid0(VALU_DEP_1) | instskip(NEXT) | instid1(VALU_DEP_1)
	v_lshl_add_u64 v[0:1], s[56:57], 3, v[0:1]
	v_add_nc_u64_e32 v[0:1], 8, v[0:1]
	s_delay_alu instid0(VALU_DEP_1)
	v_dual_cndmask_b32 v1, v1, v3, s1 :: v_dual_cndmask_b32 v0, v0, v2, s1
.LBB38_23:                              ;   in Loop: Header=BB38_4 Depth=1
	v_add_nc_u32_e32 v16, v196, v197
	s_and_b32 vcc_lo, exec_lo, s68
	s_cbranch_vccz .LBB38_25
; %bb.24:                               ;   in Loop: Header=BB38_4 Depth=1
	v_lshl_add_u64 v[0:1], s[46:47], 3, v[2:3]
	s_delay_alu instid0(VALU_DEP_1) | instskip(NEXT) | instid1(VALU_DEP_1)
	v_add_nc_u64_e32 v[4:5], s[58:59], v[0:1]
	v_add_nc_u64_e32 v[6:7], s[58:59], v[4:5]
	s_clause 0x3
	flat_load_b64 v[8:9], v[2:3]
	flat_load_b64 v[10:11], v[0:1]
	;; [unrolled: 1-line block ×4, first 2 shown]
	s_wait_xcnt 0x2
	v_mov_b64_e32 v[0:1], v[2:3]
	s_wait_loadcnt_dscnt 0x303
	ds_store_b64 v16, v[8:9]
	s_wait_loadcnt_dscnt 0x203
	ds_store_b64 v16, v[10:11] offset:2112
	s_wait_loadcnt_dscnt 0x103
	ds_store_b64 v16, v[4:5] offset:4224
	;; [unrolled: 2-line block ×3, first 2 shown]
.LBB38_25:                              ;   in Loop: Header=BB38_4 Depth=1
	s_mov_b32 s68, 0
	s_wait_dscnt 0x0
	s_barrier_signal -1
	s_barrier_wait -1
	s_wait_xcnt 0x0
	s_and_saveexec_b32 s69, s6
	s_delay_alu instid0(SALU_CYCLE_1)
	s_xor_b32 s69, exec_lo, s69
; %bb.26:                               ;   in Loop: Header=BB38_4 Depth=1
	s_and_b32 s68, s7, exec_lo
; %bb.27:                               ;   in Loop: Header=BB38_4 Depth=1
	s_or_saveexec_b32 s69, s69
	v_dual_mov_b32 v2, 0 :: v_dual_mov_b32 v3, v215
	s_xor_b32 exec_lo, exec_lo, s69
	s_cbranch_execz .LBB38_29
; %bb.28:                               ;   in Loop: Header=BB38_4 Depth=1
	ds_load_b64 v[4:5], v212
	v_mov_b32_e32 v3, v198
	s_or_b32 s68, s68, exec_lo
	s_wait_dscnt 0x0
	v_xor_b32_e32 v2, 0x80000000, v5
	ds_store_b32 v198, v4
.LBB38_29:                              ;   in Loop: Header=BB38_4 Depth=1
	s_or_b32 exec_lo, exec_lo, s69
	s_and_saveexec_b32 s69, s68
; %bb.30:                               ;   in Loop: Header=BB38_4 Depth=1
	ds_store_b32 v3, v2 offset:4
; %bb.31:                               ;   in Loop: Header=BB38_4 Depth=1
	s_or_b32 exec_lo, exec_lo, s69
	s_mov_b32 s68, 0
                                        ; implicit-def: $vgpr2
	s_and_saveexec_b32 s69, s8
	s_delay_alu instid0(SALU_CYCLE_1)
	s_xor_b32 s69, exec_lo, s69
	s_cbranch_execnz .LBB38_161
; %bb.32:                               ;   in Loop: Header=BB38_4 Depth=1
	s_or_saveexec_b32 s69, s69
	v_mov_b32_e32 v3, v216
	s_xor_b32 exec_lo, exec_lo, s69
	s_cbranch_execnz .LBB38_162
.LBB38_33:                              ;   in Loop: Header=BB38_4 Depth=1
	s_or_b32 exec_lo, exec_lo, s69
	s_and_saveexec_b32 s69, s68
.LBB38_34:                              ;   in Loop: Header=BB38_4 Depth=1
	ds_store_b32 v3, v2 offset:4
.LBB38_35:                              ;   in Loop: Header=BB38_4 Depth=1
	s_or_b32 exec_lo, exec_lo, s69
	s_mov_b32 s68, 0
	s_and_saveexec_b32 s69, s10
	s_delay_alu instid0(SALU_CYCLE_1)
	s_xor_b32 s69, exec_lo, s69
; %bb.36:                               ;   in Loop: Header=BB38_4 Depth=1
	s_and_b32 s68, s11, exec_lo
; %bb.37:                               ;   in Loop: Header=BB38_4 Depth=1
	s_or_saveexec_b32 s69, s69
	v_dual_mov_b32 v2, 0 :: v_dual_mov_b32 v3, v215
	s_xor_b32 exec_lo, exec_lo, s69
	s_cbranch_execz .LBB38_39
; %bb.38:                               ;   in Loop: Header=BB38_4 Depth=1
	ds_load_b64 v[4:5], v213 offset:264
	v_mov_b32_e32 v3, v217
	s_or_b32 s68, s68, exec_lo
	s_wait_dscnt 0x0
	v_xor_b32_e32 v2, 0x80000000, v5
	ds_store_b32 v217, v4
.LBB38_39:                              ;   in Loop: Header=BB38_4 Depth=1
	s_or_b32 exec_lo, exec_lo, s69
	s_and_saveexec_b32 s69, s68
; %bb.40:                               ;   in Loop: Header=BB38_4 Depth=1
	ds_store_b32 v3, v2 offset:4
; %bb.41:                               ;   in Loop: Header=BB38_4 Depth=1
	s_or_b32 exec_lo, exec_lo, s69
	s_mov_b32 s68, 0
	s_and_saveexec_b32 s69, s12
	s_delay_alu instid0(SALU_CYCLE_1)
	s_xor_b32 s69, exec_lo, s69
; %bb.42:                               ;   in Loop: Header=BB38_4 Depth=1
	s_and_b32 s68, s13, exec_lo
; %bb.43:                               ;   in Loop: Header=BB38_4 Depth=1
	s_or_saveexec_b32 s69, s69
	v_dual_mov_b32 v2, 0 :: v_dual_mov_b32 v3, v215
	s_xor_b32 exec_lo, exec_lo, s69
	s_cbranch_execz .LBB38_45
; %bb.44:                               ;   in Loop: Header=BB38_4 Depth=1
	ds_load_b64 v[4:5], v213 offset:528
	v_mov_b32_e32 v3, v218
	s_or_b32 s68, s68, exec_lo
	s_wait_dscnt 0x0
	v_xor_b32_e32 v2, 0x80000000, v5
	ds_store_b32 v218, v4
.LBB38_45:                              ;   in Loop: Header=BB38_4 Depth=1
	s_or_b32 exec_lo, exec_lo, s69
	s_and_saveexec_b32 s69, s68
; %bb.46:                               ;   in Loop: Header=BB38_4 Depth=1
	ds_store_b32 v3, v2 offset:4
; %bb.47:                               ;   in Loop: Header=BB38_4 Depth=1
	s_or_b32 exec_lo, exec_lo, s69
	s_wait_dscnt 0x0
	s_barrier_signal -1
	s_barrier_wait -1
	ds_load_b64 v[10:11], v212
	ds_load_b128 v[2:5], v200
	ds_load_2addr_b64 v[6:9], v213 offset1:33
	ds_load_b128 v[18:21], v200 offset:16
	ds_load_b64 v[14:15], v213 offset:528
	v_mov_b64_e32 v[112:113], 0
	s_wait_dscnt 0x0
	s_barrier_signal -1
	s_barrier_wait -1
	v_pk_mul_f32 v[22:23], v[2:3], v[10:11] op_sel:[1,1] op_sel_hi:[0,1]
	v_dual_mov_b32 v24, v5 :: v_dual_mov_b32 v25, v4
	v_pk_mul_f32 v[26:27], v[18:19], v[8:9] op_sel:[1,1] op_sel_hi:[0,1]
	v_dual_mov_b32 v30, v21 :: v_dual_mov_b32 v31, v20
	s_delay_alu instid0(VALU_DEP_4) | instskip(NEXT) | instid1(VALU_DEP_4)
	v_pk_fma_f32 v[28:29], v[2:3], v[10:11], v[22:23] op_sel_hi:[1,0,1]
	v_pk_mul_f32 v[24:25], v[24:25], v[6:7] op_sel:[0,1]
	v_pk_fma_f32 v[2:3], v[2:3], v[10:11], v[22:23] neg_lo:[0,0,1] neg_hi:[0,0,1]
	v_pk_fma_f32 v[22:23], v[18:19], v[8:9], v[26:27] op_sel_hi:[1,0,1]
	s_delay_alu instid0(VALU_DEP_3)
	v_pk_fma_f32 v[10:11], v[4:5], v[6:7], v[24:25] op_sel_hi:[1,0,1]
	v_mov_b32_e32 v3, v29
	v_pk_fma_f32 v[4:5], v[4:5], v[6:7], v[24:25] neg_lo:[0,0,1] neg_hi:[0,0,1]
	v_pk_mul_f32 v[28:29], v[30:31], v[14:15] op_sel:[0,1]
	v_pk_fma_f32 v[6:7], v[18:19], v[8:9], v[26:27] neg_lo:[0,0,1] neg_hi:[0,0,1]
	v_mov_b32_e32 v5, v11
	v_pk_add_f32 v[2:3], v[2:3], 0 op_sel_hi:[1,0]
	s_delay_alu instid0(VALU_DEP_4) | instskip(SKIP_1) | instid1(VALU_DEP_3)
	v_pk_fma_f32 v[8:9], v[20:21], v[14:15], v[28:29] op_sel_hi:[1,0,1]
	v_mov_b32_e32 v7, v23
	v_pk_add_f32 v[2:3], v[2:3], v[4:5]
	v_pk_fma_f32 v[4:5], v[20:21], v[14:15], v[28:29] neg_lo:[0,0,1] neg_hi:[0,0,1]
	s_delay_alu instid0(VALU_DEP_4) | instskip(NEXT) | instid1(VALU_DEP_3)
	v_mov_b32_e32 v5, v9
	v_pk_add_f32 v[2:3], v[2:3], v[6:7]
	s_delay_alu instid0(VALU_DEP_1)
	v_pk_add_f32 v[2:3], v[2:3], v[4:5]
	ds_store_b64 v201, v[2:3]
	s_wait_dscnt 0x0
	s_barrier_signal -1
	s_barrier_wait -1
	s_and_saveexec_b32 s68, s14
	s_cbranch_execz .LBB38_49
; %bb.48:                               ;   in Loop: Header=BB38_4 Depth=1
	ds_load_2addr_b64 v[2:5], v199 offset1:7
	ds_load_2addr_b64 v[6:9], v199 offset0:1 offset1:2
	ds_load_2addr_b64 v[18:21], v199 offset0:3 offset1:4
	;; [unrolled: 1-line block ×3, first 2 shown]
	s_wait_dscnt 0x2
	v_dual_add_f32 v2, v6, v2 :: v_dual_add_f32 v3, v7, v3
	s_delay_alu instid0(VALU_DEP_1) | instskip(SKIP_1) | instid1(VALU_DEP_1)
	v_dual_add_f32 v2, v8, v2 :: v_dual_add_f32 v3, v9, v3
	s_wait_dscnt 0x1
	v_dual_add_f32 v2, v2, v18 :: v_dual_add_f32 v3, v3, v19
	s_delay_alu instid0(VALU_DEP_1) | instskip(SKIP_1) | instid1(VALU_DEP_1)
	v_dual_add_f32 v2, v2, v20 :: v_dual_add_f32 v3, v3, v21
	s_wait_dscnt 0x0
	v_dual_add_f32 v2, v2, v22 :: v_dual_add_f32 v3, v3, v23
	s_delay_alu instid0(VALU_DEP_1) | instskip(NEXT) | instid1(VALU_DEP_1)
	v_dual_add_f32 v2, v2, v24 :: v_dual_add_f32 v3, v3, v25
	v_pk_add_f32 v[112:113], v[2:3], v[4:5]
.LBB38_49:                              ;   in Loop: Header=BB38_4 Depth=1
	s_or_b32 exec_lo, exec_lo, s68
	v_lshl_add_u64 v[4:5], s[52:53], 3, v[0:1]
	s_and_b32 vcc_lo, exec_lo, s74
	s_mov_b32 s68, -1
	s_barrier_signal -1
	s_delay_alu instid0(VALU_DEP_1)
	v_add_nc_u64_e32 v[2:3], 0x100, v[4:5]
	s_barrier_wait -1
                                        ; implicit-def: $vgpr0_vgpr1
	s_cbranch_vccz .LBB38_59
; %bb.50:                               ;   in Loop: Header=BB38_4 Depth=1
	v_lshl_add_u64 v[0:1], v[102:103], 3, v[4:5]
	v_dual_mov_b32 v8, 0 :: v_dual_mov_b32 v6, 0
	v_mov_b32_e32 v7, 0
	s_delay_alu instid0(VALU_DEP_3) | instskip(NEXT) | instid1(VALU_DEP_1)
	v_lshl_add_u64 v[0:1], s[38:39], 3, v[0:1]
	v_add_nc_u64_e32 v[0:1], -8, v[0:1]
	s_delay_alu instid0(VALU_DEP_1)
	v_dual_cndmask_b32 v1, v1, v3, s15 :: v_dual_cndmask_b32 v0, v0, v2, s15
	s_and_saveexec_b32 s68, s16
	s_cbranch_execz .LBB38_52
; %bb.51:                               ;   in Loop: Header=BB38_4 Depth=1
	flat_load_b64 v[6:7], v[0:1]
.LBB38_52:                              ;   in Loop: Header=BB38_4 Depth=1
	s_wait_xcnt 0x0
	s_or_b32 exec_lo, exec_lo, s68
	v_mov_b32_e32 v9, 0
	s_wait_loadcnt_dscnt 0x0
	ds_store_b64 v16, v[6:7]
	s_and_saveexec_b32 s68, s17
	s_cbranch_execz .LBB38_54
; %bb.53:                               ;   in Loop: Header=BB38_4 Depth=1
	v_lshl_add_u64 v[6:7], s[46:47], 3, v[0:1]
	flat_load_b64 v[8:9], v[6:7]
.LBB38_54:                              ;   in Loop: Header=BB38_4 Depth=1
	s_wait_xcnt 0x0
	s_or_b32 exec_lo, exec_lo, s68
	v_dual_mov_b32 v6, 0 :: v_dual_mov_b32 v10, 0
	v_mov_b32_e32 v11, 0
	s_wait_loadcnt_dscnt 0x0
	ds_store_b64 v16, v[8:9] offset:2112
	s_and_saveexec_b32 s68, s18
	s_cbranch_execz .LBB38_56
; %bb.55:                               ;   in Loop: Header=BB38_4 Depth=1
	v_lshl_add_u64 v[8:9], s[48:49], 3, v[0:1]
	flat_load_b64 v[10:11], v[8:9]
.LBB38_56:                              ;   in Loop: Header=BB38_4 Depth=1
	s_wait_xcnt 0x0
	s_or_b32 exec_lo, exec_lo, s68
	v_mov_b32_e32 v7, 0
	s_wait_loadcnt_dscnt 0x0
	ds_store_b64 v16, v[10:11] offset:4224
	s_and_saveexec_b32 s68, s19
	s_cbranch_execz .LBB38_58
; %bb.57:                               ;   in Loop: Header=BB38_4 Depth=1
	v_lshl_add_u64 v[6:7], s[50:51], 3, v[0:1]
	flat_load_b64 v[6:7], v[6:7]
.LBB38_58:                              ;   in Loop: Header=BB38_4 Depth=1
	s_wait_xcnt 0x0
	s_or_b32 exec_lo, exec_lo, s68
	v_lshlrev_b32_e32 v64, 3, v56
	s_mov_b32 s68, 0
	s_wait_loadcnt_dscnt 0x0
	ds_store_b64 v16, v[6:7] offset:6336
	v_add_nc_u64_e32 v[0:1], v[0:1], v[64:65]
	s_delay_alu instid0(VALU_DEP_1) | instskip(NEXT) | instid1(VALU_DEP_1)
	v_lshl_add_u64 v[0:1], s[56:57], 3, v[0:1]
	v_add_nc_u64_e32 v[0:1], 0x108, v[0:1]
	s_delay_alu instid0(VALU_DEP_1)
	v_dual_cndmask_b32 v1, v1, v3, s15 :: v_dual_cndmask_b32 v0, v0, v2, s15
.LBB38_59:                              ;   in Loop: Header=BB38_4 Depth=1
	s_and_b32 vcc_lo, exec_lo, s68
	s_cbranch_vccz .LBB38_61
; %bb.60:                               ;   in Loop: Header=BB38_4 Depth=1
	v_lshl_add_u64 v[0:1], s[46:47], 3, v[4:5]
	s_delay_alu instid0(VALU_DEP_1) | instskip(NEXT) | instid1(VALU_DEP_1)
	v_add_nc_u64_e32 v[6:7], s[58:59], v[0:1]
	v_add_nc_u64_e32 v[8:9], s[58:59], v[6:7]
	s_clause 0x3
	flat_load_b64 v[4:5], v[4:5] offset:256
	flat_load_b64 v[10:11], v[0:1] offset:256
	;; [unrolled: 1-line block ×4, first 2 shown]
	s_wait_xcnt 0x2
	v_mov_b64_e32 v[0:1], v[2:3]
	s_wait_loadcnt_dscnt 0x303
	ds_store_b64 v16, v[4:5]
	s_wait_loadcnt_dscnt 0x203
	ds_store_b64 v16, v[10:11] offset:2112
	s_wait_loadcnt_dscnt 0x103
	ds_store_b64 v16, v[6:7] offset:4224
	;; [unrolled: 2-line block ×3, first 2 shown]
.LBB38_61:                              ;   in Loop: Header=BB38_4 Depth=1
	s_mov_b32 s68, 0
	s_wait_dscnt 0x0
	s_barrier_signal -1
	s_barrier_wait -1
	s_wait_xcnt 0x0
	s_and_saveexec_b32 s69, s6
	s_delay_alu instid0(SALU_CYCLE_1)
	s_xor_b32 s69, exec_lo, s69
; %bb.62:                               ;   in Loop: Header=BB38_4 Depth=1
	s_and_b32 s68, s7, exec_lo
; %bb.63:                               ;   in Loop: Header=BB38_4 Depth=1
	s_or_saveexec_b32 s69, s69
	v_dual_mov_b32 v2, 0 :: v_dual_mov_b32 v3, v215
	s_xor_b32 exec_lo, exec_lo, s69
	s_cbranch_execz .LBB38_65
; %bb.64:                               ;   in Loop: Header=BB38_4 Depth=1
	ds_load_b64 v[4:5], v212
	v_mov_b32_e32 v3, v198
	s_or_b32 s68, s68, exec_lo
	s_wait_dscnt 0x0
	v_xor_b32_e32 v2, 0x80000000, v5
	ds_store_b32 v198, v4
.LBB38_65:                              ;   in Loop: Header=BB38_4 Depth=1
	s_or_b32 exec_lo, exec_lo, s69
	s_and_saveexec_b32 s69, s68
; %bb.66:                               ;   in Loop: Header=BB38_4 Depth=1
	ds_store_b32 v3, v2 offset:4
; %bb.67:                               ;   in Loop: Header=BB38_4 Depth=1
	s_or_b32 exec_lo, exec_lo, s69
	s_mov_b32 s68, 0
                                        ; implicit-def: $vgpr2
	s_and_saveexec_b32 s69, s8
	s_delay_alu instid0(SALU_CYCLE_1)
	s_xor_b32 s69, exec_lo, s69
	s_cbranch_execnz .LBB38_163
; %bb.68:                               ;   in Loop: Header=BB38_4 Depth=1
	s_or_saveexec_b32 s69, s69
	v_mov_b32_e32 v3, v216
	s_xor_b32 exec_lo, exec_lo, s69
	s_cbranch_execnz .LBB38_164
.LBB38_69:                              ;   in Loop: Header=BB38_4 Depth=1
	s_or_b32 exec_lo, exec_lo, s69
	s_and_saveexec_b32 s69, s68
.LBB38_70:                              ;   in Loop: Header=BB38_4 Depth=1
	ds_store_b32 v3, v2 offset:4
.LBB38_71:                              ;   in Loop: Header=BB38_4 Depth=1
	s_or_b32 exec_lo, exec_lo, s69
	s_mov_b32 s68, 0
	s_and_saveexec_b32 s69, s10
	s_delay_alu instid0(SALU_CYCLE_1)
	s_xor_b32 s69, exec_lo, s69
; %bb.72:                               ;   in Loop: Header=BB38_4 Depth=1
	s_and_b32 s68, s11, exec_lo
; %bb.73:                               ;   in Loop: Header=BB38_4 Depth=1
	s_or_saveexec_b32 s69, s69
	v_dual_mov_b32 v2, 0 :: v_dual_mov_b32 v3, v215
	s_xor_b32 exec_lo, exec_lo, s69
	s_cbranch_execz .LBB38_75
; %bb.74:                               ;   in Loop: Header=BB38_4 Depth=1
	ds_load_b64 v[4:5], v213 offset:264
	v_mov_b32_e32 v3, v217
	s_or_b32 s68, s68, exec_lo
	s_wait_dscnt 0x0
	v_xor_b32_e32 v2, 0x80000000, v5
	ds_store_b32 v217, v4
.LBB38_75:                              ;   in Loop: Header=BB38_4 Depth=1
	s_or_b32 exec_lo, exec_lo, s69
	s_and_saveexec_b32 s69, s68
; %bb.76:                               ;   in Loop: Header=BB38_4 Depth=1
	ds_store_b32 v3, v2 offset:4
; %bb.77:                               ;   in Loop: Header=BB38_4 Depth=1
	s_or_b32 exec_lo, exec_lo, s69
	s_mov_b32 s68, 0
	s_and_saveexec_b32 s69, s12
	s_delay_alu instid0(SALU_CYCLE_1)
	s_xor_b32 s69, exec_lo, s69
; %bb.78:                               ;   in Loop: Header=BB38_4 Depth=1
	s_and_b32 s68, s13, exec_lo
; %bb.79:                               ;   in Loop: Header=BB38_4 Depth=1
	s_or_saveexec_b32 s69, s69
	v_dual_mov_b32 v2, 0 :: v_dual_mov_b32 v3, v215
	s_xor_b32 exec_lo, exec_lo, s69
	s_cbranch_execz .LBB38_81
; %bb.80:                               ;   in Loop: Header=BB38_4 Depth=1
	ds_load_b64 v[4:5], v213 offset:528
	v_mov_b32_e32 v3, v218
	s_or_b32 s68, s68, exec_lo
	s_wait_dscnt 0x0
	v_xor_b32_e32 v2, 0x80000000, v5
	ds_store_b32 v218, v4
.LBB38_81:                              ;   in Loop: Header=BB38_4 Depth=1
	s_or_b32 exec_lo, exec_lo, s69
	s_and_saveexec_b32 s69, s68
; %bb.82:                               ;   in Loop: Header=BB38_4 Depth=1
	ds_store_b32 v3, v2 offset:4
; %bb.83:                               ;   in Loop: Header=BB38_4 Depth=1
	s_or_b32 exec_lo, exec_lo, s69
	s_wait_dscnt 0x0
	s_barrier_signal -1
	s_barrier_wait -1
	ds_load_b64 v[10:11], v212
	ds_load_b128 v[2:5], v200 offset:256
	ds_load_2addr_b64 v[6:9], v213 offset1:33
	ds_load_b128 v[18:21], v200 offset:272
	ds_load_b64 v[14:15], v213 offset:528
	s_wait_dscnt 0x0
	s_barrier_signal -1
	s_barrier_wait -1
	v_pk_mul_f32 v[22:23], v[2:3], v[10:11] op_sel:[1,1] op_sel_hi:[0,1]
	v_dual_mov_b32 v24, v5 :: v_dual_mov_b32 v25, v4
	v_pk_mul_f32 v[26:27], v[18:19], v[8:9] op_sel:[1,1] op_sel_hi:[0,1]
	v_dual_mov_b32 v30, v21 :: v_dual_mov_b32 v31, v20
	s_delay_alu instid0(VALU_DEP_4) | instskip(NEXT) | instid1(VALU_DEP_4)
	v_pk_fma_f32 v[28:29], v[2:3], v[10:11], v[22:23] op_sel_hi:[1,0,1]
	v_pk_mul_f32 v[24:25], v[24:25], v[6:7] op_sel:[0,1]
	v_pk_fma_f32 v[2:3], v[2:3], v[10:11], v[22:23] neg_lo:[0,0,1] neg_hi:[0,0,1]
	v_pk_fma_f32 v[22:23], v[18:19], v[8:9], v[26:27] op_sel_hi:[1,0,1]
	s_delay_alu instid0(VALU_DEP_3)
	v_pk_fma_f32 v[10:11], v[4:5], v[6:7], v[24:25] op_sel_hi:[1,0,1]
	v_mov_b32_e32 v3, v29
	v_pk_fma_f32 v[4:5], v[4:5], v[6:7], v[24:25] neg_lo:[0,0,1] neg_hi:[0,0,1]
	v_pk_mul_f32 v[28:29], v[30:31], v[14:15] op_sel:[0,1]
	v_pk_fma_f32 v[6:7], v[18:19], v[8:9], v[26:27] neg_lo:[0,0,1] neg_hi:[0,0,1]
	v_mov_b32_e32 v5, v11
	v_pk_add_f32 v[2:3], v[2:3], 0 op_sel_hi:[1,0]
	s_delay_alu instid0(VALU_DEP_4) | instskip(SKIP_1) | instid1(VALU_DEP_3)
	v_pk_fma_f32 v[8:9], v[20:21], v[14:15], v[28:29] op_sel_hi:[1,0,1]
	v_mov_b32_e32 v7, v23
	v_pk_add_f32 v[2:3], v[2:3], v[4:5]
	v_pk_fma_f32 v[4:5], v[20:21], v[14:15], v[28:29] neg_lo:[0,0,1] neg_hi:[0,0,1]
	s_delay_alu instid0(VALU_DEP_4) | instskip(NEXT) | instid1(VALU_DEP_3)
	v_mov_b32_e32 v5, v9
	v_pk_add_f32 v[2:3], v[2:3], v[6:7]
	s_delay_alu instid0(VALU_DEP_1)
	v_pk_add_f32 v[2:3], v[2:3], v[4:5]
	ds_store_b64 v201, v[2:3]
	s_wait_dscnt 0x0
	s_barrier_signal -1
	s_barrier_wait -1
	s_and_saveexec_b32 s68, s20
	s_cbranch_execz .LBB38_85
; %bb.84:                               ;   in Loop: Header=BB38_4 Depth=1
	ds_load_2addr_b64 v[2:5], v199 offset1:7
	ds_load_2addr_b64 v[6:9], v199 offset0:1 offset1:2
	ds_load_2addr_b64 v[18:21], v199 offset0:3 offset1:4
	;; [unrolled: 1-line block ×3, first 2 shown]
	s_wait_dscnt 0x2
	v_dual_add_f32 v2, v6, v2 :: v_dual_add_f32 v3, v7, v3
	s_delay_alu instid0(VALU_DEP_1) | instskip(SKIP_1) | instid1(VALU_DEP_1)
	v_dual_add_f32 v2, v8, v2 :: v_dual_add_f32 v3, v9, v3
	s_wait_dscnt 0x1
	v_dual_add_f32 v2, v2, v18 :: v_dual_add_f32 v3, v3, v19
	s_delay_alu instid0(VALU_DEP_1) | instskip(SKIP_1) | instid1(VALU_DEP_1)
	v_dual_add_f32 v2, v2, v20 :: v_dual_add_f32 v3, v3, v21
	s_wait_dscnt 0x0
	v_dual_add_f32 v2, v2, v22 :: v_dual_add_f32 v3, v3, v23
	s_delay_alu instid0(VALU_DEP_1) | instskip(NEXT) | instid1(VALU_DEP_1)
	v_pk_add_f32 v[2:3], v[2:3], v[24:25]
	v_pk_add_f32 v[112:113], v[2:3], v[4:5]
.LBB38_85:                              ;   in Loop: Header=BB38_4 Depth=1
	s_or_b32 exec_lo, exec_lo, s68
	v_add_nc_u64_e32 v[2:3], s[62:63], v[0:1]
	s_and_b32 vcc_lo, exec_lo, s74
	s_mov_b32 s68, -1
	s_barrier_signal -1
	s_barrier_wait -1
                                        ; implicit-def: $vgpr14_vgpr15
	s_cbranch_vccz .LBB38_95
; %bb.86:                               ;   in Loop: Header=BB38_4 Depth=1
	v_lshl_add_u64 v[4:5], v[102:103], 3, v[0:1]
	v_dual_mov_b32 v8, 0 :: v_dual_mov_b32 v6, 0
	v_mov_b32_e32 v7, 0
	s_delay_alu instid0(VALU_DEP_3) | instskip(NEXT) | instid1(VALU_DEP_1)
	v_lshl_add_u64 v[4:5], s[38:39], 3, v[4:5]
	v_add_nc_u64_e32 v[4:5], s[64:65], v[4:5]
	s_delay_alu instid0(VALU_DEP_1)
	v_dual_cndmask_b32 v5, v5, v3, s1 :: v_dual_cndmask_b32 v4, v4, v2, s1
	s_and_saveexec_b32 s68, s16
	s_cbranch_execz .LBB38_88
; %bb.87:                               ;   in Loop: Header=BB38_4 Depth=1
	flat_load_b64 v[6:7], v[4:5]
.LBB38_88:                              ;   in Loop: Header=BB38_4 Depth=1
	s_wait_xcnt 0x0
	s_or_b32 exec_lo, exec_lo, s68
	v_mov_b32_e32 v9, 0
	s_wait_loadcnt_dscnt 0x0
	ds_store_b64 v16, v[6:7]
	s_and_saveexec_b32 s68, s17
	s_cbranch_execz .LBB38_90
; %bb.89:                               ;   in Loop: Header=BB38_4 Depth=1
	v_lshl_add_u64 v[6:7], s[46:47], 3, v[4:5]
	flat_load_b64 v[8:9], v[6:7]
.LBB38_90:                              ;   in Loop: Header=BB38_4 Depth=1
	s_wait_xcnt 0x0
	s_or_b32 exec_lo, exec_lo, s68
	v_dual_mov_b32 v6, 0 :: v_dual_mov_b32 v10, 0
	v_mov_b32_e32 v11, 0
	s_wait_loadcnt_dscnt 0x0
	ds_store_b64 v16, v[8:9] offset:2112
	s_and_saveexec_b32 s68, s18
	s_cbranch_execz .LBB38_92
; %bb.91:                               ;   in Loop: Header=BB38_4 Depth=1
	v_lshl_add_u64 v[8:9], s[48:49], 3, v[4:5]
	flat_load_b64 v[10:11], v[8:9]
.LBB38_92:                              ;   in Loop: Header=BB38_4 Depth=1
	s_wait_xcnt 0x0
	s_or_b32 exec_lo, exec_lo, s68
	v_mov_b32_e32 v7, 0
	s_wait_loadcnt_dscnt 0x0
	ds_store_b64 v16, v[10:11] offset:4224
	s_and_saveexec_b32 s68, s19
	s_cbranch_execz .LBB38_94
; %bb.93:                               ;   in Loop: Header=BB38_4 Depth=1
	v_lshl_add_u64 v[6:7], s[50:51], 3, v[4:5]
	flat_load_b64 v[6:7], v[6:7]
.LBB38_94:                              ;   in Loop: Header=BB38_4 Depth=1
	s_wait_xcnt 0x0
	s_or_b32 exec_lo, exec_lo, s68
	v_lshlrev_b32_e32 v64, 3, v56
	s_mov_b32 s68, 0
	s_wait_loadcnt_dscnt 0x0
	ds_store_b64 v16, v[6:7] offset:6336
	v_add_nc_u64_e32 v[4:5], v[4:5], v[64:65]
	s_delay_alu instid0(VALU_DEP_1) | instskip(NEXT) | instid1(VALU_DEP_1)
	v_lshl_add_u64 v[4:5], s[56:57], 3, v[4:5]
	v_add_nc_u64_e32 v[4:5], 8, v[4:5]
	s_delay_alu instid0(VALU_DEP_1)
	v_dual_cndmask_b32 v15, v5, v3, s1 :: v_dual_cndmask_b32 v14, v4, v2, s1
.LBB38_95:                              ;   in Loop: Header=BB38_4 Depth=1
	s_and_b32 vcc_lo, exec_lo, s68
	s_cbranch_vccz .LBB38_97
; %bb.96:                               ;   in Loop: Header=BB38_4 Depth=1
	v_lshl_add_u64 v[4:5], s[46:47], 3, v[0:1]
	v_mov_b64_e32 v[14:15], v[2:3]
	s_delay_alu instid0(VALU_DEP_2) | instskip(NEXT) | instid1(VALU_DEP_1)
	v_add_nc_u64_e32 v[6:7], s[58:59], v[4:5]
	v_add_nc_u64_e32 v[8:9], s[58:59], v[6:7]
	s_clause 0x3
	flat_load_b64 v[0:1], v[0:1] offset:-256
	flat_load_b64 v[4:5], v[4:5] offset:-256
	flat_load_b64 v[6:7], v[6:7] offset:-256
	flat_load_b64 v[8:9], v[8:9] offset:-256
	s_wait_loadcnt_dscnt 0x303
	ds_store_b64 v16, v[0:1]
	s_wait_loadcnt_dscnt 0x203
	ds_store_b64 v16, v[4:5] offset:2112
	s_wait_loadcnt_dscnt 0x103
	ds_store_b64 v16, v[6:7] offset:4224
	;; [unrolled: 2-line block ×3, first 2 shown]
.LBB38_97:                              ;   in Loop: Header=BB38_4 Depth=1
	s_wait_xcnt 0x3
	v_dual_add_nc_u32 v0, v198, v203 :: v_dual_add_nc_u32 v1, v200, v203
	s_wait_dscnt 0x0
	s_barrier_signal -1
	s_barrier_wait -1
	s_wait_xcnt 0x2
	ds_load_b64 v[4:5], v0
	s_wait_xcnt 0x1
	ds_load_b64 v[6:7], v1
	ds_load_2addr_b64 v[20:23], v201 offset0:8 offset1:16
	ds_load_2addr_b64 v[24:27], v210 offset0:8 offset1:16
	ds_load_b64 v[28:29], v201 offset:192
	ds_load_b64 v[30:31], v210 offset:192
	ds_load_2addr_b64 v[0:3], v213 offset1:33
	ds_load_b64 v[18:19], v212
	ds_load_b64 v[16:17], v213 offset:528
	s_wait_dscnt 0x7
	s_wait_xcnt 0x0
	v_pk_mul_f32 v[8:9], v[4:5], v[6:7] op_sel:[1,1] op_sel_hi:[1,0]
	s_wait_dscnt 0x5
	v_pk_mul_f32 v[10:11], v[20:21], v[24:25] op_sel:[1,1] op_sel_hi:[1,0]
	v_pk_mul_f32 v[34:35], v[22:23], v[26:27] op_sel:[1,1] op_sel_hi:[1,0]
	s_delay_alu instid0(VALU_DEP_3) | instskip(SKIP_1) | instid1(VALU_DEP_4)
	v_pk_fma_f32 v[32:33], v[4:5], v[6:7], v[8:9] op_sel_hi:[0,1,1] neg_lo:[0,0,1] neg_hi:[0,0,1]
	v_pk_fma_f32 v[4:5], v[4:5], v[6:7], v[8:9]
	v_pk_fma_f32 v[36:37], v[20:21], v[24:25], v[10:11] op_sel_hi:[0,1,1] neg_lo:[0,0,1] neg_hi:[0,0,1]
	v_pk_fma_f32 v[20:21], v[20:21], v[24:25], v[10:11]
	v_pk_fma_f32 v[24:25], v[22:23], v[26:27], v[34:35] op_sel_hi:[0,1,1] neg_lo:[0,0,1] neg_hi:[0,0,1]
	v_mov_b32_e32 v5, v33
	s_wait_dscnt 0x3
	v_pk_mul_f32 v[32:33], v[28:29], v[30:31] op_sel:[1,1] op_sel_hi:[1,0]
	v_mov_b32_e32 v21, v37
	v_pk_fma_f32 v[22:23], v[22:23], v[26:27], v[34:35]
	v_mov_b32_e32 v23, v25
	v_pk_add_f32 v[36:37], v[4:5], 0 op_sel_hi:[1,0]
	ds_load_b128 v[8:11], v200 offset:256
	ds_load_b128 v[4:7], v200 offset:272
	v_pk_fma_f32 v[24:25], v[28:29], v[30:31], v[32:33] op_sel_hi:[0,1,1] neg_lo:[0,0,1] neg_hi:[0,0,1]
	v_pk_fma_f32 v[26:27], v[28:29], v[30:31], v[32:33]
	s_wait_dscnt 0x0
	v_pk_add_f32 v[20:21], v[36:37], v[20:21]
	s_barrier_signal -1
	v_mov_b32_e32 v27, v25
	s_barrier_wait -1
	s_delay_alu instid0(VALU_DEP_2) | instskip(NEXT) | instid1(VALU_DEP_1)
	v_pk_add_f32 v[20:21], v[20:21], v[22:23]
	v_pk_add_f32 v[20:21], v[20:21], v[26:27]
	ds_store_b64 v201, v[20:21]
	s_wait_dscnt 0x0
	s_barrier_signal -1
	s_barrier_wait -1
	s_and_saveexec_b32 s68, s20
	s_cbranch_execz .LBB38_99
; %bb.98:                               ;   in Loop: Header=BB38_4 Depth=1
	ds_load_2addr_b64 v[20:23], v199 offset1:1
	ds_load_2addr_b64 v[24:27], v199 offset0:2 offset1:3
	ds_load_2addr_b64 v[28:31], v199 offset0:4 offset1:5
	s_wait_dscnt 0x2
	v_pk_add_f32 v[20:21], v[112:113], v[20:21]
	s_delay_alu instid0(VALU_DEP_1) | instskip(SKIP_1) | instid1(VALU_DEP_1)
	v_pk_add_f32 v[20:21], v[20:21], v[22:23]
	s_wait_dscnt 0x1
	v_pk_add_f32 v[24:25], v[20:21], v[24:25]
	ds_load_2addr_b64 v[20:23], v199 offset0:6 offset1:7
	v_pk_add_f32 v[24:25], v[24:25], v[26:27]
	s_wait_dscnt 0x1
	s_delay_alu instid0(VALU_DEP_1) | instskip(NEXT) | instid1(VALU_DEP_1)
	v_pk_add_f32 v[24:25], v[24:25], v[28:29]
	v_pk_add_f32 v[24:25], v[24:25], v[30:31]
	s_wait_dscnt 0x0
	s_delay_alu instid0(VALU_DEP_1) | instskip(NEXT) | instid1(VALU_DEP_1)
	v_pk_add_f32 v[20:21], v[24:25], v[20:21]
	v_pk_add_f32 v[112:113], v[20:21], v[22:23]
.LBB38_99:                              ;   in Loop: Header=BB38_4 Depth=1
	s_or_b32 exec_lo, exec_lo, s68
	v_pk_mul_f32 v[20:21], v[8:9], v[18:19] op_sel:[1,1] op_sel_hi:[0,1]
	v_dual_mov_b32 v22, v11 :: v_dual_mov_b32 v23, v10
	v_pk_mul_f32 v[24:25], v[4:5], v[2:3] op_sel:[1,1] op_sel_hi:[0,1]
	v_dual_mov_b32 v28, v7 :: v_dual_mov_b32 v29, v6
	s_delay_alu instid0(VALU_DEP_4) | instskip(NEXT) | instid1(VALU_DEP_4)
	v_pk_fma_f32 v[26:27], v[8:9], v[18:19], v[20:21] op_sel_hi:[1,0,1]
	v_pk_mul_f32 v[22:23], v[22:23], v[0:1] op_sel:[0,1]
	v_pk_fma_f32 v[8:9], v[8:9], v[18:19], v[20:21] neg_lo:[0,0,1] neg_hi:[0,0,1]
	v_pk_fma_f32 v[20:21], v[4:5], v[2:3], v[24:25] op_sel_hi:[1,0,1]
	v_pk_fma_f32 v[2:3], v[4:5], v[2:3], v[24:25] neg_lo:[0,0,1] neg_hi:[0,0,1]
	s_delay_alu instid0(VALU_DEP_4)
	v_pk_fma_f32 v[18:19], v[10:11], v[0:1], v[22:23] op_sel_hi:[1,0,1]
	v_mov_b32_e32 v9, v27
	v_pk_fma_f32 v[0:1], v[10:11], v[0:1], v[22:23] neg_lo:[0,0,1] neg_hi:[0,0,1]
	v_pk_mul_f32 v[26:27], v[28:29], v[16:17] op_sel:[0,1]
	s_barrier_signal -1
	v_mov_b32_e32 v1, v19
	v_pk_add_f32 v[8:9], v[8:9], 0 op_sel_hi:[1,0]
	s_barrier_wait -1
	v_pk_fma_f32 v[4:5], v[6:7], v[16:17], v[26:27] op_sel_hi:[1,0,1]
	v_mov_b32_e32 v3, v21
	v_pk_fma_f32 v[6:7], v[6:7], v[16:17], v[26:27] neg_lo:[0,0,1] neg_hi:[0,0,1]
	v_pk_add_f32 v[0:1], v[8:9], v[0:1]
	s_delay_alu instid0(VALU_DEP_4) | instskip(NEXT) | instid1(VALU_DEP_2)
	v_mov_b32_e32 v7, v5
	v_pk_add_f32 v[0:1], v[0:1], v[2:3]
	s_delay_alu instid0(VALU_DEP_1)
	v_pk_add_f32 v[0:1], v[0:1], v[6:7]
	ds_store_b64 v201, v[0:1]
	s_wait_dscnt 0x0
	s_barrier_signal -1
	s_barrier_wait -1
	s_and_saveexec_b32 s68, s14
	s_cbranch_execz .LBB38_101
; %bb.100:                              ;   in Loop: Header=BB38_4 Depth=1
	ds_load_2addr_b64 v[0:3], v199 offset1:1
	ds_load_2addr_b64 v[4:7], v199 offset0:2 offset1:3
	ds_load_2addr_b64 v[8:11], v199 offset0:4 offset1:5
	s_wait_dscnt 0x2
	v_pk_add_f32 v[0:1], v[112:113], v[0:1]
	s_delay_alu instid0(VALU_DEP_1) | instskip(SKIP_1) | instid1(VALU_DEP_1)
	v_pk_add_f32 v[0:1], v[0:1], v[2:3]
	s_wait_dscnt 0x1
	v_pk_add_f32 v[4:5], v[0:1], v[4:5]
	ds_load_2addr_b64 v[0:3], v199 offset0:6 offset1:7
	v_pk_add_f32 v[4:5], v[4:5], v[6:7]
	s_wait_dscnt 0x1
	s_delay_alu instid0(VALU_DEP_1) | instskip(NEXT) | instid1(VALU_DEP_1)
	v_pk_add_f32 v[4:5], v[4:5], v[8:9]
	v_pk_add_f32 v[4:5], v[4:5], v[10:11]
	s_wait_dscnt 0x0
	s_delay_alu instid0(VALU_DEP_1) | instskip(NEXT) | instid1(VALU_DEP_1)
	v_pk_add_f32 v[0:1], v[4:5], v[0:1]
	v_pk_add_f32 v[112:113], v[0:1], v[2:3]
.LBB38_101:                             ;   in Loop: Header=BB38_4 Depth=1
	s_or_b32 exec_lo, exec_lo, s68
	s_mul_u64 s[68:69], s[40:41], s[22:23]
	s_and_not1_b32 vcc_lo, exec_lo, s37
	s_lshl_b64 s[68:69], s[68:69], 3
	s_delay_alu instid0(SALU_CYCLE_1)
	s_add_nc_u64 s[68:69], s[42:43], s[68:69]
	s_barrier_signal -1
	s_barrier_wait -1
	s_cbranch_vccnz .LBB38_159
; %bb.102:                              ;   in Loop: Header=BB38_4 Depth=1
	v_add_nc_u64_e32 v[114:115], v[14:15], v[68:69]
	v_add_nc_u64_e32 v[116:117], v[14:15], v[70:71]
	;; [unrolled: 1-line block ×20, first 2 shown]
	v_lshl_add_u64 v[154:155], s[54:55], 3, v[12:13]
	v_mov_b32_e32 v57, v235
	s_mov_b32 s70, s78
	s_mov_b32 s80, s34
	s_delay_alu instid0(SALU_CYCLE_1)
	s_cmp_eq_u32 s75, s80
	s_cselect_b32 s81, s73, 0
	s_and_saveexec_b32 s82, s0
	s_cbranch_execz .LBB38_107
.LBB38_103:                             ;   in Loop: Header=BB38_4 Depth=1
	v_cmp_le_i32_e32 vcc_lo, s81, v194
	s_cmp_lg_u32 s81, 0
	s_cselect_b32 s71, -1, 0
	s_delay_alu instid0(SALU_CYCLE_1) | instskip(NEXT) | instid1(SALU_CYCLE_1)
	s_and_b32 s71, s71, vcc_lo
	s_and_saveexec_b32 s83, s71
	s_delay_alu instid0(SALU_CYCLE_1)
	s_xor_b32 s71, exec_lo, s83
; %bb.104:                              ;   in Loop: Header=BB38_4 Depth=1
	ds_store_b64 v219, v[110:111]
; %bb.105:                              ;   in Loop: Header=BB38_4 Depth=1
	s_and_not1_saveexec_b32 s71, s71
	s_cbranch_execz .LBB38_107
; %bb.106:                              ;   in Loop: Header=BB38_4 Depth=1
	s_ashr_i32 s71, s70, 31
	s_delay_alu instid0(SALU_CYCLE_1)
	v_lshl_add_u64 v[0:1], s[70:71], 3, v[154:155]
	flat_load_b64 v[0:1], v[0:1]
	s_wait_loadcnt_dscnt 0x0
	ds_store_b64 v219, v[0:1]
.LBB38_107:                             ;   Parent Loop BB38_4 Depth=1
                                        ; =>  This Inner Loop Header: Depth=2
	s_wait_xcnt 0x0
	s_or_b32 exec_lo, exec_lo, s82
	s_cmp_eq_u32 s81, 0
	v_add_nc_u64_e32 v[0:1], v[114:115], v[66:67]
	s_cselect_b32 s71, -1, 0
	s_cmp_lg_u32 s81, 0
	s_wait_dscnt 0x0
	s_cselect_b32 s82, -1, 0
	s_barrier_signal -1
	s_and_b32 vcc_lo, exec_lo, s82
	s_barrier_wait -1
	s_cbranch_vccz .LBB38_115
; %bb.108:                              ;   in Loop: Header=BB38_107 Depth=2
	v_mov_b64_e32 v[156:157], 0
	v_mov_b64_e32 v[158:159], 0
	s_mov_b32 s83, exec_lo
	v_cmpx_gt_i32_e64 s81, v202
	s_cbranch_execz .LBB38_110
; %bb.109:                              ;   in Loop: Header=BB38_107 Depth=2
	flat_load_b64 v[158:159], v[0:1]
.LBB38_110:                             ;   in Loop: Header=BB38_107 Depth=2
	s_wait_xcnt 0x0
	s_or_b32 exec_lo, exec_lo, s83
	s_delay_alu instid0(SALU_CYCLE_1)
	s_mov_b32 s83, exec_lo
	v_cmpx_gt_i32_e64 s81, v220
	s_cbranch_execz .LBB38_112
; %bb.111:                              ;   in Loop: Header=BB38_107 Depth=2
	v_add_nc_u64_e32 v[2:3], v[118:119], v[66:67]
	flat_load_b64 v[156:157], v[2:3]
.LBB38_112:                             ;   in Loop: Header=BB38_107 Depth=2
	s_wait_xcnt 0x0
	s_or_b32 exec_lo, exec_lo, s83
	v_mov_b64_e32 v[160:161], 0
	s_mov_b32 s83, exec_lo
	v_cmpx_gt_i32_e64 s81, v221
	s_cbranch_execz .LBB38_114
; %bb.113:                              ;   in Loop: Header=BB38_107 Depth=2
	v_add_nc_u64_e32 v[2:3], v[120:121], v[66:67]
	flat_load_b64 v[160:161], v[2:3]
.LBB38_114:                             ;   in Loop: Header=BB38_107 Depth=2
	s_wait_xcnt 0x0
	s_or_b32 exec_lo, exec_lo, s83
	v_cmp_gt_i32_e64 s83, s81, v222
	s_branch .LBB38_117
.LBB38_115:                             ;   in Loop: Header=BB38_107 Depth=2
	s_mov_b32 s83, 0
                                        ; implicit-def: $vgpr160_vgpr161
                                        ; implicit-def: $vgpr156_vgpr157
                                        ; implicit-def: $vgpr158_vgpr159
	s_cbranch_execz .LBB38_117
; %bb.116:                              ;   in Loop: Header=BB38_107 Depth=2
	v_add_nc_u64_e32 v[2:3], v[118:119], v[66:67]
	v_add_nc_u64_e32 v[4:5], v[116:117], v[66:67]
	s_or_b32 s83, s83, exec_lo
	s_wait_loadcnt_dscnt 0x0
	flat_load_b64 v[158:159], v[0:1]
	flat_load_b64 v[156:157], v[2:3]
	;; [unrolled: 1-line block ×3, first 2 shown]
.LBB38_117:                             ;   in Loop: Header=BB38_107 Depth=2
	v_dual_mov_b32 v162, 0 :: v_dual_mov_b32 v164, 0
	s_wait_xcnt 0x0
	s_delay_alu instid0(VALU_DEP_2)
	s_and_saveexec_b32 s84, s83
	s_cbranch_execz .LBB38_119
; %bb.118:                              ;   in Loop: Header=BB38_107 Depth=2
	v_add_nc_u64_e32 v[0:1], v[122:123], v[66:67]
	flat_load_b64 v[162:163], v[0:1]
	s_wait_loadcnt_dscnt 0x0
	v_mov_b32_e32 v164, v163
.LBB38_119:                             ;   in Loop: Header=BB38_107 Depth=2
	s_wait_xcnt 0x0
	s_or_b32 exec_lo, exec_lo, s84
	ds_load_b64 v[4:5], v214
	ds_load_b128 v[0:3], v204
	v_cndmask_b32_e64 v40, 0, 1, s82
	s_and_not1_b32 vcc_lo, exec_lo, s82
	s_wait_loadcnt_dscnt 0x1
	v_pk_mul_f32 v[6:7], v[158:159], v[4:5] op_sel:[1,0]
	v_pk_mul_f32 v[8:9], v[156:157], v[4:5] op_sel:[1,0]
	;; [unrolled: 1-line block ×3, first 2 shown]
	v_pk_mul_f32 v[12:13], v[164:165], v[4:5] op_sel_hi:[0,1]
	s_delay_alu instid0(VALU_DEP_4)
	v_pk_fma_f32 v[14:15], v[158:159], v[4:5], v[6:7] op_sel:[0,0,1] op_sel_hi:[1,1,0]
	v_pk_fma_f32 v[6:7], v[158:159], v[4:5], v[6:7] op_sel:[0,0,1] op_sel_hi:[0,1,0] neg_lo:[0,0,1] neg_hi:[0,0,1]
	v_pk_fma_f32 v[16:17], v[156:157], v[4:5], v[8:9] op_sel:[0,0,1] op_sel_hi:[1,1,0]
	v_pk_fma_f32 v[8:9], v[156:157], v[4:5], v[8:9] op_sel:[0,0,1] op_sel_hi:[0,1,0] neg_lo:[0,0,1] neg_hi:[0,0,1]
	;; [unrolled: 2-line block ×3, first 2 shown]
	v_pk_fma_f32 v[20:21], v[162:163], v[4:5], v[12:13] op_sel:[0,0,1] op_sel_hi:[0,1,0] neg_lo:[0,0,1] neg_hi:[0,0,1]
	v_pk_fma_f32 v[12:13], v[162:163], v[4:5], v[12:13] op_sel:[0,0,1] op_sel_hi:[1,1,0]
	v_dual_mov_b32 v15, v7 :: v_dual_mov_b32 v17, v9
	s_delay_alu instid0(VALU_DEP_3)
	v_dual_mov_b32 v19, v11 :: v_dual_mov_b32 v13, v21
	ds_load_b128 v[4:7], v204 offset:16
	ds_store_2addr_b64 v205, v[14:15], v[16:17] offset1:67
	ds_store_2addr_b64 v205, v[18:19], v[12:13] offset0:134 offset1:201
	s_wait_dscnt 0x0
	s_barrier_signal -1
	s_barrier_wait -1
	ds_load_2addr_b64 v[20:23], v206 offset1:1
	ds_load_2addr_b64 v[16:19], v206 offset0:2 offset1:3
	v_add_nc_u64_e32 v[8:9], v[124:125], v[66:67]
	s_wait_dscnt 0x0
	s_barrier_signal -1
	s_barrier_wait -1
	s_cbranch_vccnz .LBB38_127
; %bb.120:                              ;   in Loop: Header=BB38_107 Depth=2
	v_mov_b64_e32 v[166:167], 0
	v_mov_b64_e32 v[168:169], 0
	s_mov_b32 s82, exec_lo
	v_cmpx_gt_i32_e64 s81, v223
	s_cbranch_execz .LBB38_122
; %bb.121:                              ;   in Loop: Header=BB38_107 Depth=2
	flat_load_b64 v[168:169], v[8:9]
.LBB38_122:                             ;   in Loop: Header=BB38_107 Depth=2
	s_wait_xcnt 0x0
	s_or_b32 exec_lo, exec_lo, s82
	s_delay_alu instid0(SALU_CYCLE_1)
	s_mov_b32 s82, exec_lo
	v_cmpx_gt_i32_e64 s81, v224
	s_cbranch_execz .LBB38_124
; %bb.123:                              ;   in Loop: Header=BB38_107 Depth=2
	v_add_nc_u64_e32 v[10:11], v[128:129], v[66:67]
	flat_load_b64 v[166:167], v[10:11]
.LBB38_124:                             ;   in Loop: Header=BB38_107 Depth=2
	s_wait_xcnt 0x0
	s_or_b32 exec_lo, exec_lo, s82
	v_mov_b64_e32 v[170:171], 0
	s_mov_b32 s82, exec_lo
	v_cmpx_gt_i32_e64 s81, v225
	s_cbranch_execz .LBB38_126
; %bb.125:                              ;   in Loop: Header=BB38_107 Depth=2
	v_add_nc_u64_e32 v[10:11], v[130:131], v[66:67]
	flat_load_b64 v[170:171], v[10:11]
.LBB38_126:                             ;   in Loop: Header=BB38_107 Depth=2
	s_wait_xcnt 0x0
	s_or_b32 exec_lo, exec_lo, s82
	v_cmp_gt_i32_e64 s82, s81, v226
	s_branch .LBB38_129
.LBB38_127:                             ;   in Loop: Header=BB38_107 Depth=2
	s_mov_b32 s82, 0
                                        ; implicit-def: $vgpr170_vgpr171
                                        ; implicit-def: $vgpr166_vgpr167
                                        ; implicit-def: $vgpr168_vgpr169
	s_cbranch_execz .LBB38_129
; %bb.128:                              ;   in Loop: Header=BB38_107 Depth=2
	v_add_nc_u64_e32 v[10:11], v[128:129], v[66:67]
	v_add_nc_u64_e32 v[12:13], v[126:127], v[66:67]
	s_or_b32 s82, s82, exec_lo
	s_wait_loadcnt_dscnt 0x0
	flat_load_b64 v[168:169], v[8:9]
	flat_load_b64 v[166:167], v[10:11]
	flat_load_b64 v[170:171], v[12:13]
.LBB38_129:                             ;   in Loop: Header=BB38_107 Depth=2
	v_dual_mov_b32 v172, 0 :: v_dual_mov_b32 v64, 0
	s_wait_xcnt 0x0
	s_delay_alu instid0(VALU_DEP_2)
	s_and_saveexec_b32 s83, s82
	s_cbranch_execz .LBB38_131
; %bb.130:                              ;   in Loop: Header=BB38_107 Depth=2
	v_add_nc_u64_e32 v[8:9], v[132:133], v[66:67]
	flat_load_b64 v[172:173], v[8:9]
	s_wait_loadcnt_dscnt 0x0
	v_mov_b32_e32 v64, v173
.LBB38_131:                             ;   in Loop: Header=BB38_107 Depth=2
	s_wait_xcnt 0x0
	s_or_b32 exec_lo, exec_lo, s83
	ds_load_b64 v[8:9], v214
	v_cmp_ne_u32_e32 vcc_lo, 1, v40
	s_and_b32 vcc_lo, exec_lo, vcc_lo
	s_wait_loadcnt_dscnt 0x0
	v_pk_mul_f32 v[10:11], v[168:169], v[8:9] op_sel:[1,1] op_sel_hi:[1,0]
	v_pk_mul_f32 v[12:13], v[166:167], v[8:9] op_sel:[1,1] op_sel_hi:[1,0]
	;; [unrolled: 1-line block ×4, first 2 shown]
	s_delay_alu instid0(VALU_DEP_4)
	v_pk_fma_f32 v[26:27], v[168:169], v[8:9], v[10:11]
	v_pk_fma_f32 v[10:11], v[168:169], v[8:9], v[10:11] op_sel_hi:[0,1,1] neg_lo:[0,0,1] neg_hi:[0,0,1]
	v_pk_fma_f32 v[28:29], v[166:167], v[8:9], v[12:13]
	v_pk_fma_f32 v[12:13], v[166:167], v[8:9], v[12:13] op_sel_hi:[0,1,1] neg_lo:[0,0,1] neg_hi:[0,0,1]
	;; [unrolled: 2-line block ×3, first 2 shown]
	v_pk_fma_f32 v[32:33], v[172:173], v[8:9], v[24:25] op_sel_hi:[0,1,1] neg_lo:[0,0,1] neg_hi:[0,0,1]
	v_pk_fma_f32 v[24:25], v[172:173], v[8:9], v[24:25]
	v_dual_mov_b32 v27, v11 :: v_dual_mov_b32 v29, v13
	s_delay_alu instid0(VALU_DEP_3)
	v_dual_mov_b32 v31, v15 :: v_dual_mov_b32 v25, v33
	ds_load_b128 v[12:15], v204 offset:128
	ds_load_b128 v[8:11], v204 offset:144
	ds_store_2addr_b64 v205, v[26:27], v[28:29] offset1:67
	ds_store_2addr_b64 v205, v[30:31], v[24:25] offset0:134 offset1:201
	s_wait_dscnt 0x0
	s_barrier_signal -1
	s_barrier_wait -1
	ds_load_2addr_b64 v[36:39], v206 offset1:1
	ds_load_2addr_b64 v[32:35], v206 offset0:2 offset1:3
	v_add_nc_u64_e32 v[24:25], v[134:135], v[66:67]
	s_wait_dscnt 0x0
	s_barrier_signal -1
	s_barrier_wait -1
	s_cbranch_vccnz .LBB38_139
; %bb.132:                              ;   in Loop: Header=BB38_107 Depth=2
	v_mov_b64_e32 v[174:175], 0
	v_mov_b64_e32 v[176:177], 0
	s_mov_b32 s82, exec_lo
	v_cmpx_gt_i32_e64 s81, v227
	s_cbranch_execz .LBB38_134
; %bb.133:                              ;   in Loop: Header=BB38_107 Depth=2
	flat_load_b64 v[176:177], v[24:25]
.LBB38_134:                             ;   in Loop: Header=BB38_107 Depth=2
	s_wait_xcnt 0x0
	s_or_b32 exec_lo, exec_lo, s82
	s_delay_alu instid0(SALU_CYCLE_1)
	s_mov_b32 s82, exec_lo
	v_cmpx_gt_i32_e64 s81, v228
	s_cbranch_execz .LBB38_136
; %bb.135:                              ;   in Loop: Header=BB38_107 Depth=2
	v_add_nc_u64_e32 v[26:27], v[138:139], v[66:67]
	flat_load_b64 v[174:175], v[26:27]
.LBB38_136:                             ;   in Loop: Header=BB38_107 Depth=2
	s_wait_xcnt 0x0
	s_or_b32 exec_lo, exec_lo, s82
	v_mov_b64_e32 v[178:179], 0
	s_mov_b32 s82, exec_lo
	v_cmpx_gt_i32_e64 s81, v229
	s_cbranch_execz .LBB38_138
; %bb.137:                              ;   in Loop: Header=BB38_107 Depth=2
	v_add_nc_u64_e32 v[26:27], v[140:141], v[66:67]
	flat_load_b64 v[178:179], v[26:27]
.LBB38_138:                             ;   in Loop: Header=BB38_107 Depth=2
	s_wait_xcnt 0x0
	s_or_b32 exec_lo, exec_lo, s82
	v_cmp_gt_i32_e64 s82, s81, v230
	s_branch .LBB38_141
.LBB38_139:                             ;   in Loop: Header=BB38_107 Depth=2
	s_mov_b32 s82, 0
                                        ; implicit-def: $vgpr178_vgpr179
                                        ; implicit-def: $vgpr174_vgpr175
                                        ; implicit-def: $vgpr176_vgpr177
	s_cbranch_execz .LBB38_141
; %bb.140:                              ;   in Loop: Header=BB38_107 Depth=2
	v_add_nc_u64_e32 v[26:27], v[138:139], v[66:67]
	v_add_nc_u64_e32 v[28:29], v[136:137], v[66:67]
	s_or_b32 s82, s82, exec_lo
	s_wait_loadcnt_dscnt 0x0
	flat_load_b64 v[176:177], v[24:25]
	flat_load_b64 v[174:175], v[26:27]
	;; [unrolled: 1-line block ×3, first 2 shown]
.LBB38_141:                             ;   in Loop: Header=BB38_107 Depth=2
	v_dual_mov_b32 v180, 0 :: v_dual_mov_b32 v182, 0
	s_wait_xcnt 0x0
	s_delay_alu instid0(VALU_DEP_2)
	s_and_saveexec_b32 s83, s82
	s_cbranch_execz .LBB38_143
; %bb.142:                              ;   in Loop: Header=BB38_107 Depth=2
	v_add_nc_u64_e32 v[24:25], v[142:143], v[66:67]
	flat_load_b64 v[180:181], v[24:25]
	s_wait_loadcnt_dscnt 0x0
	v_mov_b32_e32 v182, v181
.LBB38_143:                             ;   in Loop: Header=BB38_107 Depth=2
	s_wait_xcnt 0x0
	s_or_b32 exec_lo, exec_lo, s83
	ds_load_b64 v[24:25], v214
	ds_load_b128 v[28:31], v204 offset:256
	v_cmp_ne_u32_e32 vcc_lo, 1, v40
	v_add_nc_u64_e32 v[40:41], v[144:145], v[66:67]
	s_and_b32 vcc_lo, exec_lo, vcc_lo
	s_wait_loadcnt_dscnt 0x1
	v_pk_mul_f32 v[26:27], v[176:177], v[24:25] op_sel:[1,0]
	v_pk_mul_f32 v[42:43], v[174:175], v[24:25] op_sel:[1,0]
	;; [unrolled: 1-line block ×3, first 2 shown]
	v_pk_mul_f32 v[46:47], v[182:183], v[24:25] op_sel_hi:[0,1]
	s_delay_alu instid0(VALU_DEP_4)
	v_pk_fma_f32 v[48:49], v[176:177], v[24:25], v[26:27] op_sel:[0,0,1] op_sel_hi:[1,1,0]
	v_pk_fma_f32 v[26:27], v[176:177], v[24:25], v[26:27] op_sel:[0,0,1] op_sel_hi:[0,1,0] neg_lo:[0,0,1] neg_hi:[0,0,1]
	v_pk_fma_f32 v[50:51], v[174:175], v[24:25], v[42:43] op_sel:[0,0,1] op_sel_hi:[1,1,0]
	v_pk_fma_f32 v[42:43], v[174:175], v[24:25], v[42:43] op_sel:[0,0,1] op_sel_hi:[0,1,0] neg_lo:[0,0,1] neg_hi:[0,0,1]
	;; [unrolled: 2-line block ×3, first 2 shown]
	v_pk_fma_f32 v[54:55], v[180:181], v[24:25], v[46:47] op_sel:[0,0,1] op_sel_hi:[0,1,0] neg_lo:[0,0,1] neg_hi:[0,0,1]
	v_pk_fma_f32 v[46:47], v[180:181], v[24:25], v[46:47] op_sel:[0,0,1] op_sel_hi:[1,1,0]
	v_dual_mov_b32 v49, v27 :: v_dual_mov_b32 v51, v43
	s_delay_alu instid0(VALU_DEP_3)
	v_dual_mov_b32 v53, v45 :: v_dual_mov_b32 v47, v55
	ds_load_b128 v[24:27], v204 offset:272
	ds_store_2addr_b64 v205, v[48:49], v[50:51] offset1:67
	ds_store_2addr_b64 v205, v[52:53], v[46:47] offset0:134 offset1:201
	s_wait_dscnt 0x0
	s_barrier_signal -1
	s_barrier_wait -1
	ds_load_2addr_b64 v[52:55], v206 offset1:1
	ds_load_2addr_b64 v[48:51], v206 offset0:2 offset1:3
	s_wait_dscnt 0x0
	s_barrier_signal -1
	s_barrier_wait -1
	s_cbranch_vccnz .LBB38_151
; %bb.144:                              ;   in Loop: Header=BB38_107 Depth=2
	v_mov_b64_e32 v[184:185], 0
	v_mov_b64_e32 v[186:187], 0
	s_mov_b32 s82, exec_lo
	v_cmpx_gt_i32_e64 s81, v231
	s_cbranch_execz .LBB38_146
; %bb.145:                              ;   in Loop: Header=BB38_107 Depth=2
	flat_load_b64 v[186:187], v[40:41]
.LBB38_146:                             ;   in Loop: Header=BB38_107 Depth=2
	s_wait_xcnt 0x0
	s_or_b32 exec_lo, exec_lo, s82
	s_delay_alu instid0(SALU_CYCLE_1)
	s_mov_b32 s82, exec_lo
	v_cmpx_gt_i32_e64 s81, v232
	s_cbranch_execz .LBB38_148
; %bb.147:                              ;   in Loop: Header=BB38_107 Depth=2
	v_add_nc_u64_e32 v[42:43], v[148:149], v[66:67]
	flat_load_b64 v[184:185], v[42:43]
.LBB38_148:                             ;   in Loop: Header=BB38_107 Depth=2
	s_wait_xcnt 0x0
	s_or_b32 exec_lo, exec_lo, s82
	v_mov_b64_e32 v[188:189], 0
	s_mov_b32 s82, exec_lo
	v_cmpx_gt_i32_e64 s81, v233
	s_cbranch_execz .LBB38_150
; %bb.149:                              ;   in Loop: Header=BB38_107 Depth=2
	v_add_nc_u64_e32 v[42:43], v[150:151], v[66:67]
	flat_load_b64 v[188:189], v[42:43]
.LBB38_150:                             ;   in Loop: Header=BB38_107 Depth=2
	s_wait_xcnt 0x0
	s_or_b32 exec_lo, exec_lo, s82
	v_cmp_gt_i32_e64 s82, s81, v234
	s_branch .LBB38_153
.LBB38_151:                             ;   in Loop: Header=BB38_107 Depth=2
	s_mov_b32 s82, 0
                                        ; implicit-def: $vgpr188_vgpr189
                                        ; implicit-def: $vgpr184_vgpr185
                                        ; implicit-def: $vgpr186_vgpr187
	s_cbranch_execz .LBB38_153
; %bb.152:                              ;   in Loop: Header=BB38_107 Depth=2
	v_add_nc_u64_e32 v[42:43], v[148:149], v[66:67]
	v_add_nc_u64_e32 v[44:45], v[146:147], v[66:67]
	s_or_b32 s82, s82, exec_lo
	s_wait_loadcnt_dscnt 0x0
	flat_load_b64 v[186:187], v[40:41]
	flat_load_b64 v[184:185], v[42:43]
	;; [unrolled: 1-line block ×3, first 2 shown]
.LBB38_153:                             ;   in Loop: Header=BB38_107 Depth=2
	v_dual_mov_b32 v190, 0 :: v_dual_mov_b32 v192, 0
	s_wait_xcnt 0x0
	s_delay_alu instid0(VALU_DEP_2)
	s_and_saveexec_b32 s83, s82
	s_cbranch_execz .LBB38_155
; %bb.154:                              ;   in Loop: Header=BB38_107 Depth=2
	v_add_nc_u64_e32 v[40:41], v[152:153], v[66:67]
	flat_load_b64 v[190:191], v[40:41]
	s_wait_loadcnt_dscnt 0x0
	v_mov_b32_e32 v192, v191
.LBB38_155:                             ;   in Loop: Header=BB38_107 Depth=2
	s_wait_xcnt 0x0
	s_or_b32 exec_lo, exec_lo, s83
	ds_load_b64 v[44:45], v214
	ds_load_b128 v[40:43], v204 offset:384
	v_pk_add_f32 v[36:37], v[36:37], 0 op_sel_hi:[1,0]
	v_pk_add_f32 v[20:21], v[20:21], 0 op_sel_hi:[1,0]
	;; [unrolled: 1-line block ×3, first 2 shown]
	v_cmp_gt_i32_e32 vcc_lo, s81, v194
	s_delay_alu instid0(VALU_DEP_4) | instskip(NEXT) | instid1(VALU_DEP_4)
	v_pk_add_f32 v[36:37], v[36:37], v[38:39]
	v_pk_add_f32 v[20:21], v[20:21], v[22:23]
	s_delay_alu instid0(VALU_DEP_4) | instskip(SKIP_1) | instid1(VALU_DEP_3)
	v_pk_add_f32 v[52:53], v[52:53], v[54:55]
	s_or_b32 s71, s71, vcc_lo
	v_pk_add_f32 v[32:33], v[36:37], v[32:33]
	s_delay_alu instid0(VALU_DEP_3) | instskip(NEXT) | instid1(VALU_DEP_3)
	v_pk_add_f32 v[16:17], v[20:21], v[16:17]
	v_pk_add_f32 v[38:39], v[52:53], v[48:49]
	s_and_b32 s81, s21, s71
	s_delay_alu instid0(VALU_DEP_3) | instskip(NEXT) | instid1(VALU_DEP_3)
	v_pk_add_f32 v[32:33], v[32:33], v[34:35]
	v_pk_add_f32 v[16:17], v[16:17], v[18:19]
	s_wait_loadcnt_dscnt 0x1
	v_pk_mul_f32 v[46:47], v[186:187], v[44:45] op_sel:[1,0]
	v_pk_mul_f32 v[236:237], v[184:185], v[44:45] op_sel:[1,0]
	v_pk_mul_f32 v[238:239], v[188:189], v[44:45] op_sel:[1,0]
	v_pk_mul_f32 v[240:241], v[192:193], v[44:45] op_sel_hi:[0,1]
	s_delay_alu instid0(VALU_DEP_4)
	v_pk_fma_f32 v[242:243], v[186:187], v[44:45], v[46:47] op_sel:[0,0,1] op_sel_hi:[1,1,0]
	v_pk_fma_f32 v[46:47], v[186:187], v[44:45], v[46:47] op_sel:[0,0,1] op_sel_hi:[0,1,0] neg_lo:[0,0,1] neg_hi:[0,0,1]
	v_pk_fma_f32 v[244:245], v[184:185], v[44:45], v[236:237] op_sel:[0,0,1] op_sel_hi:[1,1,0]
	v_pk_fma_f32 v[236:237], v[184:185], v[44:45], v[236:237] op_sel:[0,0,1] op_sel_hi:[0,1,0] neg_lo:[0,0,1] neg_hi:[0,0,1]
	;; [unrolled: 2-line block ×3, first 2 shown]
	v_pk_fma_f32 v[248:249], v[190:191], v[44:45], v[240:241] op_sel:[0,0,1] op_sel_hi:[0,1,0] neg_lo:[0,0,1] neg_hi:[0,0,1]
	v_pk_fma_f32 v[240:241], v[190:191], v[44:45], v[240:241] op_sel:[0,0,1] op_sel_hi:[1,1,0]
	v_dual_mov_b32 v243, v47 :: v_dual_mov_b32 v245, v237
	s_delay_alu instid0(VALU_DEP_3)
	v_dual_mov_b32 v247, v239 :: v_dual_mov_b32 v241, v249
	ds_load_b128 v[44:47], v204 offset:400
	ds_store_2addr_b64 v205, v[242:243], v[244:245] offset1:67
	ds_store_2addr_b64 v205, v[246:247], v[240:241] offset0:134 offset1:201
	s_wait_dscnt 0x0
	s_barrier_signal -1
	s_barrier_wait -1
	ds_load_2addr_b64 v[236:239], v206 offset1:1
	ds_load_2addr_b64 v[240:243], v206 offset0:2 offset1:3
	s_wait_dscnt 0x0
	s_barrier_signal -1
	s_barrier_wait -1
	v_pk_add_f32 v[236:237], v[236:237], 0 op_sel_hi:[1,0]
	s_delay_alu instid0(VALU_DEP_1) | instskip(NEXT) | instid1(VALU_DEP_1)
	v_pk_add_f32 v[22:23], v[236:237], v[238:239]
	v_pk_add_f32 v[20:21], v[22:23], v[240:241]
	;; [unrolled: 1-line block ×3, first 2 shown]
	s_delay_alu instid0(VALU_DEP_2)
	v_pk_add_f32 v[18:19], v[20:21], v[242:243]
	ds_store_2addr_b64 v211, v[16:17], v[32:33] offset1:16
	ds_store_2addr_b64 v211, v[22:23], v[18:19] offset0:32 offset1:48
	s_wait_dscnt 0x0
	s_barrier_signal -1
	s_barrier_wait -1
	s_and_saveexec_b32 s71, s81
	s_cbranch_execz .LBB38_157
; %bb.156:                              ;   in Loop: Header=BB38_107 Depth=2
	ds_load_b64 v[36:37], v207
	ds_load_2addr_b64 v[16:19], v207 offset0:1 offset1:2
	ds_load_2addr_b64 v[20:23], v207 offset0:3 offset1:4
	;; [unrolled: 1-line block ×3, first 2 shown]
	s_wait_dscnt 0x2
	v_dual_add_f32 v16, v16, v36 :: v_dual_add_f32 v17, v17, v37
	s_delay_alu instid0(VALU_DEP_1) | instskip(SKIP_3) | instid1(VALU_DEP_1)
	v_dual_add_f32 v36, v18, v16 :: v_dual_add_f32 v37, v19, v17
	ds_load_2addr_b64 v[16:19], v207 offset0:7 offset1:8
	s_wait_dscnt 0x2
	v_dual_add_f32 v20, v36, v20 :: v_dual_add_f32 v21, v37, v21
	v_dual_add_f32 v36, v20, v22 :: v_dual_add_f32 v37, v21, v23
	ds_load_2addr_b64 v[20:23], v207 offset0:9 offset1:10
	s_wait_dscnt 0x2
	v_pk_add_f32 v[32:33], v[36:37], v[32:33]
	s_delay_alu instid0(VALU_DEP_1) | instskip(SKIP_3) | instid1(VALU_DEP_1)
	v_pk_add_f32 v[36:37], v[32:33], v[34:35]
	ds_load_2addr_b64 v[32:35], v207 offset0:11 offset1:12
	s_wait_dscnt 0x2
	v_pk_add_f32 v[16:17], v[36:37], v[16:17]
	v_pk_add_f32 v[16:17], v[16:17], v[18:19]
	s_wait_dscnt 0x1
	s_delay_alu instid0(VALU_DEP_1)
	v_pk_add_f32 v[20:21], v[16:17], v[20:21]
	ds_load_2addr_b64 v[16:19], v207 offset0:13 offset1:14
	v_pk_add_f32 v[20:21], v[20:21], v[22:23]
	ds_load_b64 v[22:23], v208
	s_wait_dscnt 0x2
	v_pk_add_f32 v[20:21], v[20:21], v[32:33]
	s_delay_alu instid0(VALU_DEP_1) | instskip(SKIP_1) | instid1(VALU_DEP_1)
	v_pk_add_f32 v[20:21], v[20:21], v[34:35]
	s_wait_dscnt 0x1
	v_pk_add_f32 v[16:17], v[20:21], v[16:17]
	s_delay_alu instid0(VALU_DEP_1) | instskip(SKIP_1) | instid1(VALU_DEP_1)
	v_pk_add_f32 v[16:17], v[16:17], v[18:19]
	s_wait_dscnt 0x0
	v_pk_add_f32 v[16:17], v[16:17], v[22:23]
	global_store_b64 v57, v[16:17], s[68:69] scale_offset
.LBB38_157:                             ;   in Loop: Header=BB38_107 Depth=2
	s_wait_xcnt 0x0
	s_or_b32 exec_lo, exec_lo, s71
	v_dual_mov_b32 v16, v158 :: v_dual_mov_b32 v17, v158
	v_dual_mov_b32 v158, v159 :: v_dual_mov_b32 v18, v156
	;; [unrolled: 1-line block ×4, first 2 shown]
	s_delay_alu instid0(VALU_DEP_3) | instskip(SKIP_1) | instid1(VALU_DEP_4)
	v_pk_mul_f32 v[20:21], v[158:159], v[0:1]
	v_dual_mov_b32 v160, v161 :: v_dual_mov_b32 v163, v162
	v_pk_mul_f32 v[34:35], v[156:157], v[2:3]
	v_dual_mov_b32 v191, v190 :: v_dual_mov_b32 v193, v192
	s_delay_alu instid0(VALU_DEP_4)
	v_pk_fma_f32 v[32:33], v[16:17], v[0:1], v[20:21] op_sel:[0,0,1] op_sel_hi:[1,1,0]
	v_pk_fma_f32 v[0:1], v[16:17], v[0:1], v[20:21] op_sel:[0,0,1] op_sel_hi:[1,1,0] neg_lo:[0,0,1] neg_hi:[0,0,1]
	v_mov_b32_e32 v165, v164
	v_pk_fma_f32 v[16:17], v[18:19], v[2:3], v[34:35] op_sel:[0,0,1] op_sel_hi:[1,1,0]
	v_pk_mul_f32 v[20:21], v[160:161], v[4:5]
	v_mov_b32_e32 v1, v33
	v_pk_fma_f32 v[2:3], v[18:19], v[2:3], v[34:35] op_sel:[0,0,1] op_sel_hi:[1,1,0] neg_lo:[0,0,1] neg_hi:[0,0,1]
	v_pk_mul_f32 v[32:33], v[164:165], v[6:7]
	v_mov_b32_e32 v3, v17
	v_pk_fma_f32 v[16:17], v[22:23], v[4:5], v[20:21] op_sel:[0,0,1] op_sel_hi:[1,1,0]
	v_pk_add_f32 v[0:1], v[112:113], v[0:1]
	v_pk_fma_f32 v[4:5], v[22:23], v[4:5], v[20:21] op_sel:[0,0,1] op_sel_hi:[1,1,0] neg_lo:[0,0,1] neg_hi:[0,0,1]
	v_pk_fma_f32 v[18:19], v[162:163], v[6:7], v[32:33] op_sel:[0,0,1] op_sel_hi:[1,1,0]
	s_delay_alu instid0(VALU_DEP_4) | instskip(NEXT) | instid1(VALU_DEP_4)
	v_dual_mov_b32 v16, v15 :: v_dual_mov_b32 v5, v17
	v_pk_add_f32 v[0:1], v[0:1], v[2:3]
	v_pk_fma_f32 v[2:3], v[162:163], v[6:7], v[32:33] op_sel:[0,0,1] op_sel_hi:[1,1,0] neg_lo:[0,0,1] neg_hi:[0,0,1]
	v_pk_mul_f32 v[6:7], v[168:169], v[12:13] op_sel:[1,1] op_sel_hi:[0,1]
	v_mov_b32_e32 v3, v19
	v_pk_mul_f32 v[16:17], v[166:167], v[16:17] op_sel:[1,0] op_sel_hi:[0,0]
	v_pk_add_f32 v[0:1], v[0:1], v[4:5]
	v_add_nc_u64_e32 v[114:115], s[60:61], v[114:115]
	v_pk_fma_f32 v[4:5], v[168:169], v[12:13], v[6:7] op_sel_hi:[1,0,1]
	v_dual_mov_b32 v173, v64 :: v_dual_mov_b32 v4, v176
	s_delay_alu instid0(VALU_DEP_4) | instskip(SKIP_1) | instid1(VALU_DEP_4)
	v_pk_add_f32 v[0:1], v[0:1], v[2:3]
	v_pk_fma_f32 v[2:3], v[168:169], v[12:13], v[6:7] neg_lo:[0,0,1] neg_hi:[0,0,1]
	v_mov_b32_e32 v3, v5
	v_pk_fma_f32 v[6:7], v[166:167], v[14:15], v[16:17] op_sel_hi:[1,0,1]
	v_pk_fma_f32 v[12:13], v[166:167], v[14:15], v[16:17] neg_lo:[0,0,1] neg_hi:[0,0,1]
	v_dual_mov_b32 v5, v176 :: v_dual_mov_b32 v176, v177
	s_delay_alu instid0(VALU_DEP_4) | instskip(SKIP_3) | instid1(VALU_DEP_3)
	v_pk_add_f32 v[0:1], v[0:1], v[2:3]
	v_pk_mul_f32 v[2:3], v[170:171], v[8:9] op_sel:[1,1] op_sel_hi:[0,1]
	v_dual_mov_b32 v13, v7 :: v_dual_mov_b32 v6, v11
	v_dual_mov_b32 v14, v174 :: v_dual_mov_b32 v181, v180
	v_pk_fma_f32 v[16:17], v[170:171], v[8:9], v[2:3] op_sel_hi:[1,0,1]
	v_pk_fma_f32 v[2:3], v[170:171], v[8:9], v[2:3] neg_lo:[0,0,1] neg_hi:[0,0,1]
	v_mov_b32_e32 v15, v174
	v_pk_add_f32 v[0:1], v[0:1], v[12:13]
	v_pk_mul_f32 v[6:7], v[172:173], v[6:7] op_sel:[1,0] op_sel_hi:[0,0]
	v_dual_mov_b32 v3, v17 :: v_dual_mov_b32 v174, v175
	v_mov_b32_e32 v8, v178
	v_add_nc_u64_e32 v[116:117], s[60:61], v[116:117]
	s_delay_alu instid0(VALU_DEP_4) | instskip(NEXT) | instid1(VALU_DEP_4)
	v_pk_fma_f32 v[12:13], v[172:173], v[10:11], v[6:7] op_sel_hi:[1,0,1]
	v_pk_add_f32 v[0:1], v[0:1], v[2:3]
	v_pk_mul_f32 v[2:3], v[176:177], v[28:29]
	v_pk_fma_f32 v[6:7], v[172:173], v[10:11], v[6:7] neg_lo:[0,0,1] neg_hi:[0,0,1]
	s_delay_alu instid0(VALU_DEP_4) | instskip(SKIP_1) | instid1(VALU_DEP_4)
	v_dual_mov_b32 v9, v178 :: v_dual_mov_b32 v7, v13
	v_mov_b32_e32 v178, v179
	v_pk_fma_f32 v[10:11], v[4:5], v[28:29], v[2:3] op_sel:[0,0,1] op_sel_hi:[1,1,0]
	v_pk_fma_f32 v[2:3], v[4:5], v[28:29], v[2:3] op_sel:[0,0,1] op_sel_hi:[1,1,0] neg_lo:[0,0,1] neg_hi:[0,0,1]
	v_mov_b32_e32 v183, v182
	v_pk_add_f32 v[0:1], v[0:1], v[6:7]
	v_pk_mul_f32 v[6:7], v[174:175], v[30:31]
	v_dual_mov_b32 v3, v11 :: v_dual_mov_b32 v4, v186
	v_mov_b32_e32 v5, v186
	v_add_nc_u64_e32 v[118:119], s[60:61], v[118:119]
	s_delay_alu instid0(VALU_DEP_4) | instskip(NEXT) | instid1(VALU_DEP_4)
	v_pk_fma_f32 v[10:11], v[14:15], v[30:31], v[6:7] op_sel:[0,0,1] op_sel_hi:[1,1,0]
	v_pk_add_f32 v[0:1], v[0:1], v[2:3]
	v_pk_mul_f32 v[2:3], v[178:179], v[24:25]
	v_pk_fma_f32 v[6:7], v[14:15], v[30:31], v[6:7] op_sel:[0,0,1] op_sel_hi:[1,1,0] neg_lo:[0,0,1] neg_hi:[0,0,1]
	s_delay_alu instid0(VALU_DEP_4) | instskip(SKIP_1) | instid1(VALU_DEP_4)
	v_dual_mov_b32 v186, v187 :: v_dual_mov_b32 v7, v11
	v_dual_mov_b32 v10, v184 :: v_dual_mov_b32 v11, v184
	v_pk_fma_f32 v[12:13], v[8:9], v[24:25], v[2:3] op_sel:[0,0,1] op_sel_hi:[1,1,0]
	v_pk_fma_f32 v[2:3], v[8:9], v[24:25], v[2:3] op_sel:[0,0,1] op_sel_hi:[1,1,0] neg_lo:[0,0,1] neg_hi:[0,0,1]
	v_mov_b32_e32 v184, v185
	v_pk_add_f32 v[0:1], v[0:1], v[6:7]
	v_pk_mul_f32 v[6:7], v[182:183], v[26:27]
	v_dual_mov_b32 v3, v13 :: v_dual_mov_b32 v8, v188
	v_mov_b32_e32 v9, v188
	v_add_nc_u64_e32 v[120:121], s[60:61], v[120:121]
	s_delay_alu instid0(VALU_DEP_4) | instskip(NEXT) | instid1(VALU_DEP_4)
	v_pk_fma_f32 v[12:13], v[180:181], v[26:27], v[6:7] op_sel:[0,0,1] op_sel_hi:[1,1,0]
	v_pk_add_f32 v[0:1], v[0:1], v[2:3]
	v_pk_fma_f32 v[2:3], v[180:181], v[26:27], v[6:7] op_sel:[0,0,1] op_sel_hi:[1,1,0] neg_lo:[0,0,1] neg_hi:[0,0,1]
	v_pk_mul_f32 v[6:7], v[186:187], v[40:41]
	s_delay_alu instid0(VALU_DEP_4) | instskip(SKIP_2) | instid1(VALU_DEP_4)
	v_dual_mov_b32 v188, v189 :: v_dual_mov_b32 v3, v13
	v_pk_mul_f32 v[12:13], v[184:185], v[42:43]
	v_add_nc_u64_e32 v[122:123], s[60:61], v[122:123]
	v_pk_fma_f32 v[14:15], v[4:5], v[40:41], v[6:7] op_sel:[0,0,1] op_sel_hi:[1,1,0]
	v_pk_fma_f32 v[4:5], v[4:5], v[40:41], v[6:7] op_sel:[0,0,1] op_sel_hi:[1,1,0] neg_lo:[0,0,1] neg_hi:[0,0,1]
	v_pk_add_f32 v[0:1], v[0:1], v[2:3]
	v_pk_fma_f32 v[2:3], v[10:11], v[42:43], v[12:13] op_sel:[0,0,1] op_sel_hi:[1,1,0]
	v_pk_mul_f32 v[16:17], v[188:189], v[44:45]
	v_mov_b32_e32 v5, v15
	v_pk_fma_f32 v[6:7], v[10:11], v[42:43], v[12:13] op_sel:[0,0,1] op_sel_hi:[1,1,0] neg_lo:[0,0,1] neg_hi:[0,0,1]
	v_pk_mul_f32 v[10:11], v[192:193], v[46:47]
	v_mov_b32_e32 v7, v3
	v_pk_fma_f32 v[2:3], v[8:9], v[44:45], v[16:17] op_sel:[0,0,1] op_sel_hi:[1,1,0]
	v_pk_add_f32 v[0:1], v[0:1], v[4:5]
	v_pk_fma_f32 v[4:5], v[8:9], v[44:45], v[16:17] op_sel:[0,0,1] op_sel_hi:[1,1,0] neg_lo:[0,0,1] neg_hi:[0,0,1]
	v_add_nc_u64_e32 v[124:125], s[60:61], v[124:125]
	v_add_nc_u64_e32 v[126:127], s[60:61], v[126:127]
	v_mov_b32_e32 v5, v3
	v_pk_fma_f32 v[2:3], v[190:191], v[46:47], v[10:11] op_sel:[0,0,1] op_sel_hi:[1,1,0]
	v_pk_add_f32 v[0:1], v[0:1], v[6:7]
	v_pk_fma_f32 v[6:7], v[190:191], v[46:47], v[10:11] op_sel:[0,0,1] op_sel_hi:[1,1,0] neg_lo:[0,0,1] neg_hi:[0,0,1]
	v_add_nc_u64_e32 v[128:129], s[60:61], v[128:129]
	v_add_nc_u64_e32 v[130:131], s[60:61], v[130:131]
	v_mov_b32_e32 v7, v3
	v_pk_add_f32 v[0:1], v[0:1], v[4:5]
	v_add_nc_u64_e32 v[132:133], s[60:61], v[132:133]
	v_add_nc_u64_e32 v[134:135], s[60:61], v[134:135]
	v_add_nc_u64_e32 v[136:137], s[60:61], v[136:137]
	v_add_nc_u64_e32 v[138:139], s[60:61], v[138:139]
	v_add_nc_u64_e32 v[140:141], s[60:61], v[140:141]
	v_add_nc_u64_e32 v[142:143], s[60:61], v[142:143]
	v_add_nc_u64_e32 v[144:145], s[60:61], v[144:145]
	v_add_nc_u64_e32 v[146:147], s[60:61], v[146:147]
	v_add_nc_u64_e32 v[148:149], s[60:61], v[148:149]
	v_add_nc_u64_e32 v[150:151], s[60:61], v[150:151]
	v_add_nc_u64_e32 v[152:153], s[60:61], v[152:153]
	v_pk_add_f32 v[112:113], v[0:1], v[6:7]
	v_add_nc_u32_e32 v57, 64, v57
	s_add_co_i32 s71, s80, 1
	s_add_co_i32 s80, s80, 2
	s_add_co_i32 s70, s70, s76
	s_cmp_ge_u32 s80, s36
	s_wait_storecnt 0x0
	s_barrier_signal -1
	s_barrier_wait -1
	s_cbranch_scc1 .LBB38_159
; %bb.158:                              ;   in Loop: Header=BB38_107 Depth=2
	s_mov_b32 s80, s71
	s_delay_alu instid0(SALU_CYCLE_1)
	s_cmp_eq_u32 s75, s80
	s_cselect_b32 s81, s73, 0
	s_and_saveexec_b32 s82, s0
	s_cbranch_execnz .LBB38_103
	s_branch .LBB38_107
.LBB38_159:                             ;   in Loop: Header=BB38_4 Depth=1
	ds_store_b64 v209, v[112:113]
	s_wait_dscnt 0x0
	s_barrier_signal -1
	s_barrier_wait -1
	s_and_saveexec_b32 s70, s77
	s_cbranch_execz .LBB38_2
; %bb.160:                              ;   in Loop: Header=BB38_4 Depth=1
	ds_load_2addr_b64 v[0:3], v195 offset1:67
	ds_load_2addr_b64 v[4:7], v195 offset0:134 offset1:201
	s_wait_dscnt 0x1
	v_pk_add_f32 v[0:1], v[2:3], v[0:1]
	v_lshl_add_u64 v[2:3], v[58:59], 3, s[68:69]
	s_wait_dscnt 0x0
	s_delay_alu instid0(VALU_DEP_2) | instskip(NEXT) | instid1(VALU_DEP_1)
	v_pk_add_f32 v[0:1], v[4:5], v[0:1]
	v_pk_add_f32 v[0:1], v[0:1], v[6:7]
	global_store_b64 v[2:3], v[0:1], off
	s_branch .LBB38_2
.LBB38_161:                             ;   in Loop: Header=BB38_4 Depth=1
	ds_load_b64 v[4:5], v213
	s_mov_b32 s68, exec_lo
	s_wait_dscnt 0x0
	v_xor_b32_e32 v2, 0x80000000, v5
	ds_store_b32 v216, v4
	s_or_saveexec_b32 s69, s69
	v_mov_b32_e32 v3, v216
	s_xor_b32 exec_lo, exec_lo, s69
	s_cbranch_execz .LBB38_33
.LBB38_162:                             ;   in Loop: Header=BB38_4 Depth=1
	v_dual_mov_b32 v2, 0 :: v_dual_mov_b32 v3, v215
	s_and_not1_b32 s68, s68, exec_lo
	s_and_b32 s70, s9, exec_lo
	s_delay_alu instid0(SALU_CYCLE_1)
	s_or_b32 s68, s68, s70
	s_or_b32 exec_lo, exec_lo, s69
	s_and_saveexec_b32 s69, s68
	s_cbranch_execnz .LBB38_34
	s_branch .LBB38_35
.LBB38_163:                             ;   in Loop: Header=BB38_4 Depth=1
	ds_load_b64 v[4:5], v213
	s_mov_b32 s68, exec_lo
	s_wait_dscnt 0x0
	v_xor_b32_e32 v2, 0x80000000, v5
	ds_store_b32 v216, v4
	s_or_saveexec_b32 s69, s69
	v_mov_b32_e32 v3, v216
	s_xor_b32 exec_lo, exec_lo, s69
	s_cbranch_execz .LBB38_69
.LBB38_164:                             ;   in Loop: Header=BB38_4 Depth=1
	v_dual_mov_b32 v2, 0 :: v_dual_mov_b32 v3, v215
	s_and_not1_b32 s68, s68, exec_lo
	s_and_b32 s70, s9, exec_lo
	s_delay_alu instid0(SALU_CYCLE_1)
	s_or_b32 s68, s68, s70
	s_or_b32 exec_lo, exec_lo, s69
	s_and_saveexec_b32 s69, s68
	s_cbranch_execnz .LBB38_70
	s_branch .LBB38_71
.LBB38_165:
	s_sendmsg sendmsg(MSG_DEALLOC_VGPRS)
	s_endpgm
	.section	.rodata,"a",@progbits
	.p2align	6, 0x0
	.amdhsa_kernel _ZL26rocblas_hemvn_kernel_upperILb1ELi64ELi4ELi33ELi32ELi16Ei19rocblas_complex_numIfEPKPKS1_PS1_EviT6_lT7_lT5_lS8_lS9_lS7_lT8_i
		.amdhsa_group_segment_fixed_size 9600
		.amdhsa_private_segment_fixed_size 0
		.amdhsa_kernarg_size 376
		.amdhsa_user_sgpr_count 2
		.amdhsa_user_sgpr_dispatch_ptr 0
		.amdhsa_user_sgpr_queue_ptr 0
		.amdhsa_user_sgpr_kernarg_segment_ptr 1
		.amdhsa_user_sgpr_dispatch_id 0
		.amdhsa_user_sgpr_kernarg_preload_length 0
		.amdhsa_user_sgpr_kernarg_preload_offset 0
		.amdhsa_user_sgpr_private_segment_size 0
		.amdhsa_wavefront_size32 1
		.amdhsa_uses_dynamic_stack 0
		.amdhsa_enable_private_segment 0
		.amdhsa_system_sgpr_workgroup_id_x 1
		.amdhsa_system_sgpr_workgroup_id_y 0
		.amdhsa_system_sgpr_workgroup_id_z 1
		.amdhsa_system_sgpr_workgroup_info 0
		.amdhsa_system_vgpr_workitem_id 1
		.amdhsa_next_free_vgpr 250
		.amdhsa_next_free_sgpr 94
		.amdhsa_named_barrier_count 0
		.amdhsa_reserve_vcc 1
		.amdhsa_float_round_mode_32 0
		.amdhsa_float_round_mode_16_64 0
		.amdhsa_float_denorm_mode_32 3
		.amdhsa_float_denorm_mode_16_64 3
		.amdhsa_fp16_overflow 0
		.amdhsa_memory_ordered 1
		.amdhsa_forward_progress 1
		.amdhsa_inst_pref_size 73
		.amdhsa_round_robin_scheduling 0
		.amdhsa_exception_fp_ieee_invalid_op 0
		.amdhsa_exception_fp_denorm_src 0
		.amdhsa_exception_fp_ieee_div_zero 0
		.amdhsa_exception_fp_ieee_overflow 0
		.amdhsa_exception_fp_ieee_underflow 0
		.amdhsa_exception_fp_ieee_inexact 0
		.amdhsa_exception_int_div_zero 0
	.end_amdhsa_kernel
	.section	.text._ZL26rocblas_hemvn_kernel_upperILb1ELi64ELi4ELi33ELi32ELi16Ei19rocblas_complex_numIfEPKPKS1_PS1_EviT6_lT7_lT5_lS8_lS9_lS7_lT8_i,"axG",@progbits,_ZL26rocblas_hemvn_kernel_upperILb1ELi64ELi4ELi33ELi32ELi16Ei19rocblas_complex_numIfEPKPKS1_PS1_EviT6_lT7_lT5_lS8_lS9_lS7_lT8_i,comdat
.Lfunc_end38:
	.size	_ZL26rocblas_hemvn_kernel_upperILb1ELi64ELi4ELi33ELi32ELi16Ei19rocblas_complex_numIfEPKPKS1_PS1_EviT6_lT7_lT5_lS8_lS9_lS7_lT8_i, .Lfunc_end38-_ZL26rocblas_hemvn_kernel_upperILb1ELi64ELi4ELi33ELi32ELi16Ei19rocblas_complex_numIfEPKPKS1_PS1_EviT6_lT7_lT5_lS8_lS9_lS7_lT8_i
                                        ; -- End function
	.set _ZL26rocblas_hemvn_kernel_upperILb1ELi64ELi4ELi33ELi32ELi16Ei19rocblas_complex_numIfEPKPKS1_PS1_EviT6_lT7_lT5_lS8_lS9_lS7_lT8_i.num_vgpr, 250
	.set _ZL26rocblas_hemvn_kernel_upperILb1ELi64ELi4ELi33ELi32ELi16Ei19rocblas_complex_numIfEPKPKS1_PS1_EviT6_lT7_lT5_lS8_lS9_lS7_lT8_i.num_agpr, 0
	.set _ZL26rocblas_hemvn_kernel_upperILb1ELi64ELi4ELi33ELi32ELi16Ei19rocblas_complex_numIfEPKPKS1_PS1_EviT6_lT7_lT5_lS8_lS9_lS7_lT8_i.numbered_sgpr, 94
	.set _ZL26rocblas_hemvn_kernel_upperILb1ELi64ELi4ELi33ELi32ELi16Ei19rocblas_complex_numIfEPKPKS1_PS1_EviT6_lT7_lT5_lS8_lS9_lS7_lT8_i.num_named_barrier, 0
	.set _ZL26rocblas_hemvn_kernel_upperILb1ELi64ELi4ELi33ELi32ELi16Ei19rocblas_complex_numIfEPKPKS1_PS1_EviT6_lT7_lT5_lS8_lS9_lS7_lT8_i.private_seg_size, 0
	.set _ZL26rocblas_hemvn_kernel_upperILb1ELi64ELi4ELi33ELi32ELi16Ei19rocblas_complex_numIfEPKPKS1_PS1_EviT6_lT7_lT5_lS8_lS9_lS7_lT8_i.uses_vcc, 1
	.set _ZL26rocblas_hemvn_kernel_upperILb1ELi64ELi4ELi33ELi32ELi16Ei19rocblas_complex_numIfEPKPKS1_PS1_EviT6_lT7_lT5_lS8_lS9_lS7_lT8_i.uses_flat_scratch, 1
	.set _ZL26rocblas_hemvn_kernel_upperILb1ELi64ELi4ELi33ELi32ELi16Ei19rocblas_complex_numIfEPKPKS1_PS1_EviT6_lT7_lT5_lS8_lS9_lS7_lT8_i.has_dyn_sized_stack, 0
	.set _ZL26rocblas_hemvn_kernel_upperILb1ELi64ELi4ELi33ELi32ELi16Ei19rocblas_complex_numIfEPKPKS1_PS1_EviT6_lT7_lT5_lS8_lS9_lS7_lT8_i.has_recursion, 0
	.set _ZL26rocblas_hemvn_kernel_upperILb1ELi64ELi4ELi33ELi32ELi16Ei19rocblas_complex_numIfEPKPKS1_PS1_EviT6_lT7_lT5_lS8_lS9_lS7_lT8_i.has_indirect_call, 0
	.section	.AMDGPU.csdata,"",@progbits
; Kernel info:
; codeLenInByte = 9308
; TotalNumSgprs: 96
; NumVgprs: 250
; ScratchSize: 0
; MemoryBound: 1
; FloatMode: 240
; IeeeMode: 1
; LDSByteSize: 9600 bytes/workgroup (compile time only)
; SGPRBlocks: 0
; VGPRBlocks: 15
; NumSGPRsForWavesPerEU: 96
; NumVGPRsForWavesPerEU: 250
; NamedBarCnt: 0
; Occupancy: 4
; WaveLimiterHint : 1
; COMPUTE_PGM_RSRC2:SCRATCH_EN: 0
; COMPUTE_PGM_RSRC2:USER_SGPR: 2
; COMPUTE_PGM_RSRC2:TRAP_HANDLER: 0
; COMPUTE_PGM_RSRC2:TGID_X_EN: 1
; COMPUTE_PGM_RSRC2:TGID_Y_EN: 0
; COMPUTE_PGM_RSRC2:TGID_Z_EN: 1
; COMPUTE_PGM_RSRC2:TIDIG_COMP_CNT: 1
	.section	.text._ZL36rocblas_hemvn_kernel_upper_block_sumILi64Ei19rocblas_complex_numIfEPKPS1_S1_EviT1_lS5_lT2_lT0_lPT3_i,"axG",@progbits,_ZL36rocblas_hemvn_kernel_upper_block_sumILi64Ei19rocblas_complex_numIfEPKPS1_S1_EviT1_lS5_lT2_lT0_lPT3_i,comdat
	.globl	_ZL36rocblas_hemvn_kernel_upper_block_sumILi64Ei19rocblas_complex_numIfEPKPS1_S1_EviT1_lS5_lT2_lT0_lPT3_i ; -- Begin function _ZL36rocblas_hemvn_kernel_upper_block_sumILi64Ei19rocblas_complex_numIfEPKPS1_S1_EviT1_lS5_lT2_lT0_lPT3_i
	.p2align	8
	.type	_ZL36rocblas_hemvn_kernel_upper_block_sumILi64Ei19rocblas_complex_numIfEPKPS1_S1_EviT1_lS5_lT2_lT0_lPT3_i,@function
_ZL36rocblas_hemvn_kernel_upper_block_sumILi64Ei19rocblas_complex_numIfEPKPS1_S1_EviT1_lS5_lT2_lT0_lPT3_i: ; @_ZL36rocblas_hemvn_kernel_upper_block_sumILi64Ei19rocblas_complex_numIfEPKPS1_S1_EviT1_lS5_lT2_lT0_lPT3_i
; %bb.0:
	s_load_b32 s22, s[0:1], 0x50
	s_bfe_u32 s2, ttmp6, 0x40014
	s_lshr_b32 s3, ttmp7, 16
	s_add_co_i32 s2, s2, 1
	s_bfe_u32 s4, ttmp6, 0x40008
	s_mul_i32 s2, s3, s2
	s_getreg_b32 s16, hwreg(HW_REG_IB_STS2, 6, 4)
	s_add_co_i32 s4, s4, s2
	s_cmp_eq_u32 s16, 0
	s_cselect_b32 s2, s3, s4
	s_mov_b32 s3, 0
	s_wait_kmcnt 0x0
	s_cmp_ge_u32 s2, s22
	s_cbranch_scc1 .LBB39_21
; %bb.1:
	s_clause 0x2
	s_load_b64 s[8:9], s[0:1], 0x4
	s_load_b64 s[10:11], s[0:1], 0x18
	s_load_b32 s18, s[0:1], 0x0
	s_add_nc_u64 s[12:13], s[0:1], 0x58
	s_wait_kmcnt 0x0
	s_or_b32 s4, s8, s9
	s_mov_b32 s14, s9
	s_bitset0_b32 s4, 31
	s_mov_b32 s15, s8
	s_cmp_eq_u32 s4, 0
	s_mov_b32 s17, s10
	s_cselect_b32 s23, -1, 0
	s_cmp_lg_u32 s4, 0
	s_clause 0x2
	s_load_b128 s[4:7], s[0:1], 0x28
	s_load_b32 s24, s[0:1], 0x38
	s_load_b64 s[20:21], s[0:1], 0x48
	s_cselect_b32 s25, -1, 0
	s_cmp_neq_f32 s10, 1.0
	s_cselect_b32 s26, -1, 0
	s_cmp_neq_f32 s11, 0
	s_cselect_b32 s27, -1, 0
	s_wait_xcnt 0x0
	s_bfe_u32 s0, ttmp6, 0x4000c
	s_and_b32 s1, ttmp6, 15
	s_add_co_i32 s0, s0, 1
	s_delay_alu instid0(SALU_CYCLE_1) | instskip(NEXT) | instid1(SALU_CYCLE_1)
	s_mul_i32 s0, ttmp9, s0
	s_add_co_i32 s1, s1, s0
	s_cmp_eq_u32 s16, 0
	s_mov_b32 s16, s11
	s_cselect_b32 s28, ttmp9, s1
	s_cmp_neq_f32 s10, 0
	v_lshl_or_b32 v2, s28, 6, v0
	s_cselect_b32 s0, -1, 0
	s_ashr_i32 s19, s18, 31
	s_wait_kmcnt 0x0
	s_delay_alu instid0(VALU_DEP_1) | instskip(SKIP_2) | instid1(SALU_CYCLE_1)
	v_mul_lo_u32 v0, s24, v2
	v_ashrrev_i32_e32 v3, 31, v2
	s_or_b32 s0, s0, s27
	s_xor_b32 s1, s0, -1
	s_cmp_gt_i32 s28, -1
	v_cndmask_b32_e64 v10, 0, 1, s0
	v_cmp_gt_i32_e64 s0, s18, v2
	s_cselect_b32 s24, -1, 0
	s_or_b32 s26, s26, s27
	s_lshl_b64 s[18:19], s[18:19], 3
	v_ashrrev_i32_e32 v1, 31, v0
	v_lshl_add_u64 v[2:3], v[2:3], 3, s[20:21]
	s_or_b32 s25, s26, s25
	s_add_co_i32 s26, s28, 1
	s_lshl_b64 s[6:7], s[6:7], 3
	s_branch .LBB39_5
.LBB39_2:                               ;   in Loop: Header=BB39_5 Depth=1
	flat_store_b64 v[6:7], v[8:9]
.LBB39_3:                               ;   in Loop: Header=BB39_5 Depth=1
	s_wait_xcnt 0x0
	s_or_b32 exec_lo, exec_lo, s27
.LBB39_4:                               ;   in Loop: Header=BB39_5 Depth=1
	s_add_co_i32 s2, s2, 0x10000
	s_delay_alu instid0(SALU_CYCLE_1)
	s_cmp_lt_u32 s2, s22
	s_cbranch_scc0 .LBB39_21
.LBB39_5:                               ; =>This Loop Header: Depth=1
                                        ;     Child Loop BB39_16 Depth 2
	s_and_not1_b32 vcc_lo, exec_lo, s25
	s_cbranch_vccnz .LBB39_4
; %bb.6:                                ;   in Loop: Header=BB39_5 Depth=1
	s_lshl_b64 s[20:21], s[2:3], 3
	s_and_not1_b32 vcc_lo, exec_lo, s23
	s_add_nc_u64 s[20:21], s[4:5], s[20:21]
	s_mov_b32 s27, -1
	s_load_b64 s[20:21], s[20:21], 0x0
	s_wait_kmcnt 0x0
	s_wait_xcnt 0x0
	s_add_nc_u64 s[20:21], s[20:21], s[6:7]
	s_cbranch_vccnz .LBB39_12
; %bb.7:                                ;   in Loop: Header=BB39_5 Depth=1
	s_and_saveexec_b32 s27, s0
	s_cbranch_execz .LBB39_11
; %bb.8:                                ;   in Loop: Header=BB39_5 Depth=1
	v_cmp_ne_u32_e32 vcc_lo, 1, v10
	v_dual_mov_b32 v4, 0 :: v_dual_mov_b32 v5, 0
	s_cbranch_vccnz .LBB39_10
; %bb.9:                                ;   in Loop: Header=BB39_5 Depth=1
	v_lshl_add_u64 v[4:5], v[0:1], 3, s[20:21]
	v_mov_b64_e32 v[6:7], s[16:17]
	v_mov_b64_e32 v[8:9], s[10:11]
	flat_load_b64 v[4:5], v[4:5]
	s_wait_loadcnt_dscnt 0x0
	v_pk_mul_f32 v[6:7], v[4:5], v[6:7] op_sel:[1,0]
	s_delay_alu instid0(VALU_DEP_1) | instskip(SKIP_2) | instid1(VALU_DEP_2)
	v_pk_fma_f32 v[12:13], v[4:5], v[8:9], v[6:7] op_sel_hi:[0,1,1]
	s_wait_xcnt 0x0
	v_pk_fma_f32 v[4:5], v[4:5], v[8:9], v[6:7] neg_lo:[0,0,1] neg_hi:[0,0,1]
	v_mov_b32_e32 v5, v13
.LBB39_10:                              ;   in Loop: Header=BB39_5 Depth=1
	v_lshl_add_u64 v[6:7], v[0:1], 3, s[20:21]
	flat_store_b64 v[6:7], v[4:5]
.LBB39_11:                              ;   in Loop: Header=BB39_5 Depth=1
	s_wait_xcnt 0x0
	s_or_b32 exec_lo, exec_lo, s27
	s_mov_b32 s27, 0
.LBB39_12:                              ;   in Loop: Header=BB39_5 Depth=1
	s_delay_alu instid0(SALU_CYCLE_1)
	s_and_not1_b32 vcc_lo, exec_lo, s27
	s_cbranch_vccnz .LBB39_4
; %bb.13:                               ;   in Loop: Header=BB39_5 Depth=1
	s_and_saveexec_b32 s27, s0
	s_cbranch_execz .LBB39_3
; %bb.14:                               ;   in Loop: Header=BB39_5 Depth=1
	v_mov_b32_e32 v5, 0
	s_and_not1_b32 vcc_lo, exec_lo, s24
	s_delay_alu instid0(VALU_DEP_1)
	v_mov_b32_e32 v4, v5
	s_cbranch_vccnz .LBB39_17
; %bb.15:                               ;   in Loop: Header=BB39_5 Depth=1
	s_load_b32 s28, s[12:13], 0x0
	s_mov_b32 s29, s3
	v_mov_b32_e32 v4, 0
	s_delay_alu instid0(VALU_DEP_1) | instskip(SKIP_2) | instid1(SALU_CYCLE_1)
	v_mov_b32_e32 v5, v4
	s_wait_kmcnt 0x0
	s_mul_u64 s[28:29], s[18:19], s[28:29]
	v_mad_nc_u64_u32 v[6:7], s28, s2, v[2:3]
	s_mov_b32 s28, s26
	s_delay_alu instid0(VALU_DEP_1)
	v_mad_u32 v7, s29, s2, v7
.LBB39_16:                              ;   Parent Loop BB39_5 Depth=1
                                        ; =>  This Inner Loop Header: Depth=2
	global_load_b64 v[8:9], v[6:7], off
	s_wait_xcnt 0x0
	v_add_nc_u64_e32 v[6:7], s[18:19], v[6:7]
	s_add_co_i32 s28, s28, -1
	s_delay_alu instid0(SALU_CYCLE_1)
	s_cmp_eq_u32 s28, 0
	s_wait_loadcnt 0x0
	v_pk_add_f32 v[4:5], v[4:5], v[8:9]
	s_cbranch_scc0 .LBB39_16
.LBB39_17:                              ;   in Loop: Header=BB39_5 Depth=1
	s_and_b32 vcc_lo, exec_lo, s1
	s_mov_b32 s28, -1
                                        ; implicit-def: $vgpr9
	s_cbranch_vccz .LBB39_19
; %bb.18:                               ;   in Loop: Header=BB39_5 Depth=1
	v_mov_b64_e32 v[6:7], s[14:15]
	v_mov_b64_e32 v[8:9], s[8:9]
	s_mov_b32 s28, 0
	s_delay_alu instid0(VALU_DEP_2) | instskip(NEXT) | instid1(VALU_DEP_2)
	v_pk_mul_f32 v[6:7], v[4:5], v[6:7] op_sel:[1,0]
	v_pk_mul_f32 v[12:13], v[4:5], v[8:9] op_sel_hi:[0,1]
	s_delay_alu instid0(VALU_DEP_2) | instskip(NEXT) | instid1(VALU_DEP_2)
	v_pk_fma_f32 v[8:9], v[4:5], v[8:9], v[6:7] op_sel_hi:[0,1,1]
	v_sub_f32_e32 v8, v12, v6
.LBB39_19:                              ;   in Loop: Header=BB39_5 Depth=1
	v_lshl_add_u64 v[6:7], v[0:1], 3, s[20:21]
	s_and_not1_b32 vcc_lo, exec_lo, s28
	s_cbranch_vccnz .LBB39_2
; %bb.20:                               ;   in Loop: Header=BB39_5 Depth=1
	flat_load_b64 v[8:9], v[6:7]
	v_mov_b64_e32 v[12:13], s[16:17]
	v_mov_b64_e32 v[14:15], s[14:15]
	;; [unrolled: 1-line block ×4, first 2 shown]
	s_delay_alu instid0(VALU_DEP_3) | instskip(NEXT) | instid1(VALU_DEP_1)
	v_pk_mul_f32 v[14:15], v[4:5], v[14:15] op_sel:[1,0]
	v_pk_fma_f32 v[22:23], v[4:5], v[18:19], v[14:15] op_sel_hi:[0,1,1]
	v_pk_fma_f32 v[4:5], v[4:5], v[18:19], v[14:15] neg_lo:[0,0,1] neg_hi:[0,0,1]
	s_delay_alu instid0(VALU_DEP_2) | instskip(SKIP_2) | instid1(VALU_DEP_1)
	v_mov_b32_e32 v5, v23
	s_wait_loadcnt_dscnt 0x0
	v_pk_mul_f32 v[12:13], v[8:9], v[12:13] op_sel:[1,0]
	v_pk_fma_f32 v[20:21], v[8:9], v[16:17], v[12:13] op_sel_hi:[0,1,1]
	v_pk_fma_f32 v[8:9], v[8:9], v[16:17], v[12:13] neg_lo:[0,0,1] neg_hi:[0,0,1]
	s_delay_alu instid0(VALU_DEP_2) | instskip(NEXT) | instid1(VALU_DEP_1)
	v_mov_b32_e32 v9, v21
	v_pk_add_f32 v[8:9], v[4:5], v[8:9]
	s_branch .LBB39_2
.LBB39_21:
	s_endpgm
	.section	.rodata,"a",@progbits
	.p2align	6, 0x0
	.amdhsa_kernel _ZL36rocblas_hemvn_kernel_upper_block_sumILi64Ei19rocblas_complex_numIfEPKPS1_S1_EviT1_lS5_lT2_lT0_lPT3_i
		.amdhsa_group_segment_fixed_size 0
		.amdhsa_private_segment_fixed_size 0
		.amdhsa_kernarg_size 344
		.amdhsa_user_sgpr_count 2
		.amdhsa_user_sgpr_dispatch_ptr 0
		.amdhsa_user_sgpr_queue_ptr 0
		.amdhsa_user_sgpr_kernarg_segment_ptr 1
		.amdhsa_user_sgpr_dispatch_id 0
		.amdhsa_user_sgpr_kernarg_preload_length 0
		.amdhsa_user_sgpr_kernarg_preload_offset 0
		.amdhsa_user_sgpr_private_segment_size 0
		.amdhsa_wavefront_size32 1
		.amdhsa_uses_dynamic_stack 0
		.amdhsa_enable_private_segment 0
		.amdhsa_system_sgpr_workgroup_id_x 1
		.amdhsa_system_sgpr_workgroup_id_y 0
		.amdhsa_system_sgpr_workgroup_id_z 1
		.amdhsa_system_sgpr_workgroup_info 0
		.amdhsa_system_vgpr_workitem_id 0
		.amdhsa_next_free_vgpr 24
		.amdhsa_next_free_sgpr 30
		.amdhsa_named_barrier_count 0
		.amdhsa_reserve_vcc 1
		.amdhsa_float_round_mode_32 0
		.amdhsa_float_round_mode_16_64 0
		.amdhsa_float_denorm_mode_32 3
		.amdhsa_float_denorm_mode_16_64 3
		.amdhsa_fp16_overflow 0
		.amdhsa_memory_ordered 1
		.amdhsa_forward_progress 1
		.amdhsa_inst_pref_size 7
		.amdhsa_round_robin_scheduling 0
		.amdhsa_exception_fp_ieee_invalid_op 0
		.amdhsa_exception_fp_denorm_src 0
		.amdhsa_exception_fp_ieee_div_zero 0
		.amdhsa_exception_fp_ieee_overflow 0
		.amdhsa_exception_fp_ieee_underflow 0
		.amdhsa_exception_fp_ieee_inexact 0
		.amdhsa_exception_int_div_zero 0
	.end_amdhsa_kernel
	.section	.text._ZL36rocblas_hemvn_kernel_upper_block_sumILi64Ei19rocblas_complex_numIfEPKPS1_S1_EviT1_lS5_lT2_lT0_lPT3_i,"axG",@progbits,_ZL36rocblas_hemvn_kernel_upper_block_sumILi64Ei19rocblas_complex_numIfEPKPS1_S1_EviT1_lS5_lT2_lT0_lPT3_i,comdat
.Lfunc_end39:
	.size	_ZL36rocblas_hemvn_kernel_upper_block_sumILi64Ei19rocblas_complex_numIfEPKPS1_S1_EviT1_lS5_lT2_lT0_lPT3_i, .Lfunc_end39-_ZL36rocblas_hemvn_kernel_upper_block_sumILi64Ei19rocblas_complex_numIfEPKPS1_S1_EviT1_lS5_lT2_lT0_lPT3_i
                                        ; -- End function
	.set _ZL36rocblas_hemvn_kernel_upper_block_sumILi64Ei19rocblas_complex_numIfEPKPS1_S1_EviT1_lS5_lT2_lT0_lPT3_i.num_vgpr, 24
	.set _ZL36rocblas_hemvn_kernel_upper_block_sumILi64Ei19rocblas_complex_numIfEPKPS1_S1_EviT1_lS5_lT2_lT0_lPT3_i.num_agpr, 0
	.set _ZL36rocblas_hemvn_kernel_upper_block_sumILi64Ei19rocblas_complex_numIfEPKPS1_S1_EviT1_lS5_lT2_lT0_lPT3_i.numbered_sgpr, 30
	.set _ZL36rocblas_hemvn_kernel_upper_block_sumILi64Ei19rocblas_complex_numIfEPKPS1_S1_EviT1_lS5_lT2_lT0_lPT3_i.num_named_barrier, 0
	.set _ZL36rocblas_hemvn_kernel_upper_block_sumILi64Ei19rocblas_complex_numIfEPKPS1_S1_EviT1_lS5_lT2_lT0_lPT3_i.private_seg_size, 0
	.set _ZL36rocblas_hemvn_kernel_upper_block_sumILi64Ei19rocblas_complex_numIfEPKPS1_S1_EviT1_lS5_lT2_lT0_lPT3_i.uses_vcc, 1
	.set _ZL36rocblas_hemvn_kernel_upper_block_sumILi64Ei19rocblas_complex_numIfEPKPS1_S1_EviT1_lS5_lT2_lT0_lPT3_i.uses_flat_scratch, 0
	.set _ZL36rocblas_hemvn_kernel_upper_block_sumILi64Ei19rocblas_complex_numIfEPKPS1_S1_EviT1_lS5_lT2_lT0_lPT3_i.has_dyn_sized_stack, 0
	.set _ZL36rocblas_hemvn_kernel_upper_block_sumILi64Ei19rocblas_complex_numIfEPKPS1_S1_EviT1_lS5_lT2_lT0_lPT3_i.has_recursion, 0
	.set _ZL36rocblas_hemvn_kernel_upper_block_sumILi64Ei19rocblas_complex_numIfEPKPS1_S1_EviT1_lS5_lT2_lT0_lPT3_i.has_indirect_call, 0
	.section	.AMDGPU.csdata,"",@progbits
; Kernel info:
; codeLenInByte = 888
; TotalNumSgprs: 32
; NumVgprs: 24
; ScratchSize: 0
; MemoryBound: 0
; FloatMode: 240
; IeeeMode: 1
; LDSByteSize: 0 bytes/workgroup (compile time only)
; SGPRBlocks: 0
; VGPRBlocks: 1
; NumSGPRsForWavesPerEU: 32
; NumVGPRsForWavesPerEU: 24
; NamedBarCnt: 0
; Occupancy: 16
; WaveLimiterHint : 1
; COMPUTE_PGM_RSRC2:SCRATCH_EN: 0
; COMPUTE_PGM_RSRC2:USER_SGPR: 2
; COMPUTE_PGM_RSRC2:TRAP_HANDLER: 0
; COMPUTE_PGM_RSRC2:TGID_X_EN: 1
; COMPUTE_PGM_RSRC2:TGID_Y_EN: 0
; COMPUTE_PGM_RSRC2:TGID_Z_EN: 1
; COMPUTE_PGM_RSRC2:TIDIG_COMP_CNT: 0
	.section	.text._ZL26rocblas_hemvn_kernel_lowerILb1ELi64ELi4ELi33ELi32ELi16ElPK19rocblas_complex_numIfEPKS3_PS1_EviT6_lT7_lT5_lS8_lS9_lS7_lT8_i,"axG",@progbits,_ZL26rocblas_hemvn_kernel_lowerILb1ELi64ELi4ELi33ELi32ELi16ElPK19rocblas_complex_numIfEPKS3_PS1_EviT6_lT7_lT5_lS8_lS9_lS7_lT8_i,comdat
	.globl	_ZL26rocblas_hemvn_kernel_lowerILb1ELi64ELi4ELi33ELi32ELi16ElPK19rocblas_complex_numIfEPKS3_PS1_EviT6_lT7_lT5_lS8_lS9_lS7_lT8_i ; -- Begin function _ZL26rocblas_hemvn_kernel_lowerILb1ELi64ELi4ELi33ELi32ELi16ElPK19rocblas_complex_numIfEPKS3_PS1_EviT6_lT7_lT5_lS8_lS9_lS7_lT8_i
	.p2align	8
	.type	_ZL26rocblas_hemvn_kernel_lowerILb1ELi64ELi4ELi33ELi32ELi16ElPK19rocblas_complex_numIfEPKS3_PS1_EviT6_lT7_lT5_lS8_lS9_lS7_lT8_i,@function
_ZL26rocblas_hemvn_kernel_lowerILb1ELi64ELi4ELi33ELi32ELi16ElPK19rocblas_complex_numIfEPKS3_PS1_EviT6_lT7_lT5_lS8_lS9_lS7_lT8_i: ; @_ZL26rocblas_hemvn_kernel_lowerILb1ELi64ELi4ELi33ELi32ELi16ElPK19rocblas_complex_numIfEPKS3_PS1_EviT6_lT7_lT5_lS8_lS9_lS7_lT8_i
; %bb.0:
	s_clause 0x1
	s_load_b64 s[4:5], s[0:1], 0x84
	s_load_b32 s104, s[0:1], 0x70
	s_bfe_u32 s2, ttmp6, 0x40014
	s_lshr_b32 s6, ttmp7, 16
	s_add_co_i32 s2, s2, 1
	s_bfe_u32 s7, ttmp6, 0x40008
	s_mul_i32 s2, s6, s2
	s_getreg_b32 s3, hwreg(HW_REG_IB_STS2, 6, 4)
	s_add_co_i32 s7, s7, s2
	s_mov_b32 s35, 0
	s_wait_kmcnt 0x0
	s_lshr_b32 s2, s4, 16
	s_and_b32 s4, s4, 0xffff
	s_and_b32 s5, s5, 0xffff
	s_mul_i32 s2, s2, s4
	s_cmp_eq_u32 s3, 0
	s_mul_i32 s2, s2, s5
	s_cselect_b32 s26, s6, s7
	s_cmp_lg_u32 s2, 0x100
	s_cselect_b32 s2, -1, 0
	s_cmp_ge_u32 s26, s104
	s_cselect_b32 s4, -1, 0
	s_delay_alu instid0(SALU_CYCLE_1) | instskip(NEXT) | instid1(SALU_CYCLE_1)
	s_or_b32 s2, s2, s4
	s_and_b32 vcc_lo, exec_lo, s2
	s_cbranch_vccnz .LBB40_113
; %bb.1:
	s_clause 0x1
	s_load_b32 s4, s[0:1], 0x0
	s_load_b128 s[44:47], s[0:1], 0x58
	s_add_nc_u64 s[8:9], s[0:1], 0x78
	s_load_b32 s34, s[8:9], 0x0
	s_clause 0x3
	s_load_b64 s[20:21], s[0:1], 0x28
	s_load_b128 s[28:31], s[0:1], 0x38
	s_load_b64 s[6:7], s[0:1], 0x68
	s_load_b64 s[48:49], s[0:1], 0x48
	s_bfe_u32 s2, ttmp6, 0x4000c
	s_and_b32 s5, ttmp6, 15
	s_add_co_i32 s2, s2, 1
	v_and_b32_e32 v32, 0x3ff, v0
	s_wait_xcnt 0x0
	s_mul_i32 s8, ttmp9, s2
	v_bfe_u32 v1, v0, 10, 10
	s_add_co_i32 s8, s5, s8
	v_dual_mov_b32 v35, 0 :: v_dual_bitop2_b32 v34, 31, v0 bitop3:0x40
                                        ; implicit-def: $vgpr138 : SGPR spill to VGPR lane
	v_mov_b64_e32 v[48:49], 0
	s_delay_alu instid0(VALU_DEP_3) | instskip(SKIP_1) | instid1(VALU_DEP_4)
	v_lshl_add_u32 v4, v1, 6, v32
	v_cmp_eq_u32_e64 s2, 0, v1
	v_lshlrev_b32_e32 v5, 3, v34
	v_mul_u32_u24_e32 v14, 33, v34
	v_sub_nc_u64_e32 v[42:43], 0, v[34:35]
	s_wait_kmcnt 0x0
	s_ashr_i32 s5, s4, 31
	s_cmp_eq_u32 s3, 0
	v_lshrrev_b32_e32 v2, 5, v4
	s_cselect_b32 vcc_hi, ttmp9, s8
	s_lshr_b32 s3, s5, 26
	s_add_co_i32 s8, s34, -1
	s_add_co_i32 s3, s4, s3
	s_lshl_b32 s36, vcc_hi, 6
	s_and_not1_b32 s3, s3, 63
	v_dual_add_nc_u32 v36, s36, v32 :: v_dual_lshlrev_b32 v33, 3, v32
	s_sub_co_i32 s3, s4, s3
	s_cmp_eq_u32 vcc_hi, s8
	s_delay_alu instid0(VALU_DEP_1)
	v_dual_add_nc_u32 v3, 8, v2 :: v_dual_ashrrev_i32 v37, 31, v36
	s_cselect_b32 s50, s3, 0
	v_lshl_or_b32 v10, v34, 8, v5
	s_cmp_eq_u32 s50, 0
	v_and_b32_e32 v11, 0x7fe0, v4
	s_cselect_b32 s19, -1, 0
	s_cmp_lg_u32 s50, 0
	v_lshlrev_b32_e32 v9, 2, v2
	s_cselect_b32 s3, -1, 0
	s_sub_co_i32 s22, s50, 32
	s_mul_i32 s8, s4, vcc_hi
	v_cmp_gt_i32_e64 s23, s22, v2
	v_dual_add_nc_u32 v7, 16, v2 :: v_dual_add_nc_u32 v8, 24, v2
	v_dual_add_nc_u32 v90, v10, v11 :: v_dual_bitop2_b32 v10, 2, v9 bitop3:0x54
	s_delay_alu instid0(VALU_DEP_3)
	v_writelane_b32 v138, s23, 0
	v_cmp_gt_i32_e64 s23, s22, v3
	s_ashr_i32 s9, s8, 31
	v_mad_nc_u64_u32 v[38:39], s20, v2, v[34:35]
	s_lshl_b64 s[8:9], s[8:9], 3
	v_dual_add_nc_u32 v91, 8, v90 :: v_dual_bitop2_b32 v12, 1, v9 bitop3:0x54
	s_add_nc_u64 s[54:55], s[6:7], s[8:9]
	v_cmp_ge_u32_e64 s9, v9, v34
	v_cmp_eq_u32_e64 s10, v9, v34
	v_dual_add_nc_u32 v92, 16, v90 :: v_dual_bitop2_b32 v9, 3, v9 bitop3:0x54
	v_cmp_ge_u32_e64 s13, v10, v34
	v_cmp_eq_u32_e64 s14, v10, v34
	v_lshlrev_b32_e32 v10, 3, v2
	v_lshlrev_b32_e32 v93, 3, v14
	v_writelane_b32 v138, s23, 1
	v_cmp_gt_i32_e64 s23, s22, v7
	s_ashr_i32 s37, s36, 31
	v_add_nc_u32_e32 v88, 0x2380, v33
	v_add_nc_u32_e32 v96, v93, v10
	s_mul_u64 s[24:25], s[48:49], s[36:37]
	v_writelane_b32 v138, s23, 2
	s_sub_nc_u64 s[24:25], 0, s[24:25]
	s_mul_u64 s[52:53], s[34:35], s[4:5]
	v_mad_u32 v39, s21, v2, v39
	v_mul_u32_u24_e32 v6, 0x108, v2
	v_cmp_gt_i32_e64 s5, s50, v2
	v_cmp_gt_i32_e64 s6, s50, v3
	;; [unrolled: 1-line block ×3, first 2 shown]
	v_mul_u32_u24_e32 v13, 0x420, v2
	v_cmp_eq_u32_e64 s23, 1, v2
	v_mul_i32_i24_e32 v7, 0xffffffe8, v2
	v_mad_u32_u24 v97, v2, 24, v96
	v_writelane_b32 v138, s24, 3
	v_dual_mov_b32 v3, v35 :: v_dual_lshlrev_b32 v2, 2, v1
	v_cmp_le_i32_e32 vcc_lo, s50, v32
	v_mul_u64_e32 v[40:41], s[48:49], v[36:37]
	v_writelane_b32 v138, s25, 4
	s_mul_u64 s[56:57], s[20:21], s[36:37]
	v_mul_u64_e32 v[46:47], s[20:21], v[2:3]
	s_sub_nc_u64 s[38:39], 0, s[56:57]
	s_and_b32 s3, s3, vcc_lo
	v_writelane_b32 v138, s38, 5
	s_lshl_b64 s[58:59], s[20:21], 6
	s_lshl_b64 s[60:61], s[20:21], 7
	s_ashr_i32 s51, s50, 31
	s_lshl_b64 s[64:65], s[20:21], 5
	s_xor_b32 s27, s3, -1
	s_cmp_gt_i32 vcc_hi, 0
	s_mul_u64 s[62:63], s[20:21], 0xc0
	s_cselect_b32 s25, -1, 0
	v_writelane_b32 v138, s39, 6
	s_lshl_b64 s[74:75], s[20:21], 3
	s_lshl_b64 s[76:77], s[20:21], 9
	;; [unrolled: 1-line block ×3, first 2 shown]
	s_mul_u64 s[80:81], s[20:21], 24
	s_mul_u64 s[82:83], s[20:21], 0x90
	;; [unrolled: 1-line block ×10, first 2 shown]
	s_lshl_b64 s[100:101], s[20:21], 8
	s_mul_u64 s[102:103], s[20:21], 0x88
	s_lshl_b64 s[20:21], s[36:37], 3
	s_load_b256 s[36:43], s[0:1], 0x8
	v_cmp_gt_i32_e64 s8, s50, v8
	v_cmp_ge_u32_e64 s15, v9, v34
	v_cmp_eq_u32_e64 s16, v9, v34
	v_add_nc_u32_e32 v94, 24, v90
	v_cmp_gt_i32_e64 s22, s22, v8
	v_dual_lshrrev_b32 v8, 4, v4 :: v_dual_bitop2_b32 v9, 32, v34 bitop3:0x54
	v_cmp_ge_u32_e64 s11, v12, v34
	v_cmp_eq_u32_e64 s12, v12, v34
	v_mul_u32_u24_e32 v12, 0x108, v12
	s_delay_alu instid0(VALU_DEP_4)
	v_lshlrev_b32_e32 v2, 5, v8
	v_cmp_gt_i32_e64 s18, s50, v9
	v_and_b32_e32 v9, 15, v0
	v_dual_add_nc_u32 v106, v5, v6 :: v_dual_bitop2_b32 v0, 48, v0 bitop3:0x40
	v_add_nc_u32_e32 v95, 0x2380, v11
	v_or_b32_e32 v3, 0x78, v33
	s_delay_alu instid0(VALU_DEP_4) | instskip(NEXT) | instid1(VALU_DEP_4)
	v_mad_u32_u24 v101, 0x218, v9, v2
	v_dual_lshlrev_b32 v0, 3, v0 :: v_dual_add_nc_u32 v107, v5, v13
	v_mul_i32_i24_e32 v2, 0xffffffe8, v8
	v_sub_nc_u64_e32 v[44:45], 0, v[38:39]
	v_cmp_gt_i32_e64 s4, s50, v34
	v_mad_u32_u24 v89, 0x108, v34, v5
	v_cmp_gt_u32_e64 s17, 32, v4
	v_add_nc_u32_e32 v98, 0x2180, v33
	v_lshl_add_u32 v99, v1, 5, 0x2180
	v_mad_u32_u24 v100, 0x860, v1, v33
	v_cmp_gt_u32_e64 s24, 64, v4
	v_mad_u32_u24 v102, 0x218, v9, v0
	v_mad_u32_u24 v103, 0x218, v9, v3
	;; [unrolled: 1-line block ×3, first 2 shown]
	v_add_nc_u32_e32 v105, 0x2380, v10
	v_dual_add_nc_u32 v108, v5, v12 :: v_dual_add_nc_u32 v109, v95, v7
	v_add_nc_u32_e32 v110, v101, v2
	v_lshlrev_b32_e32 v34, 3, v34
	s_sub_nc_u64 s[66:67], 0, s[64:65]
	s_and_b32 s33, s2, s27
	s_sub_nc_u64 s[72:73], 0, s[50:51]
	s_lshl_b64 s[30:31], s[30:31], 3
	s_wait_kmcnt 0x0
	s_lshl_b64 s[42:43], s[42:43], 3
	s_mov_b64 s[70:71], 0xfffffffffffffef8
	s_branch .LBB40_4
.LBB40_2:                               ;   in Loop: Header=BB40_4 Depth=1
	s_wait_xcnt 0x0
	s_or_b32 exec_lo, exec_lo, s27
.LBB40_3:                               ;   in Loop: Header=BB40_4 Depth=1
	s_add_co_i32 s26, s26, 0x10000
	s_delay_alu instid0(SALU_CYCLE_1)
	s_cmp_lt_u32 s26, s104
	s_cbranch_scc0 .LBB40_113
.LBB40_4:                               ; =>This Loop Header: Depth=1
                                        ;     Child Loop BB40_107 Depth 2
	s_mov_b32 s27, s35
	s_delay_alu instid0(SALU_CYCLE_1) | instskip(NEXT) | instid1(SALU_CYCLE_1)
	s_mul_u64 s[0:1], s[38:39], s[26:27]
	s_lshl_b64 s[0:1], s[0:1], 3
	s_delay_alu instid0(SALU_CYCLE_1)
	s_add_nc_u64 s[0:1], s[36:37], s[0:1]
	global_load_b64 v[0:1], v35, s[0:1]
	s_wait_xcnt 0x0
	s_mov_b32 s0, -1
	s_wait_loadcnt 0x0
	v_or_b32_e32 v0, v0, v1
	s_delay_alu instid0(VALU_DEP_1) | instskip(NEXT) | instid1(VALU_DEP_1)
	v_and_b32_e32 v0, 0x7fffffff, v0
	v_cmp_ne_u32_e32 vcc_lo, 0, v0
	s_cbranch_vccz .LBB40_6
; %bb.5:                                ;   in Loop: Header=BB40_4 Depth=1
	s_and_not1_b32 vcc_lo, exec_lo, s0
	s_cbranch_vccnz .LBB40_3
	s_branch .LBB40_7
.LBB40_6:                               ;   in Loop: Header=BB40_4 Depth=1
	s_mul_u64 s[0:1], s[46:47], s[26:27]
	s_delay_alu instid0(SALU_CYCLE_1) | instskip(NEXT) | instid1(SALU_CYCLE_1)
	s_lshl_b64 s[0:1], s[0:1], 3
	s_add_nc_u64 s[0:1], s[44:45], s[0:1]
	global_load_b64 v[0:1], v35, s[0:1]
	s_wait_loadcnt 0x0
	v_cmp_eq_f32_e32 vcc_lo, 1.0, v0
	s_wait_xcnt 0x0
	v_cmp_eq_f32_e64 s0, 0, v1
	s_and_b32 s0, vcc_lo, s0
	s_delay_alu instid0(SALU_CYCLE_1)
	s_and_not1_b32 vcc_lo, exec_lo, s0
	s_cbranch_execnz .LBB40_3
.LBB40_7:                               ;   in Loop: Header=BB40_4 Depth=1
	s_lshl_b64 s[0:1], s[26:27], 3
	s_delay_alu instid0(SALU_CYCLE_1)
	s_add_nc_u64 s[68:69], s[28:29], s[0:1]
	s_add_nc_u64 s[0:1], s[40:41], s[0:1]
	s_clause 0x1
	global_load_b64 v[2:3], v35, s[68:69]
	global_load_b64 v[0:1], v35, s[0:1]
	s_wait_loadcnt 0x1
	v_add_nc_u64_e32 v[2:3], s[30:31], v[2:3]
	s_delay_alu instid0(VALU_DEP_1)
	v_lshl_add_u64 v[16:17], v[40:41], 3, v[2:3]
	s_wait_xcnt 0x0
	s_and_saveexec_b32 s0, s2
	s_cbranch_execz .LBB40_12
; %bb.8:                                ;   in Loop: Header=BB40_4 Depth=1
	s_and_saveexec_b32 s1, s3
	s_delay_alu instid0(SALU_CYCLE_1)
	s_xor_b32 s1, exec_lo, s1
; %bb.9:                                ;   in Loop: Header=BB40_4 Depth=1
	ds_store_b64 v88, v[48:49]
; %bb.10:                               ;   in Loop: Header=BB40_4 Depth=1
	s_and_not1_saveexec_b32 s1, s1
	s_cbranch_execz .LBB40_12
; %bb.11:                               ;   in Loop: Header=BB40_4 Depth=1
	flat_load_b64 v[2:3], v[16:17]
	s_wait_loadcnt_dscnt 0x0
	ds_store_b64 v88, v[2:3]
.LBB40_12:                              ;   in Loop: Header=BB40_4 Depth=1
	s_wait_xcnt 0x0
	s_or_b32 exec_lo, exec_lo, s0
	s_wait_loadcnt 0x0
	v_add_nc_u64_e32 v[0:1], s[42:43], v[0:1]
	s_and_not1_b32 vcc_lo, exec_lo, s19
	s_mov_b32 s0, -1
	s_delay_alu instid0(VALU_DEP_1) | instskip(NEXT) | instid1(VALU_DEP_1)
	v_add_nc_u64_e32 v[0:1], s[20:21], v[0:1]
	v_lshl_add_u64 v[0:1], v[38:39], 3, v[0:1]
	s_delay_alu instid0(VALU_DEP_1)
	v_lshl_add_u64 v[0:1], s[56:57], 3, v[0:1]
	s_cbranch_vccnz .LBB40_14
; %bb.13:                               ;   in Loop: Header=BB40_4 Depth=1
	s_delay_alu instid0(VALU_DEP_1) | instskip(SKIP_1) | instid1(VALU_DEP_1)
	v_add_nc_u64_e32 v[2:3], s[58:59], v[0:1]
	s_mov_b32 s0, 0
	v_add_nc_u64_e32 v[4:5], s[58:59], v[2:3]
	s_delay_alu instid0(VALU_DEP_1)
	v_add_nc_u64_e32 v[6:7], s[58:59], v[4:5]
	s_clause 0x3
	flat_load_b64 v[8:9], v[0:1]
	flat_load_b64 v[2:3], v[2:3]
	;; [unrolled: 1-line block ×4, first 2 shown]
	s_wait_loadcnt_dscnt 0x303
	ds_store_b64 v106, v[8:9]
	s_wait_loadcnt_dscnt 0x203
	ds_store_b64 v106, v[2:3] offset:2112
	s_wait_loadcnt_dscnt 0x103
	ds_store_b64 v106, v[4:5] offset:4224
	;; [unrolled: 2-line block ×3, first 2 shown]
.LBB40_14:                              ;   in Loop: Header=BB40_4 Depth=1
	s_and_not1_b32 vcc_lo, exec_lo, s0
	s_cbranch_vccnz .LBB40_24
; %bb.15:                               ;   in Loop: Header=BB40_4 Depth=1
	s_wait_xcnt 0x2
	v_lshl_add_u64 v[2:3], v[42:43], 3, v[0:1]
	s_wait_xcnt 0x0
	v_dual_mov_b32 v6, 0 :: v_dual_mov_b32 v4, 0
	v_mov_b32_e32 v5, 0
	s_delay_alu instid0(VALU_DEP_3) | instskip(NEXT) | instid1(VALU_DEP_1)
	v_lshl_add_u64 v[2:3], s[50:51], 3, v[2:3]
	v_add_nc_u64_e32 v[2:3], -8, v[2:3]
	s_delay_alu instid0(VALU_DEP_1)
	v_dual_cndmask_b32 v3, v3, v1, s4 :: v_dual_cndmask_b32 v2, v2, v0, s4
	s_and_saveexec_b32 s0, s5
	s_cbranch_execz .LBB40_17
; %bb.16:                               ;   in Loop: Header=BB40_4 Depth=1
	flat_load_b64 v[4:5], v[2:3]
.LBB40_17:                              ;   in Loop: Header=BB40_4 Depth=1
	s_wait_xcnt 0x0
	s_or_b32 exec_lo, exec_lo, s0
	v_mov_b32_e32 v7, 0
	s_wait_loadcnt_dscnt 0x0
	ds_store_b64 v106, v[4:5]
	s_and_saveexec_b32 s0, s6
	s_cbranch_execz .LBB40_19
; %bb.18:                               ;   in Loop: Header=BB40_4 Depth=1
	v_add_nc_u64_e32 v[4:5], s[58:59], v[2:3]
	flat_load_b64 v[6:7], v[4:5]
.LBB40_19:                              ;   in Loop: Header=BB40_4 Depth=1
	s_wait_xcnt 0x0
	s_or_b32 exec_lo, exec_lo, s0
	v_dual_mov_b32 v4, 0 :: v_dual_mov_b32 v8, 0
	v_mov_b32_e32 v9, 0
	s_wait_loadcnt_dscnt 0x0
	ds_store_b64 v106, v[6:7] offset:2112
	s_and_saveexec_b32 s0, s7
	s_cbranch_execz .LBB40_21
; %bb.20:                               ;   in Loop: Header=BB40_4 Depth=1
	v_add_nc_u64_e32 v[6:7], s[60:61], v[2:3]
	flat_load_b64 v[8:9], v[6:7]
.LBB40_21:                              ;   in Loop: Header=BB40_4 Depth=1
	s_wait_xcnt 0x0
	s_or_b32 exec_lo, exec_lo, s0
	v_mov_b32_e32 v5, 0
	s_wait_loadcnt_dscnt 0x0
	ds_store_b64 v106, v[8:9] offset:4224
	s_and_saveexec_b32 s0, s8
	s_cbranch_execz .LBB40_23
; %bb.22:                               ;   in Loop: Header=BB40_4 Depth=1
	v_add_nc_u64_e32 v[4:5], s[62:63], v[2:3]
	flat_load_b64 v[4:5], v[4:5]
.LBB40_23:                              ;   in Loop: Header=BB40_4 Depth=1
	s_wait_xcnt 0x0
	s_or_b32 exec_lo, exec_lo, s0
	v_add_nc_u64_e32 v[2:3], v[2:3], v[34:35]
	s_wait_loadcnt_dscnt 0x0
	ds_store_b64 v106, v[4:5] offset:6336
	v_lshl_add_u64 v[2:3], s[72:73], 3, v[2:3]
	s_delay_alu instid0(VALU_DEP_1) | instskip(NEXT) | instid1(VALU_DEP_1)
	v_add_nc_u64_e32 v[2:3], 8, v[2:3]
	v_dual_cndmask_b32 v1, v3, v1, s4 :: v_dual_cndmask_b32 v0, v2, v0, s4
.LBB40_24:                              ;   in Loop: Header=BB40_4 Depth=1
	s_mov_b32 s0, 0
	s_wait_dscnt 0x0
	s_barrier_signal -1
	s_barrier_wait -1
	s_wait_xcnt 0x0
	s_and_saveexec_b32 s1, s9
	s_delay_alu instid0(SALU_CYCLE_1)
	s_xor_b32 s1, exec_lo, s1
; %bb.25:                               ;   in Loop: Header=BB40_4 Depth=1
	s_and_b32 s0, s10, exec_lo
; %bb.26:                               ;   in Loop: Header=BB40_4 Depth=1
	s_or_saveexec_b32 s1, s1
	v_dual_mov_b32 v2, 0 :: v_dual_mov_b32 v3, v89
	s_xor_b32 exec_lo, exec_lo, s1
	s_cbranch_execz .LBB40_28
; %bb.27:                               ;   in Loop: Header=BB40_4 Depth=1
	ds_load_b64 v[4:5], v107
	v_mov_b32_e32 v3, v90
	s_or_b32 s0, s0, exec_lo
	s_wait_dscnt 0x0
	v_xor_b32_e32 v2, 0x80000000, v5
	ds_store_b32 v90, v4
.LBB40_28:                              ;   in Loop: Header=BB40_4 Depth=1
	s_or_b32 exec_lo, exec_lo, s1
	s_and_saveexec_b32 s1, s0
; %bb.29:                               ;   in Loop: Header=BB40_4 Depth=1
	ds_store_b32 v3, v2 offset:4
; %bb.30:                               ;   in Loop: Header=BB40_4 Depth=1
	s_or_b32 exec_lo, exec_lo, s1
	s_mov_b32 s0, 0
	s_and_saveexec_b32 s1, s11
	s_delay_alu instid0(SALU_CYCLE_1)
	s_xor_b32 s1, exec_lo, s1
; %bb.31:                               ;   in Loop: Header=BB40_4 Depth=1
	s_and_b32 s0, s12, exec_lo
; %bb.32:                               ;   in Loop: Header=BB40_4 Depth=1
	s_or_saveexec_b32 s1, s1
	v_dual_mov_b32 v2, 0 :: v_dual_mov_b32 v3, v89
	s_xor_b32 exec_lo, exec_lo, s1
	s_cbranch_execz .LBB40_34
; %bb.33:                               ;   in Loop: Header=BB40_4 Depth=1
	ds_load_b64 v[4:5], v108
	v_mov_b32_e32 v3, v91
	s_or_b32 s0, s0, exec_lo
	s_wait_dscnt 0x0
	v_xor_b32_e32 v2, 0x80000000, v5
	ds_store_b32 v91, v4
.LBB40_34:                              ;   in Loop: Header=BB40_4 Depth=1
	s_or_b32 exec_lo, exec_lo, s1
	s_and_saveexec_b32 s1, s0
; %bb.35:                               ;   in Loop: Header=BB40_4 Depth=1
	ds_store_b32 v3, v2 offset:4
; %bb.36:                               ;   in Loop: Header=BB40_4 Depth=1
	s_or_b32 exec_lo, exec_lo, s1
	s_mov_b32 s0, 0
	s_and_saveexec_b32 s1, s13
	s_delay_alu instid0(SALU_CYCLE_1)
	s_xor_b32 s1, exec_lo, s1
; %bb.37:                               ;   in Loop: Header=BB40_4 Depth=1
	s_and_b32 s0, s14, exec_lo
; %bb.38:                               ;   in Loop: Header=BB40_4 Depth=1
	s_or_saveexec_b32 s1, s1
	v_dual_mov_b32 v2, 0 :: v_dual_mov_b32 v3, v89
	s_xor_b32 exec_lo, exec_lo, s1
	s_cbranch_execz .LBB40_40
; %bb.39:                               ;   in Loop: Header=BB40_4 Depth=1
	ds_load_b64 v[4:5], v108 offset:264
	v_mov_b32_e32 v3, v92
	s_or_b32 s0, s0, exec_lo
	s_wait_dscnt 0x0
	v_xor_b32_e32 v2, 0x80000000, v5
	ds_store_b32 v92, v4
.LBB40_40:                              ;   in Loop: Header=BB40_4 Depth=1
	s_or_b32 exec_lo, exec_lo, s1
	s_and_saveexec_b32 s1, s0
; %bb.41:                               ;   in Loop: Header=BB40_4 Depth=1
	ds_store_b32 v3, v2 offset:4
; %bb.42:                               ;   in Loop: Header=BB40_4 Depth=1
	s_or_b32 exec_lo, exec_lo, s1
	s_mov_b32 s0, 0
	s_and_saveexec_b32 s1, s15
	s_delay_alu instid0(SALU_CYCLE_1)
	s_xor_b32 s1, exec_lo, s1
; %bb.43:                               ;   in Loop: Header=BB40_4 Depth=1
	s_and_b32 s0, s16, exec_lo
; %bb.44:                               ;   in Loop: Header=BB40_4 Depth=1
	s_or_saveexec_b32 s1, s1
	v_dual_mov_b32 v2, 0 :: v_dual_mov_b32 v3, v89
	s_xor_b32 exec_lo, exec_lo, s1
	s_cbranch_execz .LBB40_46
; %bb.45:                               ;   in Loop: Header=BB40_4 Depth=1
	ds_load_b64 v[4:5], v108 offset:528
	v_mov_b32_e32 v3, v94
	s_or_b32 s0, s0, exec_lo
	s_wait_dscnt 0x0
	v_xor_b32_e32 v2, 0x80000000, v5
	ds_store_b32 v94, v4
.LBB40_46:                              ;   in Loop: Header=BB40_4 Depth=1
	s_or_b32 exec_lo, exec_lo, s1
	s_and_saveexec_b32 s1, s0
; %bb.47:                               ;   in Loop: Header=BB40_4 Depth=1
	ds_store_b32 v3, v2 offset:4
; %bb.48:                               ;   in Loop: Header=BB40_4 Depth=1
	s_or_b32 exec_lo, exec_lo, s1
	s_wait_dscnt 0x0
	s_barrier_signal -1
	s_barrier_wait -1
	ds_load_b64 v[14:15], v107
	ds_load_b128 v[2:5], v95
	ds_load_2addr_b64 v[6:9], v108 offset1:33
	ds_load_b128 v[10:13], v95 offset:16
	ds_load_b64 v[18:19], v108 offset:528
	v_mov_b64_e32 v[50:51], 0
	s_wait_dscnt 0x0
	s_barrier_signal -1
	s_barrier_wait -1
	v_pk_mul_f32 v[20:21], v[2:3], v[14:15] op_sel:[1,1] op_sel_hi:[0,1]
	v_dual_mov_b32 v22, v5 :: v_dual_mov_b32 v23, v4
	v_pk_mul_f32 v[24:25], v[10:11], v[8:9] op_sel:[1,1] op_sel_hi:[0,1]
	v_dual_mov_b32 v28, v13 :: v_dual_mov_b32 v29, v12
	s_delay_alu instid0(VALU_DEP_4) | instskip(NEXT) | instid1(VALU_DEP_4)
	v_pk_fma_f32 v[26:27], v[2:3], v[14:15], v[20:21] op_sel_hi:[1,0,1]
	v_pk_mul_f32 v[22:23], v[22:23], v[6:7] op_sel:[0,1]
	v_pk_fma_f32 v[2:3], v[2:3], v[14:15], v[20:21] neg_lo:[0,0,1] neg_hi:[0,0,1]
	v_pk_fma_f32 v[20:21], v[10:11], v[8:9], v[24:25] op_sel_hi:[1,0,1]
	s_delay_alu instid0(VALU_DEP_3)
	v_pk_fma_f32 v[14:15], v[4:5], v[6:7], v[22:23] op_sel_hi:[1,0,1]
	v_mov_b32_e32 v3, v27
	v_pk_fma_f32 v[4:5], v[4:5], v[6:7], v[22:23] neg_lo:[0,0,1] neg_hi:[0,0,1]
	v_pk_mul_f32 v[26:27], v[28:29], v[18:19] op_sel:[0,1]
	v_pk_fma_f32 v[6:7], v[10:11], v[8:9], v[24:25] neg_lo:[0,0,1] neg_hi:[0,0,1]
	v_mov_b32_e32 v5, v15
	v_pk_add_f32 v[2:3], v[2:3], 0 op_sel_hi:[1,0]
	s_delay_alu instid0(VALU_DEP_4) | instskip(SKIP_1) | instid1(VALU_DEP_3)
	v_pk_fma_f32 v[8:9], v[12:13], v[18:19], v[26:27] op_sel_hi:[1,0,1]
	v_mov_b32_e32 v7, v21
	v_pk_add_f32 v[2:3], v[2:3], v[4:5]
	v_pk_fma_f32 v[4:5], v[12:13], v[18:19], v[26:27] neg_lo:[0,0,1] neg_hi:[0,0,1]
	s_delay_alu instid0(VALU_DEP_4) | instskip(NEXT) | instid1(VALU_DEP_3)
	v_mov_b32_e32 v5, v9
	v_pk_add_f32 v[2:3], v[2:3], v[6:7]
	s_delay_alu instid0(VALU_DEP_1)
	v_pk_add_f32 v[2:3], v[2:3], v[4:5]
	ds_store_b64 v96, v[2:3]
	s_wait_dscnt 0x0
	s_barrier_signal -1
	s_barrier_wait -1
	s_and_saveexec_b32 s0, s17
	s_cbranch_execz .LBB40_50
; %bb.49:                               ;   in Loop: Header=BB40_4 Depth=1
	ds_load_2addr_b64 v[2:5], v93 offset1:7
	ds_load_2addr_b64 v[6:9], v93 offset0:1 offset1:2
	ds_load_2addr_b64 v[10:13], v93 offset0:3 offset1:4
	;; [unrolled: 1-line block ×3, first 2 shown]
	s_wait_dscnt 0x2
	v_dual_add_f32 v2, v6, v2 :: v_dual_add_f32 v3, v7, v3
	s_delay_alu instid0(VALU_DEP_1) | instskip(SKIP_1) | instid1(VALU_DEP_1)
	v_dual_add_f32 v2, v8, v2 :: v_dual_add_f32 v3, v9, v3
	s_wait_dscnt 0x1
	v_dual_add_f32 v2, v2, v10 :: v_dual_add_f32 v3, v3, v11
	s_delay_alu instid0(VALU_DEP_1) | instskip(SKIP_1) | instid1(VALU_DEP_1)
	v_dual_add_f32 v2, v2, v12 :: v_dual_add_f32 v3, v3, v13
	s_wait_dscnt 0x0
	v_dual_add_f32 v2, v2, v18 :: v_dual_add_f32 v3, v3, v19
	s_delay_alu instid0(VALU_DEP_1) | instskip(NEXT) | instid1(VALU_DEP_1)
	v_dual_add_f32 v2, v2, v20 :: v_dual_add_f32 v3, v3, v21
	v_pk_add_f32 v[50:51], v[2:3], v[4:5]
.LBB40_50:                              ;   in Loop: Header=BB40_4 Depth=1
	s_or_b32 exec_lo, exec_lo, s0
	v_lshl_add_u64 v[2:3], s[64:65], 3, v[0:1]
	s_and_not1_b32 vcc_lo, exec_lo, s19
	s_mov_b32 s0, -1
	s_barrier_signal -1
	s_barrier_wait -1
	s_cbranch_vccnz .LBB40_52
; %bb.51:                               ;   in Loop: Header=BB40_4 Depth=1
	v_add_nc_u64_e32 v[0:1], s[58:59], v[2:3]
	s_mov_b32 s0, 0
	s_delay_alu instid0(VALU_DEP_1) | instskip(NEXT) | instid1(VALU_DEP_1)
	v_add_nc_u64_e32 v[4:5], s[58:59], v[0:1]
	v_add_nc_u64_e32 v[6:7], s[58:59], v[4:5]
	s_clause 0x3
	flat_load_b64 v[8:9], v[2:3] offset:256
	flat_load_b64 v[0:1], v[0:1] offset:256
	;; [unrolled: 1-line block ×4, first 2 shown]
	s_wait_loadcnt_dscnt 0x303
	ds_store_b64 v106, v[8:9]
	s_wait_loadcnt_dscnt 0x203
	ds_store_b64 v106, v[0:1] offset:2112
	s_wait_loadcnt_dscnt 0x103
	ds_store_b64 v106, v[4:5] offset:4224
	;; [unrolled: 2-line block ×3, first 2 shown]
.LBB40_52:                              ;   in Loop: Header=BB40_4 Depth=1
	s_wait_xcnt 0x2
	v_add_nc_u64_e32 v[0:1], 0x100, v[2:3]
	s_and_not1_b32 vcc_lo, exec_lo, s0
	s_cbranch_vccnz .LBB40_62
; %bb.53:                               ;   in Loop: Header=BB40_4 Depth=1
	v_lshl_add_u64 v[2:3], v[42:43], 3, v[2:3]
	s_wait_xcnt 0x0
	v_dual_mov_b32 v6, 0 :: v_dual_mov_b32 v4, 0
	v_mov_b32_e32 v5, 0
	s_delay_alu instid0(VALU_DEP_3) | instskip(NEXT) | instid1(VALU_DEP_1)
	v_lshl_add_u64 v[2:3], s[50:51], 3, v[2:3]
	v_add_nc_u64_e32 v[2:3], -8, v[2:3]
	s_delay_alu instid0(VALU_DEP_1) | instskip(SKIP_3) | instid1(SALU_CYCLE_1)
	v_dual_cndmask_b32 v3, v3, v1, s18 :: v_dual_cndmask_b32 v2, v2, v0, s18
	s_mov_b32 s0, exec_lo
	v_readlane_b32 s1, v138, 0
	s_and_b32 s1, s0, s1
	s_mov_b32 exec_lo, s1
	s_cbranch_execz .LBB40_55
; %bb.54:                               ;   in Loop: Header=BB40_4 Depth=1
	flat_load_b64 v[4:5], v[2:3]
.LBB40_55:                              ;   in Loop: Header=BB40_4 Depth=1
	s_wait_xcnt 0x0
	s_or_b32 exec_lo, exec_lo, s0
	v_mov_b32_e32 v7, 0
	s_wait_loadcnt_dscnt 0x0
	ds_store_b64 v106, v[4:5]
	s_mov_b32 s0, exec_lo
	v_readlane_b32 s1, v138, 1
	s_and_b32 s1, s0, s1
	s_delay_alu instid0(SALU_CYCLE_1)
	s_mov_b32 exec_lo, s1
	s_cbranch_execz .LBB40_57
; %bb.56:                               ;   in Loop: Header=BB40_4 Depth=1
	v_add_nc_u64_e32 v[4:5], s[58:59], v[2:3]
	flat_load_b64 v[6:7], v[4:5]
.LBB40_57:                              ;   in Loop: Header=BB40_4 Depth=1
	s_wait_xcnt 0x0
	s_or_b32 exec_lo, exec_lo, s0
	v_dual_mov_b32 v4, 0 :: v_dual_mov_b32 v8, 0
	v_mov_b32_e32 v9, 0
	s_wait_loadcnt_dscnt 0x0
	ds_store_b64 v106, v[6:7] offset:2112
	s_mov_b32 s0, exec_lo
	v_readlane_b32 s1, v138, 2
	s_and_b32 s1, s0, s1
	s_delay_alu instid0(SALU_CYCLE_1)
	s_mov_b32 exec_lo, s1
	s_cbranch_execz .LBB40_59
; %bb.58:                               ;   in Loop: Header=BB40_4 Depth=1
	v_add_nc_u64_e32 v[6:7], s[60:61], v[2:3]
	flat_load_b64 v[8:9], v[6:7]
.LBB40_59:                              ;   in Loop: Header=BB40_4 Depth=1
	s_wait_xcnt 0x0
	s_or_b32 exec_lo, exec_lo, s0
	v_mov_b32_e32 v5, 0
	s_wait_loadcnt_dscnt 0x0
	ds_store_b64 v106, v[8:9] offset:4224
	s_and_saveexec_b32 s0, s22
	s_cbranch_execz .LBB40_61
; %bb.60:                               ;   in Loop: Header=BB40_4 Depth=1
	v_add_nc_u64_e32 v[4:5], s[62:63], v[2:3]
	flat_load_b64 v[4:5], v[4:5]
.LBB40_61:                              ;   in Loop: Header=BB40_4 Depth=1
	s_wait_xcnt 0x0
	s_or_b32 exec_lo, exec_lo, s0
	v_add_nc_u64_e32 v[2:3], v[2:3], v[34:35]
	s_wait_loadcnt_dscnt 0x0
	ds_store_b64 v106, v[4:5] offset:6336
	v_lshl_add_u64 v[2:3], s[72:73], 3, v[2:3]
	s_delay_alu instid0(VALU_DEP_1) | instskip(NEXT) | instid1(VALU_DEP_1)
	v_add_nc_u64_e32 v[2:3], 0x108, v[2:3]
	v_dual_cndmask_b32 v1, v3, v1, s18 :: v_dual_cndmask_b32 v0, v2, v0, s18
.LBB40_62:                              ;   in Loop: Header=BB40_4 Depth=1
	s_mov_b32 s0, 0
	s_wait_dscnt 0x0
	s_barrier_signal -1
	s_barrier_wait -1
	s_wait_xcnt 0x0
	s_and_saveexec_b32 s1, s9
	s_delay_alu instid0(SALU_CYCLE_1)
	s_xor_b32 s1, exec_lo, s1
; %bb.63:                               ;   in Loop: Header=BB40_4 Depth=1
	s_and_b32 s0, s10, exec_lo
; %bb.64:                               ;   in Loop: Header=BB40_4 Depth=1
	s_or_saveexec_b32 s1, s1
	v_dual_mov_b32 v2, 0 :: v_dual_mov_b32 v3, v89
	s_xor_b32 exec_lo, exec_lo, s1
	s_cbranch_execz .LBB40_66
; %bb.65:                               ;   in Loop: Header=BB40_4 Depth=1
	ds_load_b64 v[4:5], v107
	v_mov_b32_e32 v3, v90
	s_or_b32 s0, s0, exec_lo
	s_wait_dscnt 0x0
	v_xor_b32_e32 v2, 0x80000000, v5
	ds_store_b32 v90, v4
.LBB40_66:                              ;   in Loop: Header=BB40_4 Depth=1
	s_or_b32 exec_lo, exec_lo, s1
	s_and_saveexec_b32 s1, s0
; %bb.67:                               ;   in Loop: Header=BB40_4 Depth=1
	ds_store_b32 v3, v2 offset:4
; %bb.68:                               ;   in Loop: Header=BB40_4 Depth=1
	s_or_b32 exec_lo, exec_lo, s1
	s_mov_b32 s0, 0
	s_and_saveexec_b32 s1, s11
	s_delay_alu instid0(SALU_CYCLE_1)
	s_xor_b32 s1, exec_lo, s1
; %bb.69:                               ;   in Loop: Header=BB40_4 Depth=1
	s_and_b32 s0, s12, exec_lo
; %bb.70:                               ;   in Loop: Header=BB40_4 Depth=1
	s_or_saveexec_b32 s1, s1
	v_dual_mov_b32 v2, 0 :: v_dual_mov_b32 v3, v89
	s_xor_b32 exec_lo, exec_lo, s1
	s_cbranch_execz .LBB40_72
; %bb.71:                               ;   in Loop: Header=BB40_4 Depth=1
	ds_load_b64 v[4:5], v108
	v_mov_b32_e32 v3, v91
	s_or_b32 s0, s0, exec_lo
	s_wait_dscnt 0x0
	v_xor_b32_e32 v2, 0x80000000, v5
	ds_store_b32 v91, v4
.LBB40_72:                              ;   in Loop: Header=BB40_4 Depth=1
	s_or_b32 exec_lo, exec_lo, s1
	s_and_saveexec_b32 s1, s0
; %bb.73:                               ;   in Loop: Header=BB40_4 Depth=1
	ds_store_b32 v3, v2 offset:4
; %bb.74:                               ;   in Loop: Header=BB40_4 Depth=1
	s_or_b32 exec_lo, exec_lo, s1
	s_mov_b32 s0, 0
	s_and_saveexec_b32 s1, s13
	s_delay_alu instid0(SALU_CYCLE_1)
	s_xor_b32 s1, exec_lo, s1
; %bb.75:                               ;   in Loop: Header=BB40_4 Depth=1
	s_and_b32 s0, s14, exec_lo
; %bb.76:                               ;   in Loop: Header=BB40_4 Depth=1
	s_or_saveexec_b32 s1, s1
	v_dual_mov_b32 v2, 0 :: v_dual_mov_b32 v3, v89
	s_xor_b32 exec_lo, exec_lo, s1
	s_cbranch_execz .LBB40_78
; %bb.77:                               ;   in Loop: Header=BB40_4 Depth=1
	ds_load_b64 v[4:5], v108 offset:264
	v_mov_b32_e32 v3, v92
	s_or_b32 s0, s0, exec_lo
	s_wait_dscnt 0x0
	v_xor_b32_e32 v2, 0x80000000, v5
	ds_store_b32 v92, v4
.LBB40_78:                              ;   in Loop: Header=BB40_4 Depth=1
	s_or_b32 exec_lo, exec_lo, s1
	s_and_saveexec_b32 s1, s0
; %bb.79:                               ;   in Loop: Header=BB40_4 Depth=1
	ds_store_b32 v3, v2 offset:4
; %bb.80:                               ;   in Loop: Header=BB40_4 Depth=1
	s_or_b32 exec_lo, exec_lo, s1
	s_mov_b32 s0, 0
	s_and_saveexec_b32 s1, s15
	s_delay_alu instid0(SALU_CYCLE_1)
	s_xor_b32 s1, exec_lo, s1
; %bb.81:                               ;   in Loop: Header=BB40_4 Depth=1
	s_and_b32 s0, s16, exec_lo
; %bb.82:                               ;   in Loop: Header=BB40_4 Depth=1
	s_or_saveexec_b32 s1, s1
	v_dual_mov_b32 v2, 0 :: v_dual_mov_b32 v3, v89
	s_xor_b32 exec_lo, exec_lo, s1
	s_cbranch_execz .LBB40_84
; %bb.83:                               ;   in Loop: Header=BB40_4 Depth=1
	ds_load_b64 v[4:5], v108 offset:528
	v_mov_b32_e32 v3, v94
	s_or_b32 s0, s0, exec_lo
	s_wait_dscnt 0x0
	v_xor_b32_e32 v2, 0x80000000, v5
	ds_store_b32 v94, v4
.LBB40_84:                              ;   in Loop: Header=BB40_4 Depth=1
	s_or_b32 exec_lo, exec_lo, s1
	s_and_saveexec_b32 s1, s0
; %bb.85:                               ;   in Loop: Header=BB40_4 Depth=1
	ds_store_b32 v3, v2 offset:4
; %bb.86:                               ;   in Loop: Header=BB40_4 Depth=1
	s_or_b32 exec_lo, exec_lo, s1
	s_wait_dscnt 0x0
	s_barrier_signal -1
	s_barrier_wait -1
	ds_load_b64 v[14:15], v107
	ds_load_b128 v[2:5], v95 offset:256
	ds_load_2addr_b64 v[6:9], v108 offset1:33
	ds_load_b128 v[10:13], v95 offset:272
	ds_load_b64 v[18:19], v108 offset:528
	s_wait_dscnt 0x0
	s_barrier_signal -1
	s_barrier_wait -1
	v_pk_mul_f32 v[20:21], v[2:3], v[14:15] op_sel:[1,1] op_sel_hi:[0,1]
	v_dual_mov_b32 v22, v5 :: v_dual_mov_b32 v23, v4
	v_pk_mul_f32 v[24:25], v[10:11], v[8:9] op_sel:[1,1] op_sel_hi:[0,1]
	v_dual_mov_b32 v28, v13 :: v_dual_mov_b32 v29, v12
	s_delay_alu instid0(VALU_DEP_4) | instskip(NEXT) | instid1(VALU_DEP_4)
	v_pk_fma_f32 v[26:27], v[2:3], v[14:15], v[20:21] op_sel_hi:[1,0,1]
	v_pk_mul_f32 v[22:23], v[22:23], v[6:7] op_sel:[0,1]
	v_pk_fma_f32 v[2:3], v[2:3], v[14:15], v[20:21] neg_lo:[0,0,1] neg_hi:[0,0,1]
	v_pk_fma_f32 v[20:21], v[10:11], v[8:9], v[24:25] op_sel_hi:[1,0,1]
	s_delay_alu instid0(VALU_DEP_3)
	v_pk_fma_f32 v[14:15], v[4:5], v[6:7], v[22:23] op_sel_hi:[1,0,1]
	v_mov_b32_e32 v3, v27
	v_pk_fma_f32 v[4:5], v[4:5], v[6:7], v[22:23] neg_lo:[0,0,1] neg_hi:[0,0,1]
	v_pk_mul_f32 v[26:27], v[28:29], v[18:19] op_sel:[0,1]
	v_pk_fma_f32 v[6:7], v[10:11], v[8:9], v[24:25] neg_lo:[0,0,1] neg_hi:[0,0,1]
	v_mov_b32_e32 v5, v15
	v_pk_add_f32 v[2:3], v[2:3], 0 op_sel_hi:[1,0]
	s_delay_alu instid0(VALU_DEP_4) | instskip(SKIP_1) | instid1(VALU_DEP_3)
	v_pk_fma_f32 v[8:9], v[12:13], v[18:19], v[26:27] op_sel_hi:[1,0,1]
	v_mov_b32_e32 v7, v21
	v_pk_add_f32 v[2:3], v[2:3], v[4:5]
	v_pk_fma_f32 v[4:5], v[12:13], v[18:19], v[26:27] neg_lo:[0,0,1] neg_hi:[0,0,1]
	s_delay_alu instid0(VALU_DEP_4) | instskip(NEXT) | instid1(VALU_DEP_3)
	v_mov_b32_e32 v5, v9
	v_pk_add_f32 v[2:3], v[2:3], v[6:7]
	s_delay_alu instid0(VALU_DEP_1)
	v_pk_add_f32 v[2:3], v[2:3], v[4:5]
	ds_store_b64 v96, v[2:3]
	s_wait_dscnt 0x0
	s_barrier_signal -1
	s_barrier_wait -1
	s_and_saveexec_b32 s0, s23
	s_cbranch_execz .LBB40_88
; %bb.87:                               ;   in Loop: Header=BB40_4 Depth=1
	ds_load_2addr_b64 v[2:5], v93 offset1:7
	ds_load_2addr_b64 v[6:9], v93 offset0:1 offset1:2
	ds_load_2addr_b64 v[10:13], v93 offset0:3 offset1:4
	;; [unrolled: 1-line block ×3, first 2 shown]
	s_wait_dscnt 0x2
	v_dual_add_f32 v2, v6, v2 :: v_dual_add_f32 v3, v7, v3
	s_delay_alu instid0(VALU_DEP_1) | instskip(SKIP_1) | instid1(VALU_DEP_1)
	v_dual_add_f32 v2, v8, v2 :: v_dual_add_f32 v3, v9, v3
	s_wait_dscnt 0x1
	v_dual_add_f32 v2, v2, v10 :: v_dual_add_f32 v3, v3, v11
	s_delay_alu instid0(VALU_DEP_1) | instskip(SKIP_1) | instid1(VALU_DEP_1)
	v_dual_add_f32 v2, v2, v12 :: v_dual_add_f32 v3, v3, v13
	s_wait_dscnt 0x0
	v_dual_add_f32 v2, v2, v18 :: v_dual_add_f32 v3, v3, v19
	s_delay_alu instid0(VALU_DEP_1) | instskip(NEXT) | instid1(VALU_DEP_1)
	v_pk_add_f32 v[2:3], v[2:3], v[20:21]
	v_pk_add_f32 v[50:51], v[2:3], v[4:5]
.LBB40_88:                              ;   in Loop: Header=BB40_4 Depth=1
	s_or_b32 exec_lo, exec_lo, s0
	v_lshl_add_u64 v[18:19], s[66:67], 3, v[0:1]
	s_and_not1_b32 vcc_lo, exec_lo, s19
	s_mov_b32 s0, -1
	s_barrier_signal -1
	s_barrier_wait -1
	s_cbranch_vccnz .LBB40_90
; %bb.89:                               ;   in Loop: Header=BB40_4 Depth=1
	v_add_nc_u64_e32 v[0:1], s[58:59], v[18:19]
	s_mov_b32 s0, 0
	s_delay_alu instid0(VALU_DEP_1) | instskip(NEXT) | instid1(VALU_DEP_1)
	v_add_nc_u64_e32 v[2:3], s[58:59], v[0:1]
	v_add_nc_u64_e32 v[4:5], s[58:59], v[2:3]
	s_clause 0x3
	flat_load_b64 v[6:7], v[18:19]
	flat_load_b64 v[0:1], v[0:1]
	;; [unrolled: 1-line block ×4, first 2 shown]
	s_wait_loadcnt_dscnt 0x303
	ds_store_b64 v106, v[6:7]
	s_wait_loadcnt_dscnt 0x203
	ds_store_b64 v106, v[0:1] offset:2112
	s_wait_loadcnt_dscnt 0x103
	ds_store_b64 v106, v[2:3] offset:4224
	;; [unrolled: 2-line block ×3, first 2 shown]
.LBB40_90:                              ;   in Loop: Header=BB40_4 Depth=1
	s_and_not1_b32 vcc_lo, exec_lo, s0
	s_cbranch_vccnz .LBB40_100
; %bb.91:                               ;   in Loop: Header=BB40_4 Depth=1
	s_wait_xcnt 0x2
	v_lshl_add_u64 v[0:1], v[42:43], 3, v[18:19]
	s_mov_b64 s[0:1], 0xfffffffffffffef8
	s_wait_xcnt 0x0
	v_dual_mov_b32 v4, 0 :: v_dual_mov_b32 v2, 0
	v_mov_b32_e32 v3, 0
	v_lshl_add_u64 v[0:1], s[50:51], 3, v[0:1]
	s_delay_alu instid0(VALU_DEP_1) | instskip(NEXT) | instid1(VALU_DEP_1)
	v_add_nc_u64_e32 v[0:1], s[0:1], v[0:1]
	v_dual_cndmask_b32 v1, v1, v19, s18 :: v_dual_cndmask_b32 v0, v0, v18, s18
	s_and_saveexec_b32 s0, s5
	s_cbranch_execz .LBB40_93
; %bb.92:                               ;   in Loop: Header=BB40_4 Depth=1
	flat_load_b64 v[2:3], v[0:1]
.LBB40_93:                              ;   in Loop: Header=BB40_4 Depth=1
	s_wait_xcnt 0x0
	s_or_b32 exec_lo, exec_lo, s0
	v_mov_b32_e32 v5, 0
	s_wait_loadcnt_dscnt 0x0
	ds_store_b64 v106, v[2:3]
	s_and_saveexec_b32 s0, s6
	s_cbranch_execz .LBB40_95
; %bb.94:                               ;   in Loop: Header=BB40_4 Depth=1
	v_add_nc_u64_e32 v[2:3], s[58:59], v[0:1]
	flat_load_b64 v[4:5], v[2:3]
.LBB40_95:                              ;   in Loop: Header=BB40_4 Depth=1
	s_wait_xcnt 0x0
	s_or_b32 exec_lo, exec_lo, s0
	v_dual_mov_b32 v2, 0 :: v_dual_mov_b32 v6, 0
	v_mov_b32_e32 v7, 0
	s_wait_loadcnt_dscnt 0x0
	ds_store_b64 v106, v[4:5] offset:2112
	s_and_saveexec_b32 s0, s7
	s_cbranch_execz .LBB40_97
; %bb.96:                               ;   in Loop: Header=BB40_4 Depth=1
	v_add_nc_u64_e32 v[4:5], s[60:61], v[0:1]
	flat_load_b64 v[6:7], v[4:5]
.LBB40_97:                              ;   in Loop: Header=BB40_4 Depth=1
	s_wait_xcnt 0x0
	s_or_b32 exec_lo, exec_lo, s0
	v_mov_b32_e32 v3, 0
	s_wait_loadcnt_dscnt 0x0
	ds_store_b64 v106, v[6:7] offset:4224
	s_and_saveexec_b32 s0, s8
	s_cbranch_execz .LBB40_99
; %bb.98:                               ;   in Loop: Header=BB40_4 Depth=1
	v_add_nc_u64_e32 v[2:3], s[62:63], v[0:1]
	flat_load_b64 v[2:3], v[2:3]
.LBB40_99:                              ;   in Loop: Header=BB40_4 Depth=1
	s_wait_xcnt 0x0
	s_or_b32 exec_lo, exec_lo, s0
	v_add_nc_u64_e32 v[0:1], v[0:1], v[34:35]
	s_wait_loadcnt_dscnt 0x0
	ds_store_b64 v106, v[2:3] offset:6336
	v_lshl_add_u64 v[0:1], s[72:73], 3, v[0:1]
	s_delay_alu instid0(VALU_DEP_1) | instskip(NEXT) | instid1(VALU_DEP_1)
	v_add_nc_u64_e32 v[0:1], 0x108, v[0:1]
	v_dual_cndmask_b32 v19, v1, v19, s18 :: v_dual_cndmask_b32 v18, v0, v18, s18
.LBB40_100:                             ;   in Loop: Header=BB40_4 Depth=1
	s_wait_dscnt 0x0
	s_barrier_signal -1
	s_barrier_wait -1
	ds_load_b64 v[8:9], v106
	ds_load_b64 v[10:11], v109
	ds_load_2addr_b64 v[20:23], v105 offset0:8 offset1:16
	ds_load_b64 v[12:13], v106 offset:2112
	ds_load_b64 v[24:25], v106 offset:4224
	;; [unrolled: 1-line block ×4, first 2 shown]
	s_wait_xcnt 0x0
	ds_load_2addr_b64 v[4:7], v97 offset1:1
	ds_load_2addr_b64 v[0:3], v97 offset0:2 offset1:3
	s_wait_dscnt 0x7
	v_pk_mul_f32 v[14:15], v[10:11], v[8:9] op_sel:[1,1] op_sel_hi:[0,1]
	s_wait_dscnt 0x5
	v_pk_mul_f32 v[30:31], v[20:21], v[12:13] op_sel:[1,1] op_sel_hi:[0,1]
	;; [unrolled: 2-line block ×3, first 2 shown]
	v_pk_fma_f32 v[52:53], v[10:11], v[8:9], v[14:15] op_sel_hi:[1,0,1]
	v_pk_fma_f32 v[8:9], v[10:11], v[8:9], v[14:15] neg_lo:[0,0,1] neg_hi:[0,0,1]
	v_pk_fma_f32 v[10:11], v[20:21], v[12:13], v[30:31] op_sel_hi:[1,0,1]
	v_pk_fma_f32 v[20:21], v[20:21], v[12:13], v[30:31] neg_lo:[0,0,1] neg_hi:[0,0,1]
	v_pk_fma_f32 v[30:31], v[22:23], v[24:25], v[54:55] op_sel_hi:[1,0,1]
	v_mov_b32_e32 v9, v53
	s_wait_dscnt 0x2
	v_pk_mul_f32 v[52:53], v[28:29], v[26:27] op_sel:[1,1] op_sel_hi:[0,1]
	v_mov_b32_e32 v21, v11
	v_pk_fma_f32 v[22:23], v[22:23], v[24:25], v[54:55] neg_lo:[0,0,1] neg_hi:[0,0,1]
	v_pk_add_f32 v[56:57], v[8:9], 0 op_sel_hi:[1,0]
	ds_load_b128 v[12:15], v95 offset:256
	ds_load_b128 v[8:11], v95 offset:272
	v_pk_fma_f32 v[24:25], v[28:29], v[26:27], v[52:53] op_sel_hi:[1,0,1]
	v_mov_b32_e32 v23, v31
	v_pk_fma_f32 v[26:27], v[28:29], v[26:27], v[52:53] neg_lo:[0,0,1] neg_hi:[0,0,1]
	v_pk_add_f32 v[20:21], v[56:57], v[20:21]
	s_wait_dscnt 0x0
	v_mov_b32_e32 v27, v25
	s_barrier_signal -1
	s_barrier_wait -1
	v_pk_add_f32 v[20:21], v[20:21], v[22:23]
	s_delay_alu instid0(VALU_DEP_1)
	v_pk_add_f32 v[20:21], v[20:21], v[26:27]
	ds_store_b64 v96, v[20:21]
	s_wait_dscnt 0x0
	s_barrier_signal -1
	s_barrier_wait -1
	s_and_saveexec_b32 s0, s23
	s_cbranch_execz .LBB40_102
; %bb.101:                              ;   in Loop: Header=BB40_4 Depth=1
	ds_load_2addr_b64 v[20:23], v93 offset1:1
	ds_load_2addr_b64 v[24:27], v93 offset0:2 offset1:3
	ds_load_2addr_b64 v[28:31], v93 offset0:4 offset1:5
	s_wait_dscnt 0x2
	v_pk_add_f32 v[20:21], v[50:51], v[20:21]
	s_delay_alu instid0(VALU_DEP_1) | instskip(SKIP_1) | instid1(VALU_DEP_1)
	v_pk_add_f32 v[20:21], v[20:21], v[22:23]
	s_wait_dscnt 0x1
	v_pk_add_f32 v[24:25], v[20:21], v[24:25]
	ds_load_2addr_b64 v[20:23], v93 offset0:6 offset1:7
	v_pk_add_f32 v[24:25], v[24:25], v[26:27]
	s_wait_dscnt 0x1
	s_delay_alu instid0(VALU_DEP_1) | instskip(NEXT) | instid1(VALU_DEP_1)
	v_pk_add_f32 v[24:25], v[24:25], v[28:29]
	v_pk_add_f32 v[24:25], v[24:25], v[30:31]
	s_wait_dscnt 0x0
	s_delay_alu instid0(VALU_DEP_1) | instskip(NEXT) | instid1(VALU_DEP_1)
	v_pk_add_f32 v[20:21], v[24:25], v[20:21]
	v_pk_add_f32 v[50:51], v[20:21], v[22:23]
.LBB40_102:                             ;   in Loop: Header=BB40_4 Depth=1
	s_or_b32 exec_lo, exec_lo, s0
	v_pk_mul_f32 v[20:21], v[4:5], v[12:13] op_sel:[1,1] op_sel_hi:[1,0]
	v_dual_mov_b32 v22, v7 :: v_dual_mov_b32 v24, v15
	v_mov_b32_e32 v25, v14
	v_pk_mul_f32 v[26:27], v[0:1], v[8:9] op_sel:[1,1] op_sel_hi:[1,0]
	s_delay_alu instid0(VALU_DEP_4) | instskip(SKIP_3) | instid1(VALU_DEP_4)
	v_pk_fma_f32 v[28:29], v[4:5], v[12:13], v[20:21] op_sel_hi:[0,1,1] neg_lo:[0,0,1] neg_hi:[0,0,1]
	v_mov_b32_e32 v28, v3
	v_pk_fma_f32 v[4:5], v[4:5], v[12:13], v[20:21]
	v_pk_mul_f32 v[22:23], v[22:23], v[24:25] op_sel_hi:[0,1]
	v_dual_mov_b32 v24, v11 :: v_dual_mov_b32 v5, v29
	v_pk_fma_f32 v[20:21], v[0:1], v[8:9], v[26:27] op_sel_hi:[0,1,1] neg_lo:[0,0,1] neg_hi:[0,0,1]
	v_pk_fma_f32 v[0:1], v[0:1], v[8:9], v[26:27]
	s_delay_alu instid0(VALU_DEP_4) | instskip(SKIP_3) | instid1(VALU_DEP_4)
	v_pk_fma_f32 v[12:13], v[6:7], v[14:15], v[22:23] op_sel_hi:[0,1,1] neg_lo:[0,0,1] neg_hi:[0,0,1]
	v_mov_b32_e32 v25, v10
	v_pk_fma_f32 v[6:7], v[6:7], v[14:15], v[22:23]
	v_pk_add_f32 v[4:5], v[4:5], 0 op_sel_hi:[1,0]
	v_mov_b32_e32 v7, v13
	s_delay_alu instid0(VALU_DEP_4) | instskip(SKIP_2) | instid1(VALU_DEP_2)
	v_pk_mul_f32 v[14:15], v[28:29], v[24:25] op_sel_hi:[0,1]
	s_barrier_signal -1
	s_barrier_wait -1
	v_pk_add_f32 v[4:5], v[4:5], v[6:7]
	s_delay_alu instid0(VALU_DEP_2) | instskip(SKIP_2) | instid1(VALU_DEP_3)
	v_pk_fma_f32 v[8:9], v[2:3], v[10:11], v[14:15] op_sel_hi:[0,1,1] neg_lo:[0,0,1] neg_hi:[0,0,1]
	v_mov_b32_e32 v1, v21
	v_pk_fma_f32 v[2:3], v[2:3], v[10:11], v[14:15]
	v_mov_b32_e32 v3, v9
	s_delay_alu instid0(VALU_DEP_3) | instskip(NEXT) | instid1(VALU_DEP_1)
	v_pk_add_f32 v[0:1], v[4:5], v[0:1]
	v_pk_add_f32 v[0:1], v[0:1], v[2:3]
	ds_store_b64 v96, v[0:1]
	s_wait_dscnt 0x0
	s_barrier_signal -1
	s_barrier_wait -1
	s_and_saveexec_b32 s0, s17
	s_cbranch_execz .LBB40_104
; %bb.103:                              ;   in Loop: Header=BB40_4 Depth=1
	ds_load_2addr_b64 v[0:3], v93 offset1:1
	ds_load_2addr_b64 v[4:7], v93 offset0:2 offset1:3
	ds_load_2addr_b64 v[8:11], v93 offset0:4 offset1:5
	s_wait_dscnt 0x2
	v_pk_add_f32 v[0:1], v[50:51], v[0:1]
	s_delay_alu instid0(VALU_DEP_1) | instskip(SKIP_1) | instid1(VALU_DEP_1)
	v_pk_add_f32 v[0:1], v[0:1], v[2:3]
	s_wait_dscnt 0x1
	v_pk_add_f32 v[4:5], v[0:1], v[4:5]
	ds_load_2addr_b64 v[0:3], v93 offset0:6 offset1:7
	v_pk_add_f32 v[4:5], v[4:5], v[6:7]
	s_wait_dscnt 0x1
	s_delay_alu instid0(VALU_DEP_1) | instskip(NEXT) | instid1(VALU_DEP_1)
	v_pk_add_f32 v[4:5], v[4:5], v[8:9]
	v_pk_add_f32 v[4:5], v[4:5], v[10:11]
	s_wait_dscnt 0x0
	s_delay_alu instid0(VALU_DEP_1) | instskip(NEXT) | instid1(VALU_DEP_1)
	v_pk_add_f32 v[0:1], v[4:5], v[0:1]
	v_pk_add_f32 v[50:51], v[0:1], v[2:3]
.LBB40_104:                             ;   in Loop: Header=BB40_4 Depth=1
	s_or_b32 exec_lo, exec_lo, s0
	s_mul_u64 s[0:1], s[52:53], s[26:27]
	s_and_not1_b32 vcc_lo, exec_lo, s25
	s_lshl_b64 s[0:1], s[0:1], 3
	s_delay_alu instid0(SALU_CYCLE_1)
	s_add_nc_u64 s[0:1], s[54:55], s[0:1]
	s_barrier_signal -1
	s_barrier_wait -1
	s_cbranch_vccnz .LBB40_111
; %bb.105:                              ;   in Loop: Header=BB40_4 Depth=1
	v_readlane_b32 s68, v138, 5
	v_readlane_b32 s69, v138, 6
	v_dual_mov_b32 v3, v35 :: v_dual_lshlrev_b32 v2, 3, v32
	s_mov_b32 s34, 0
	s_mov_b32 s27, vcc_hi
	v_lshl_add_u64 v[0:1], s[68:69], 3, v[18:19]
	s_mov_b64 s[68:69], 0xffffffffffffff00
	s_delay_alu instid0(VALU_DEP_1) | instskip(NEXT) | instid1(VALU_DEP_1)
	v_lshl_add_u64 v[0:1], v[44:45], 3, v[0:1]
	v_lshl_add_u64 v[0:1], v[46:47], 3, v[0:1]
	s_delay_alu instid0(VALU_DEP_1) | instskip(SKIP_1) | instid1(VALU_DEP_1)
	v_add_nc_u64_e32 v[2:3], v[0:1], v[2:3]
	v_lshl_add_u64 v[0:1], s[50:51], 3, v[0:1]
	v_add_nc_u64_e32 v[0:1], s[70:71], v[0:1]
	s_delay_alu instid0(VALU_DEP_3) | instskip(SKIP_2) | instid1(VALU_DEP_1)
	v_add_nc_u64_e32 v[2:3], s[68:69], v[2:3]
	v_readlane_b32 s68, v138, 3
	v_readlane_b32 s69, v138, 4
	v_lshl_add_u64 v[52:53], s[68:69], 3, v[16:17]
	s_delay_alu instid0(VALU_DEP_4)
	v_dual_cndmask_b32 v55, v3, v1, s3 :: v_dual_cndmask_b32 v54, v2, v0, s3
	s_branch .LBB40_107
.LBB40_106:                             ;   in Loop: Header=BB40_107 Depth=2
	s_wait_xcnt 0x0
	s_or_b32 exec_lo, exec_lo, vcc_lo
	v_pk_mul_f32 v[112:113], v[62:63], v[4:5] op_sel:[1,1] op_sel_hi:[0,1]
	v_dual_mov_b32 v114, v7 :: v_dual_mov_b32 v118, v3
	v_pk_mul_f32 v[116:117], v[58:59], v[0:1] op_sel:[1,1] op_sel_hi:[0,1]
	v_pk_mul_f32 v[122:123], v[68:69], v[12:13] op_sel:[1,1] op_sel_hi:[0,1]
	s_delay_alu instid0(VALU_DEP_4) | instskip(NEXT) | instid1(VALU_DEP_4)
	v_pk_fma_f32 v[120:121], v[62:63], v[4:5], v[112:113] op_sel_hi:[1,0,1]
	v_pk_mul_f32 v[114:115], v[60:61], v[114:115] op_sel:[1,0] op_sel_hi:[0,0]
	v_pk_fma_f32 v[4:5], v[62:63], v[4:5], v[112:113] neg_lo:[0,0,1] neg_hi:[0,0,1]
	v_mov_b32_e32 v120, v15
	v_pk_mul_f32 v[112:113], v[56:57], v[118:119] op_sel:[1,0] op_sel_hi:[0,0]
	v_mov_b32_e32 v5, v121
	v_pk_fma_f32 v[62:63], v[60:61], v[6:7], v[114:115] op_sel_hi:[1,0,1]
	v_pk_fma_f32 v[6:7], v[60:61], v[6:7], v[114:115] neg_lo:[0,0,1] neg_hi:[0,0,1]
	v_pk_fma_f32 v[118:119], v[58:59], v[0:1], v[116:117] op_sel_hi:[1,0,1]
	v_pk_fma_f32 v[0:1], v[58:59], v[0:1], v[116:117] neg_lo:[0,0,1] neg_hi:[0,0,1]
	v_pk_add_f32 v[4:5], v[50:51], v[4:5]
	v_mov_b32_e32 v7, v63
	v_pk_fma_f32 v[58:59], v[56:57], v[2:3], v[112:113] op_sel_hi:[1,0,1]
	v_mov_b32_e32 v1, v119
	v_pk_fma_f32 v[2:3], v[56:57], v[2:3], v[112:113] neg_lo:[0,0,1] neg_hi:[0,0,1]
	v_pk_fma_f32 v[60:61], v[68:69], v[12:13], v[122:123] op_sel_hi:[1,0,1]
	v_pk_add_f32 v[4:5], v[4:5], v[6:7]
	v_pk_mul_f32 v[6:7], v[64:65], v[120:121] op_sel:[1,0] op_sel_hi:[0,0]
	v_mov_b32_e32 v3, v59
	v_pk_mul_f32 v[50:51], v[70:71], v[8:9] op_sel:[1,1] op_sel_hi:[0,1]
	v_pk_fma_f32 v[12:13], v[68:69], v[12:13], v[122:123] neg_lo:[0,0,1] neg_hi:[0,0,1]
	v_pk_add_f32 v[0:1], v[4:5], v[0:1]
	v_mov_b32_e32 v4, v11
	v_pk_fma_f32 v[56:57], v[64:65], v[14:15], v[6:7] op_sel_hi:[1,0,1]
	v_mov_b32_e32 v13, v61
	v_pk_fma_f32 v[6:7], v[64:65], v[14:15], v[6:7] neg_lo:[0,0,1] neg_hi:[0,0,1]
	v_pk_add_f32 v[0:1], v[0:1], v[2:3]
	v_pk_fma_f32 v[2:3], v[70:71], v[8:9], v[50:51] op_sel_hi:[1,0,1]
	v_pk_mul_f32 v[4:5], v[66:67], v[4:5] op_sel:[1,0] op_sel_hi:[0,0]
	v_mov_b32_e32 v7, v57
	v_pk_fma_f32 v[8:9], v[70:71], v[8:9], v[50:51] neg_lo:[0,0,1] neg_hi:[0,0,1]
	v_pk_add_f32 v[0:1], v[0:1], v[12:13]
	v_mov_b32_e32 v9, v3
	v_pk_fma_f32 v[2:3], v[66:67], v[10:11], v[4:5] op_sel_hi:[1,0,1]
	v_pk_mul_f32 v[12:13], v[78:79], v[16:17] op_sel:[1,1] op_sel_hi:[0,1]
	v_mov_b32_e32 v2, v19
	v_pk_add_f32 v[0:1], v[0:1], v[6:7]
	v_pk_fma_f32 v[4:5], v[66:67], v[10:11], v[4:5] neg_lo:[0,0,1] neg_hi:[0,0,1]
	v_mov_b32_e32 v5, v3
	v_pk_fma_f32 v[6:7], v[78:79], v[16:17], v[12:13] op_sel_hi:[1,0,1]
	v_pk_mul_f32 v[2:3], v[76:77], v[2:3] op_sel:[1,0] op_sel_hi:[0,0]
	v_pk_add_f32 v[0:1], v[0:1], v[8:9]
	v_pk_fma_f32 v[8:9], v[78:79], v[16:17], v[12:13] neg_lo:[0,0,1] neg_hi:[0,0,1]
	v_mov_b32_e32 v6, v23
	v_pk_mul_f32 v[10:11], v[74:75], v[20:21] op_sel:[1,1] op_sel_hi:[0,1]
	v_add_nc_u64_e32 v[54:55], s[76:77], v[54:55]
	v_pk_add_f32 v[0:1], v[0:1], v[4:5]
	v_pk_fma_f32 v[4:5], v[76:77], v[18:19], v[2:3] op_sel_hi:[1,0,1]
	v_mov_b32_e32 v9, v7
	v_pk_fma_f32 v[2:3], v[76:77], v[18:19], v[2:3] neg_lo:[0,0,1] neg_hi:[0,0,1]
	v_pk_mul_f32 v[6:7], v[72:73], v[6:7] op_sel:[1,0] op_sel_hi:[0,0]
	s_add_co_i32 s27, s27, -1
	v_mov_b32_e32 v3, v5
	v_pk_add_f32 v[0:1], v[0:1], v[8:9]
	v_pk_fma_f32 v[4:5], v[74:75], v[20:21], v[10:11] op_sel_hi:[1,0,1]
	v_pk_fma_f32 v[10:11], v[74:75], v[20:21], v[10:11] neg_lo:[0,0,1] neg_hi:[0,0,1]
	v_pk_fma_f32 v[8:9], v[72:73], v[22:23], v[6:7] op_sel_hi:[1,0,1]
	v_dual_mov_b32 v4, v27 :: v_dual_mov_b32 v8, v31
	v_pk_add_f32 v[0:1], v[0:1], v[2:3]
	v_mov_b32_e32 v11, v5
	v_pk_fma_f32 v[2:3], v[72:73], v[22:23], v[6:7] neg_lo:[0,0,1] neg_hi:[0,0,1]
	v_pk_mul_f32 v[6:7], v[86:87], v[24:25] op_sel:[1,1] op_sel_hi:[0,1]
	v_mov_b32_e32 v3, v9
	v_pk_mul_f32 v[4:5], v[84:85], v[4:5] op_sel:[1,0] op_sel_hi:[0,0]
	v_pk_add_f32 v[0:1], v[0:1], v[10:11]
	v_pk_mul_f32 v[8:9], v[80:81], v[8:9] op_sel:[1,0] op_sel_hi:[0,0]
	v_pk_fma_f32 v[10:11], v[86:87], v[24:25], v[6:7] op_sel_hi:[1,0,1]
	v_pk_fma_f32 v[6:7], v[86:87], v[24:25], v[6:7] neg_lo:[0,0,1] neg_hi:[0,0,1]
	v_pk_fma_f32 v[12:13], v[84:85], v[26:27], v[4:5] op_sel_hi:[1,0,1]
	v_pk_add_f32 v[0:1], v[0:1], v[2:3]
	v_pk_mul_f32 v[2:3], v[82:83], v[28:29] op_sel:[1,1] op_sel_hi:[0,1]
	v_mov_b32_e32 v7, v11
	v_pk_fma_f32 v[4:5], v[84:85], v[26:27], v[4:5] neg_lo:[0,0,1] neg_hi:[0,0,1]
	v_mov_b32_e32 v5, v13
	s_add_co_i32 s34, s34, 64
	v_pk_fma_f32 v[10:11], v[82:83], v[28:29], v[2:3] op_sel_hi:[1,0,1]
	v_pk_add_f32 v[0:1], v[0:1], v[6:7]
	v_pk_fma_f32 v[2:3], v[82:83], v[28:29], v[2:3] neg_lo:[0,0,1] neg_hi:[0,0,1]
	v_pk_fma_f32 v[6:7], v[80:81], v[30:31], v[8:9] op_sel_hi:[1,0,1]
	s_cmp_eq_u32 s27, 0
	v_mov_b32_e32 v3, v11
	v_pk_add_f32 v[0:1], v[0:1], v[4:5]
	v_pk_fma_f32 v[4:5], v[80:81], v[30:31], v[8:9] neg_lo:[0,0,1] neg_hi:[0,0,1]
	v_mov_b32_e32 v5, v7
	s_wait_storecnt 0x0
	s_barrier_signal -1
	v_pk_add_f32 v[0:1], v[0:1], v[2:3]
	s_barrier_wait -1
	s_delay_alu instid0(VALU_DEP_1)
	v_pk_add_f32 v[50:51], v[0:1], v[4:5]
	s_cbranch_scc1 .LBB40_111
.LBB40_107:                             ;   Parent Loop BB40_4 Depth=1
                                        ; =>  This Inner Loop Header: Depth=2
	s_and_saveexec_b32 vcc_lo, s2
	s_cbranch_execz .LBB40_109
; %bb.108:                              ;   in Loop: Header=BB40_107 Depth=2
	s_mul_u64 s[68:69], s[48:49], s[34:35]
	s_delay_alu instid0(SALU_CYCLE_1)
	v_lshl_add_u64 v[0:1], s[68:69], 3, v[52:53]
	flat_load_b64 v[0:1], v[0:1]
	s_wait_loadcnt_dscnt 0x0
	ds_store_b64 v98, v[0:1]
.LBB40_109:                             ;   in Loop: Header=BB40_107 Depth=2
	s_wait_xcnt 0x0
	s_or_b32 exec_lo, exec_lo, vcc_lo
	v_add_nc_u64_e32 v[0:1], s[74:75], v[54:55]
	v_add_nc_u64_e32 v[2:3], s[78:79], v[54:55]
	;; [unrolled: 1-line block ×3, first 2 shown]
	s_wait_dscnt 0x0
	s_barrier_signal -1
	s_barrier_wait -1
	s_clause 0x3
	flat_load_b64 v[62:63], v[54:55]
	flat_load_b64 v[60:61], v[0:1]
	;; [unrolled: 1-line block ×4, first 2 shown]
	ds_load_b64 v[8:9], v88
	s_wait_xcnt 0x0
	ds_load_b128 v[4:7], v99
	v_add_nc_u64_e32 v[12:13], s[60:61], v[54:55]
	v_add_nc_u64_e32 v[20:21], s[82:83], v[54:55]
	;; [unrolled: 1-line block ×3, first 2 shown]
	ds_load_b128 v[0:3], v99 offset:16
	v_add_nc_u64_e32 v[72:73], s[86:87], v[54:55]
	v_add_nc_u64_e32 v[80:81], s[88:89], v[54:55]
	;; [unrolled: 1-line block ×4, first 2 shown]
	s_wait_loadcnt_dscnt 0x202
	v_dual_mul_f32 v14, v61, v9 :: v_dual_mul_f32 v15, v61, v8
	v_dual_mul_f32 v10, v63, v9 :: v_dual_mul_f32 v11, v63, v8
	s_wait_loadcnt 0x1
	v_dual_mul_f32 v16, v59, v9 :: v_dual_mul_f32 v17, v59, v8
	s_wait_loadcnt 0x0
	v_dual_mul_f32 v18, v57, v9 :: v_dual_mul_f32 v19, v57, v8
	v_dual_fmac_f32 v10, v62, v8 :: v_dual_fma_f32 v11, v62, v9, -v11
	v_dual_fmac_f32 v14, v60, v8 :: v_dual_fma_f32 v15, v60, v9, -v15
	;; [unrolled: 1-line block ×3, first 2 shown]
	s_delay_alu instid0(VALU_DEP_4)
	v_dual_fmac_f32 v18, v56, v8 :: v_dual_fma_f32 v19, v56, v9, -v19
	v_add_nc_u64_e32 v[8:9], s[102:103], v[54:55]
	ds_store_2addr_b64 v100, v[10:11], v[14:15] offset1:67
	ds_store_2addr_b64 v100, v[16:17], v[18:19] offset0:134 offset1:201
	s_wait_dscnt 0x0
	s_barrier_signal -1
	s_barrier_wait -1
	ds_load_2addr_b64 v[24:27], v101 offset1:1
	ds_load_2addr_b64 v[112:115], v101 offset0:2 offset1:3
	s_wait_dscnt 0x0
	s_barrier_signal -1
	s_barrier_wait -1
	s_clause 0x3
	flat_load_b64 v[68:69], v[12:13]
	flat_load_b64 v[64:65], v[8:9]
	;; [unrolled: 1-line block ×4, first 2 shown]
	s_wait_xcnt 0x2
	ds_load_b64 v[8:9], v88
	ds_load_b128 v[12:15], v99 offset:128
	v_add_nc_u64_e32 v[16:17], s[100:101], v[54:55]
	v_add_nc_u64_e32 v[18:19], s[98:99], v[54:55]
	v_pk_add_f32 v[24:25], v[24:25], 0 op_sel_hi:[1,0]
	s_delay_alu instid0(VALU_DEP_1) | instskip(NEXT) | instid1(VALU_DEP_1)
	v_pk_add_f32 v[132:133], v[24:25], v[26:27]
	v_pk_add_f32 v[112:113], v[132:133], v[112:113]
	s_delay_alu instid0(VALU_DEP_1)
	v_pk_add_f32 v[112:113], v[112:113], v[114:115]
	s_wait_loadcnt_dscnt 0x301
	s_wait_xcnt 0x1
	v_dual_mul_f32 v20, v69, v9 :: v_dual_mul_f32 v10, v69, v8
	s_wait_loadcnt 0x2
	s_wait_xcnt 0x0
	v_dual_mul_f32 v22, v65, v9 :: v_dual_mul_f32 v11, v65, v8
	s_wait_loadcnt 0x1
	v_dual_mul_f32 v28, v71, v9 :: v_dual_mul_f32 v29, v71, v8
	s_wait_loadcnt 0x0
	v_dual_mul_f32 v30, v67, v9 :: v_dual_mul_f32 v31, v67, v8
	v_dual_fmac_f32 v20, v68, v8 :: v_dual_fma_f32 v21, v68, v9, -v10
	v_dual_fmac_f32 v22, v64, v8 :: v_dual_fma_f32 v23, v64, v9, -v11
	;; [unrolled: 1-line block ×3, first 2 shown]
	s_delay_alu instid0(VALU_DEP_4)
	v_dual_fmac_f32 v30, v66, v8 :: v_dual_fma_f32 v31, v66, v9, -v31
	ds_load_b128 v[8:11], v99 offset:144
	ds_store_2addr_b64 v100, v[20:21], v[22:23] offset1:67
	ds_store_2addr_b64 v100, v[28:29], v[30:31] offset0:134 offset1:201
	s_wait_dscnt 0x0
	s_barrier_signal -1
	s_barrier_wait -1
	ds_load_2addr_b64 v[28:31], v101 offset1:1
	ds_load_2addr_b64 v[116:119], v101 offset0:2 offset1:3
	s_wait_dscnt 0x0
	s_barrier_signal -1
	s_barrier_wait -1
	s_clause 0x3
	flat_load_b64 v[78:79], v[16:17]
	flat_load_b64 v[76:77], v[18:19]
	flat_load_b64 v[74:75], v[72:73]
	flat_load_b64 v[72:73], v[80:81]
	ds_load_b64 v[20:21], v88
	ds_load_b128 v[16:19], v99 offset:256
	v_pk_add_f32 v[24:25], v[28:29], 0 op_sel_hi:[1,0]
	s_delay_alu instid0(VALU_DEP_1) | instskip(NEXT) | instid1(VALU_DEP_1)
	v_pk_add_f32 v[134:135], v[24:25], v[30:31]
	v_pk_add_f32 v[114:115], v[134:135], v[116:117]
	s_delay_alu instid0(VALU_DEP_1)
	v_pk_add_f32 v[114:115], v[114:115], v[118:119]
	s_wait_loadcnt_dscnt 0x301
	s_wait_xcnt 0x0
	v_dual_mul_f32 v80, v79, v21 :: v_dual_mul_f32 v22, v79, v20
	s_wait_loadcnt 0x2
	v_dual_mul_f32 v82, v77, v21 :: v_dual_mul_f32 v23, v77, v20
	s_wait_loadcnt 0x1
	;; [unrolled: 2-line block ×3, first 2 shown]
	v_dual_mul_f32 v86, v73, v21 :: v_dual_mul_f32 v87, v73, v20
	v_dual_fmac_f32 v80, v78, v20 :: v_dual_fma_f32 v81, v78, v21, -v22
	v_dual_fmac_f32 v82, v76, v20 :: v_dual_fma_f32 v83, v76, v21, -v23
	v_dual_fmac_f32 v84, v74, v20 :: v_dual_fma_f32 v85, v74, v21, -v85
	s_delay_alu instid0(VALU_DEP_4)
	v_dual_fmac_f32 v86, v72, v20 :: v_dual_fma_f32 v87, v72, v21, -v87
	ds_load_b128 v[20:23], v99 offset:272
	ds_store_2addr_b64 v100, v[80:81], v[82:83] offset1:67
	ds_store_2addr_b64 v100, v[84:85], v[86:87] offset0:134 offset1:201
	s_wait_dscnt 0x0
	s_barrier_signal -1
	s_barrier_wait -1
	ds_load_2addr_b64 v[120:123], v101 offset1:1
	ds_load_2addr_b64 v[124:127], v101 offset0:2 offset1:3
	s_wait_dscnt 0x0
	s_barrier_signal -1
	s_barrier_wait -1
	s_clause 0x1
	flat_load_b64 v[86:87], v[128:129]
	flat_load_b64 v[84:85], v[130:131]
	v_add_nc_u64_e32 v[80:81], s[90:91], v[54:55]
	s_wait_xcnt 0x1
	v_add_nc_u64_e32 v[128:129], s[92:93], v[54:55]
	s_clause 0x1
	flat_load_b64 v[82:83], v[80:81]
	flat_load_b64 v[80:81], v[128:129]
	s_wait_xcnt 0x0
	ds_load_b64 v[128:129], v88
	ds_load_b128 v[24:27], v99 offset:384
	v_pk_add_f32 v[28:29], v[120:121], 0 op_sel_hi:[1,0]
	s_delay_alu instid0(VALU_DEP_1) | instskip(NEXT) | instid1(VALU_DEP_1)
	v_pk_add_f32 v[136:137], v[28:29], v[122:123]
	v_pk_add_f32 v[116:117], v[136:137], v[124:125]
	s_delay_alu instid0(VALU_DEP_1) | instskip(SKIP_3) | instid1(VALU_DEP_1)
	v_pk_add_f32 v[116:117], v[116:117], v[126:127]
	s_wait_loadcnt_dscnt 0x301
	v_dual_mul_f32 v31, v87, v128 :: v_dual_mul_f32 v28, v87, v129
	s_wait_loadcnt 0x2
	v_dual_mul_f32 v30, v85, v129 :: v_dual_fma_f32 v29, v86, v129, -v31
	s_delay_alu instid0(VALU_DEP_2) | instskip(SKIP_1) | instid1(VALU_DEP_2)
	v_dual_mul_f32 v31, v85, v128 :: v_dual_fmac_f32 v28, v86, v128
	s_wait_loadcnt 0x1
	v_dual_fmac_f32 v30, v84, v128 :: v_dual_mul_f32 v111, v83, v128
	s_delay_alu instid0(VALU_DEP_2) | instskip(SKIP_4) | instid1(VALU_DEP_2)
	v_fma_f32 v31, v84, v129, -v31
	ds_store_2addr_b64 v100, v[28:29], v[30:31] offset1:67
	s_wait_loadcnt 0x0
	v_dual_mul_f32 v28, v83, v129 :: v_dual_mul_f32 v30, v81, v129
	v_dual_fma_f32 v29, v82, v129, -v111 :: v_dual_mul_f32 v31, v81, v128
	v_dual_fmac_f32 v28, v82, v128 :: v_dual_fmac_f32 v30, v80, v128
	s_delay_alu instid0(VALU_DEP_2)
	v_fma_f32 v31, v80, v129, -v31
	ds_store_2addr_b64 v100, v[28:29], v[30:31] offset0:134 offset1:201
	ds_load_b128 v[28:31], v99 offset:400
	s_wait_dscnt 0x0
	s_barrier_signal -1
	s_barrier_wait -1
	ds_load_2addr_b64 v[120:123], v101 offset1:1
	ds_load_2addr_b64 v[128:131], v101 offset0:2 offset1:3
	s_wait_dscnt 0x0
	s_barrier_signal -1
	s_barrier_wait -1
	v_pk_add_f32 v[120:121], v[120:121], 0 op_sel_hi:[1,0]
	s_delay_alu instid0(VALU_DEP_1) | instskip(NEXT) | instid1(VALU_DEP_1)
	v_pk_add_f32 v[120:121], v[120:121], v[122:123]
	v_pk_add_f32 v[120:121], v[120:121], v[128:129]
	s_delay_alu instid0(VALU_DEP_1)
	v_pk_add_f32 v[118:119], v[120:121], v[130:131]
	ds_store_2addr_b64 v110, v[112:113], v[114:115] offset1:16
	ds_store_2addr_b64 v110, v[116:117], v[118:119] offset0:32 offset1:48
	s_wait_dscnt 0x0
	s_barrier_signal -1
	s_barrier_wait -1
	s_and_saveexec_b32 vcc_lo, s24
	s_cbranch_execz .LBB40_106
; %bb.110:                              ;   in Loop: Header=BB40_107 Depth=2
	ds_load_b64 v[124:125], v102
	ds_load_2addr_b64 v[112:115], v102 offset0:1 offset1:2
	ds_load_2addr_b64 v[116:119], v102 offset0:3 offset1:4
	;; [unrolled: 1-line block ×3, first 2 shown]
	s_wait_dscnt 0x2
	v_dual_add_f32 v111, v112, v124 :: v_dual_add_f32 v112, v113, v125
	s_delay_alu instid0(VALU_DEP_1) | instskip(SKIP_3) | instid1(VALU_DEP_1)
	v_dual_add_f32 v111, v114, v111 :: v_dual_add_f32 v124, v115, v112
	ds_load_2addr_b64 v[112:115], v102 offset0:7 offset1:8
	s_wait_dscnt 0x2
	v_dual_add_f32 v111, v111, v116 :: v_dual_add_f32 v116, v124, v117
	v_dual_add_f32 v124, v111, v118 :: v_dual_add_f32 v125, v116, v119
	ds_load_2addr_b64 v[116:119], v102 offset0:9 offset1:10
	v_add_nc_u32_e32 v111, s34, v32
	s_wait_dscnt 0x2
	v_pk_add_f32 v[120:121], v[124:125], v[120:121]
	s_delay_alu instid0(VALU_DEP_1) | instskip(SKIP_3) | instid1(VALU_DEP_1)
	v_pk_add_f32 v[124:125], v[120:121], v[122:123]
	ds_load_2addr_b64 v[120:123], v102 offset0:11 offset1:12
	s_wait_dscnt 0x2
	v_pk_add_f32 v[112:113], v[124:125], v[112:113]
	v_pk_add_f32 v[112:113], v[112:113], v[114:115]
	s_wait_dscnt 0x1
	s_delay_alu instid0(VALU_DEP_1)
	v_pk_add_f32 v[116:117], v[112:113], v[116:117]
	ds_load_2addr_b64 v[112:115], v102 offset0:13 offset1:14
	v_pk_add_f32 v[116:117], v[116:117], v[118:119]
	ds_load_b64 v[118:119], v103
	s_wait_dscnt 0x2
	v_pk_add_f32 v[116:117], v[116:117], v[120:121]
	s_delay_alu instid0(VALU_DEP_1) | instskip(SKIP_1) | instid1(VALU_DEP_1)
	v_pk_add_f32 v[116:117], v[116:117], v[122:123]
	s_wait_dscnt 0x1
	v_pk_add_f32 v[112:113], v[116:117], v[112:113]
	s_delay_alu instid0(VALU_DEP_1) | instskip(SKIP_1) | instid1(VALU_DEP_1)
	v_pk_add_f32 v[112:113], v[112:113], v[114:115]
	s_wait_dscnt 0x0
	v_pk_add_f32 v[112:113], v[112:113], v[118:119]
	global_store_b64 v111, v[112:113], s[0:1] scale_offset
	s_branch .LBB40_106
.LBB40_111:                             ;   in Loop: Header=BB40_4 Depth=1
	ds_store_b64 v104, v[50:51]
	s_wait_dscnt 0x0
	s_barrier_signal -1
	s_barrier_wait -1
	s_and_saveexec_b32 s27, s33
	s_cbranch_execz .LBB40_2
; %bb.112:                              ;   in Loop: Header=BB40_4 Depth=1
	ds_load_2addr_b64 v[0:3], v33 offset1:67
	ds_load_2addr_b64 v[4:7], v33 offset0:134 offset1:201
	s_wait_dscnt 0x1
	v_pk_add_f32 v[0:1], v[2:3], v[0:1]
	v_lshl_add_u64 v[2:3], v[36:37], 3, s[0:1]
	s_wait_dscnt 0x0
	s_delay_alu instid0(VALU_DEP_2) | instskip(NEXT) | instid1(VALU_DEP_1)
	v_pk_add_f32 v[0:1], v[4:5], v[0:1]
	v_pk_add_f32 v[0:1], v[0:1], v[6:7]
	global_store_b64 v[2:3], v[0:1], off
	s_branch .LBB40_2
.LBB40_113:
	s_sendmsg sendmsg(MSG_DEALLOC_VGPRS)
	s_endpgm
	.section	.rodata,"a",@progbits
	.p2align	6, 0x0
	.amdhsa_kernel _ZL26rocblas_hemvn_kernel_lowerILb1ELi64ELi4ELi33ELi32ELi16ElPK19rocblas_complex_numIfEPKS3_PS1_EviT6_lT7_lT5_lS8_lS9_lS7_lT8_i
		.amdhsa_group_segment_fixed_size 9600
		.amdhsa_private_segment_fixed_size 0
		.amdhsa_kernarg_size 376
		.amdhsa_user_sgpr_count 2
		.amdhsa_user_sgpr_dispatch_ptr 0
		.amdhsa_user_sgpr_queue_ptr 0
		.amdhsa_user_sgpr_kernarg_segment_ptr 1
		.amdhsa_user_sgpr_dispatch_id 0
		.amdhsa_user_sgpr_kernarg_preload_length 0
		.amdhsa_user_sgpr_kernarg_preload_offset 0
		.amdhsa_user_sgpr_private_segment_size 0
		.amdhsa_wavefront_size32 1
		.amdhsa_uses_dynamic_stack 0
		.amdhsa_enable_private_segment 0
		.amdhsa_system_sgpr_workgroup_id_x 1
		.amdhsa_system_sgpr_workgroup_id_y 0
		.amdhsa_system_sgpr_workgroup_id_z 1
		.amdhsa_system_sgpr_workgroup_info 0
		.amdhsa_system_vgpr_workitem_id 1
		.amdhsa_next_free_vgpr 139
		.amdhsa_next_free_sgpr 105
		.amdhsa_named_barrier_count 0
		.amdhsa_reserve_vcc 1
		.amdhsa_float_round_mode_32 0
		.amdhsa_float_round_mode_16_64 0
		.amdhsa_float_denorm_mode_32 3
		.amdhsa_float_denorm_mode_16_64 3
		.amdhsa_fp16_overflow 0
		.amdhsa_memory_ordered 1
		.amdhsa_forward_progress 1
		.amdhsa_inst_pref_size 62
		.amdhsa_round_robin_scheduling 0
		.amdhsa_exception_fp_ieee_invalid_op 0
		.amdhsa_exception_fp_denorm_src 0
		.amdhsa_exception_fp_ieee_div_zero 0
		.amdhsa_exception_fp_ieee_overflow 0
		.amdhsa_exception_fp_ieee_underflow 0
		.amdhsa_exception_fp_ieee_inexact 0
		.amdhsa_exception_int_div_zero 0
	.end_amdhsa_kernel
	.section	.text._ZL26rocblas_hemvn_kernel_lowerILb1ELi64ELi4ELi33ELi32ELi16ElPK19rocblas_complex_numIfEPKS3_PS1_EviT6_lT7_lT5_lS8_lS9_lS7_lT8_i,"axG",@progbits,_ZL26rocblas_hemvn_kernel_lowerILb1ELi64ELi4ELi33ELi32ELi16ElPK19rocblas_complex_numIfEPKS3_PS1_EviT6_lT7_lT5_lS8_lS9_lS7_lT8_i,comdat
.Lfunc_end40:
	.size	_ZL26rocblas_hemvn_kernel_lowerILb1ELi64ELi4ELi33ELi32ELi16ElPK19rocblas_complex_numIfEPKS3_PS1_EviT6_lT7_lT5_lS8_lS9_lS7_lT8_i, .Lfunc_end40-_ZL26rocblas_hemvn_kernel_lowerILb1ELi64ELi4ELi33ELi32ELi16ElPK19rocblas_complex_numIfEPKS3_PS1_EviT6_lT7_lT5_lS8_lS9_lS7_lT8_i
                                        ; -- End function
	.set _ZL26rocblas_hemvn_kernel_lowerILb1ELi64ELi4ELi33ELi32ELi16ElPK19rocblas_complex_numIfEPKS3_PS1_EviT6_lT7_lT5_lS8_lS9_lS7_lT8_i.num_vgpr, 139
	.set _ZL26rocblas_hemvn_kernel_lowerILb1ELi64ELi4ELi33ELi32ELi16ElPK19rocblas_complex_numIfEPKS3_PS1_EviT6_lT7_lT5_lS8_lS9_lS7_lT8_i.num_agpr, 0
	.set _ZL26rocblas_hemvn_kernel_lowerILb1ELi64ELi4ELi33ELi32ELi16ElPK19rocblas_complex_numIfEPKS3_PS1_EviT6_lT7_lT5_lS8_lS9_lS7_lT8_i.numbered_sgpr, 105
	.set _ZL26rocblas_hemvn_kernel_lowerILb1ELi64ELi4ELi33ELi32ELi16ElPK19rocblas_complex_numIfEPKS3_PS1_EviT6_lT7_lT5_lS8_lS9_lS7_lT8_i.num_named_barrier, 0
	.set _ZL26rocblas_hemvn_kernel_lowerILb1ELi64ELi4ELi33ELi32ELi16ElPK19rocblas_complex_numIfEPKS3_PS1_EviT6_lT7_lT5_lS8_lS9_lS7_lT8_i.private_seg_size, 0
	.set _ZL26rocblas_hemvn_kernel_lowerILb1ELi64ELi4ELi33ELi32ELi16ElPK19rocblas_complex_numIfEPKS3_PS1_EviT6_lT7_lT5_lS8_lS9_lS7_lT8_i.uses_vcc, 1
	.set _ZL26rocblas_hemvn_kernel_lowerILb1ELi64ELi4ELi33ELi32ELi16ElPK19rocblas_complex_numIfEPKS3_PS1_EviT6_lT7_lT5_lS8_lS9_lS7_lT8_i.uses_flat_scratch, 1
	.set _ZL26rocblas_hemvn_kernel_lowerILb1ELi64ELi4ELi33ELi32ELi16ElPK19rocblas_complex_numIfEPKS3_PS1_EviT6_lT7_lT5_lS8_lS9_lS7_lT8_i.has_dyn_sized_stack, 0
	.set _ZL26rocblas_hemvn_kernel_lowerILb1ELi64ELi4ELi33ELi32ELi16ElPK19rocblas_complex_numIfEPKS3_PS1_EviT6_lT7_lT5_lS8_lS9_lS7_lT8_i.has_recursion, 0
	.set _ZL26rocblas_hemvn_kernel_lowerILb1ELi64ELi4ELi33ELi32ELi16ElPK19rocblas_complex_numIfEPKS3_PS1_EviT6_lT7_lT5_lS8_lS9_lS7_lT8_i.has_indirect_call, 0
	.section	.AMDGPU.csdata,"",@progbits
; Kernel info:
; codeLenInByte = 7868
; TotalNumSgprs: 107
; NumVgprs: 139
; ScratchSize: 0
; MemoryBound: 1
; FloatMode: 240
; IeeeMode: 1
; LDSByteSize: 9600 bytes/workgroup (compile time only)
; SGPRBlocks: 0
; VGPRBlocks: 8
; NumSGPRsForWavesPerEU: 107
; NumVGPRsForWavesPerEU: 139
; NamedBarCnt: 0
; Occupancy: 7
; WaveLimiterHint : 1
; COMPUTE_PGM_RSRC2:SCRATCH_EN: 0
; COMPUTE_PGM_RSRC2:USER_SGPR: 2
; COMPUTE_PGM_RSRC2:TRAP_HANDLER: 0
; COMPUTE_PGM_RSRC2:TGID_X_EN: 1
; COMPUTE_PGM_RSRC2:TGID_Y_EN: 0
; COMPUTE_PGM_RSRC2:TGID_Z_EN: 1
; COMPUTE_PGM_RSRC2:TIDIG_COMP_CNT: 1
	.section	.text._ZL36rocblas_hemvn_kernel_lower_block_sumILi64ElPK19rocblas_complex_numIfEPKPS1_S1_EviT1_lS7_lT2_lT0_lPT3_i,"axG",@progbits,_ZL36rocblas_hemvn_kernel_lower_block_sumILi64ElPK19rocblas_complex_numIfEPKPS1_S1_EviT1_lS7_lT2_lT0_lPT3_i,comdat
	.globl	_ZL36rocblas_hemvn_kernel_lower_block_sumILi64ElPK19rocblas_complex_numIfEPKPS1_S1_EviT1_lS7_lT2_lT0_lPT3_i ; -- Begin function _ZL36rocblas_hemvn_kernel_lower_block_sumILi64ElPK19rocblas_complex_numIfEPKPS1_S1_EviT1_lS7_lT2_lT0_lPT3_i
	.p2align	8
	.type	_ZL36rocblas_hemvn_kernel_lower_block_sumILi64ElPK19rocblas_complex_numIfEPKPS1_S1_EviT1_lS7_lT2_lT0_lPT3_i,@function
_ZL36rocblas_hemvn_kernel_lower_block_sumILi64ElPK19rocblas_complex_numIfEPKPS1_S1_EviT1_lS7_lT2_lT0_lPT3_i: ; @_ZL36rocblas_hemvn_kernel_lower_block_sumILi64ElPK19rocblas_complex_numIfEPKPS1_S1_EviT1_lS7_lT2_lT0_lPT3_i
; %bb.0:
	s_load_b32 s3, s[0:1], 0x50
	s_bfe_u32 s2, ttmp6, 0x40014
	s_lshr_b32 s4, ttmp7, 16
	s_add_co_i32 s2, s2, 1
	s_bfe_u32 s6, ttmp6, 0x40008
	s_mul_i32 s5, s4, s2
	s_getreg_b32 s2, hwreg(HW_REG_IB_STS2, 6, 4)
	s_add_co_i32 s6, s6, s5
	s_cmp_eq_u32 s2, 0
	s_mov_b32 s13, 0
	s_cselect_b32 s12, s4, s6
	s_wait_kmcnt 0x0
	s_cmp_ge_u32 s12, s3
	s_cbranch_scc1 .LBB41_21
; %bb.1:
	s_clause 0x1
	s_load_b128 s[20:23], s[0:1], 0x30
	s_load_b32 s18, s[0:1], 0x0
	s_bfe_u32 s4, ttmp6, 0x4000c
	s_and_b32 s5, ttmp6, 15
	s_add_co_i32 s4, s4, 1
	s_load_b64 s[16:17], s[0:1], 0x48
	s_mul_i32 s4, ttmp9, s4
	v_mov_b32_e32 v16, 0
	s_add_co_i32 s5, s5, s4
	s_cmp_eq_u32 s2, 0
	s_cselect_b32 s24, ttmp9, s5
	s_clause 0x1
	s_load_b64 s[14:15], s[0:1], 0x28
	s_load_b256 s[4:11], s[0:1], 0x8
	v_lshl_or_b32 v2, s24, 6, v0
	s_wait_kmcnt 0x0
	s_lshl_b64 s[20:21], s[20:21], 3
	s_delay_alu instid0(VALU_DEP_1) | instskip(SKIP_3) | instid1(SALU_CYCLE_1)
	v_mad_u32 v4, s18, s24, v2
	v_ashrrev_i32_e32 v3, 31, v2
	v_cmp_gt_i32_e64 s2, s18, v2
	s_ashr_i32 s19, s18, 31
	s_lshl_b64 s[18:19], s[18:19], 3
	v_ashrrev_i32_e32 v5, 31, v4
	v_mul_u64_e32 v[0:1], s[22:23], v[2:3]
	s_delay_alu instid0(VALU_DEP_2)
	v_lshl_add_u64 v[2:3], v[4:5], 3, s[16:17]
	s_add_nc_u64 s[16:17], s[0:1], 0x58
	s_branch .LBB41_5
.LBB41_2:                               ;   in Loop: Header=BB41_5 Depth=1
	flat_store_b64 v[14:15], v[12:13]
.LBB41_3:                               ;   in Loop: Header=BB41_5 Depth=1
	s_wait_xcnt 0x0
	s_or_b32 exec_lo, exec_lo, s25
.LBB41_4:                               ;   in Loop: Header=BB41_5 Depth=1
	s_add_co_i32 s12, s12, 0x10000
	s_delay_alu instid0(SALU_CYCLE_1)
	s_cmp_lt_u32 s12, s3
	s_cbranch_scc0 .LBB41_21
.LBB41_5:                               ; =>This Loop Header: Depth=1
                                        ;     Child Loop BB41_16 Depth 2
	s_mul_u64 s[0:1], s[6:7], s[12:13]
	s_delay_alu instid0(SALU_CYCLE_1) | instskip(NEXT) | instid1(SALU_CYCLE_1)
	s_lshl_b64 s[0:1], s[0:1], 3
	s_add_nc_u64 s[0:1], s[4:5], s[0:1]
	global_load_b64 v[4:5], v16, s[0:1]
	s_wait_xcnt 0x0
	s_mul_u64 s[0:1], s[10:11], s[12:13]
	s_delay_alu instid0(SALU_CYCLE_1) | instskip(NEXT) | instid1(SALU_CYCLE_1)
	s_lshl_b64 s[0:1], s[0:1], 3
	s_add_nc_u64 s[0:1], s[8:9], s[0:1]
	global_load_b64 v[6:7], v16, s[0:1]
	s_wait_loadcnt 0x1
	v_or_b32_e32 v8, v4, v5
	s_delay_alu instid0(VALU_DEP_1)
	v_and_b32_e32 v8, 0x7fffffff, v8
	s_wait_loadcnt 0x0
	v_cmp_eq_f32_e32 vcc_lo, 1.0, v6
	s_wait_xcnt 0x0
	v_cmp_eq_f32_e64 s1, 0, v7
	v_cmp_eq_u32_e64 s0, 0, v8
	s_and_b32 s1, vcc_lo, s1
	s_delay_alu instid0(SALU_CYCLE_1) | instskip(NEXT) | instid1(SALU_CYCLE_1)
	s_and_b32 s1, s0, s1
	s_and_b32 vcc_lo, exec_lo, s1
	s_cbranch_vccnz .LBB41_4
; %bb.6:                                ;   in Loop: Header=BB41_5 Depth=1
	s_lshl_b64 s[22:23], s[12:13], 3
	s_and_not1_b32 vcc_lo, exec_lo, s0
	s_add_nc_u64 s[22:23], s[14:15], s[22:23]
	s_mov_b32 s0, -1
	s_load_b64 s[22:23], s[22:23], 0x0
	s_wait_kmcnt 0x0
	s_wait_xcnt 0x0
	s_add_nc_u64 s[22:23], s[22:23], s[20:21]
	s_cbranch_vccnz .LBB41_12
; %bb.7:                                ;   in Loop: Header=BB41_5 Depth=1
	s_and_saveexec_b32 s1, s2
	s_cbranch_execz .LBB41_11
; %bb.8:                                ;   in Loop: Header=BB41_5 Depth=1
	v_cmp_neq_f32_e32 vcc_lo, 0, v6
	v_cmp_neq_f32_e64 s0, 0, v7
	v_dual_mov_b32 v8, 0 :: v_dual_mov_b32 v9, 0
	s_or_b32 s0, vcc_lo, s0
	s_delay_alu instid0(SALU_CYCLE_1)
	s_and_not1_b32 vcc_lo, exec_lo, s0
	s_cbranch_vccnz .LBB41_10
; %bb.9:                                ;   in Loop: Header=BB41_5 Depth=1
	v_lshl_add_u64 v[8:9], v[0:1], 3, s[22:23]
	flat_load_b64 v[8:9], v[8:9]
	s_wait_loadcnt_dscnt 0x0
	v_pk_mul_f32 v[10:11], v[8:9], v[6:7] op_sel:[1,1] op_sel_hi:[1,0]
	s_delay_alu instid0(VALU_DEP_1) | instskip(SKIP_2) | instid1(VALU_DEP_2)
	v_pk_fma_f32 v[12:13], v[8:9], v[6:7], v[10:11] op_sel_hi:[0,1,1]
	s_wait_xcnt 0x0
	v_pk_fma_f32 v[8:9], v[8:9], v[6:7], v[10:11] neg_lo:[0,0,1] neg_hi:[0,0,1]
	v_mov_b32_e32 v9, v13
.LBB41_10:                              ;   in Loop: Header=BB41_5 Depth=1
	v_lshl_add_u64 v[10:11], v[0:1], 3, s[22:23]
	flat_store_b64 v[10:11], v[8:9]
.LBB41_11:                              ;   in Loop: Header=BB41_5 Depth=1
	s_wait_xcnt 0x0
	s_or_b32 exec_lo, exec_lo, s1
	s_mov_b32 s0, 0
.LBB41_12:                              ;   in Loop: Header=BB41_5 Depth=1
	s_delay_alu instid0(SALU_CYCLE_1)
	s_and_not1_b32 vcc_lo, exec_lo, s0
	s_cbranch_vccnz .LBB41_4
; %bb.13:                               ;   in Loop: Header=BB41_5 Depth=1
	s_and_saveexec_b32 s25, s2
	s_cbranch_execz .LBB41_3
; %bb.14:                               ;   in Loop: Header=BB41_5 Depth=1
	s_load_b32 s0, s[16:17], 0x0
	v_mov_b32_e32 v9, 0
	s_delay_alu instid0(VALU_DEP_1)
	v_mov_b32_e32 v8, v9
	s_wait_kmcnt 0x0
	s_cmp_ge_i32 s24, s0
	s_cbranch_scc1 .LBB41_17
; %bb.15:                               ;   in Loop: Header=BB41_5 Depth=1
	s_mov_b32 s1, s13
	v_mov_b32_e32 v8, 0
	s_mul_u64 s[26:27], s[18:19], s[0:1]
	s_mov_b32 s1, s24
	v_mad_nc_u64_u32 v[10:11], s26, s12, v[2:3]
	s_delay_alu instid0(VALU_DEP_2) | instskip(NEXT) | instid1(VALU_DEP_2)
	v_mov_b32_e32 v9, v8
	v_mad_u32 v11, s27, s12, v11
.LBB41_16:                              ;   Parent Loop BB41_5 Depth=1
                                        ; =>  This Inner Loop Header: Depth=2
	global_load_b64 v[12:13], v[10:11], off
	s_wait_xcnt 0x0
	v_add_nc_u64_e32 v[10:11], s[18:19], v[10:11]
	s_add_co_i32 s1, s1, 1
	s_delay_alu instid0(SALU_CYCLE_1)
	s_cmp_ge_i32 s1, s0
	s_wait_loadcnt 0x0
	v_pk_add_f32 v[8:9], v[8:9], v[12:13]
	s_cbranch_scc0 .LBB41_16
.LBB41_17:                              ;   in Loop: Header=BB41_5 Depth=1
	v_cmp_neq_f32_e32 vcc_lo, 0, v6
	v_cmp_neq_f32_e64 s0, 0, v7
	s_delay_alu instid0(VALU_DEP_3) | instskip(SKIP_1) | instid1(SALU_CYCLE_1)
	v_pk_mul_f32 v[10:11], v[8:9], v[4:5] op_sel:[1,1] op_sel_hi:[1,0]
                                        ; implicit-def: $vgpr13
	s_or_b32 s0, vcc_lo, s0
	s_and_not1_b32 vcc_lo, exec_lo, s0
	s_mov_b32 s0, -1
	s_cbranch_vccz .LBB41_19
; %bb.18:                               ;   in Loop: Header=BB41_5 Depth=1
	v_pk_mul_f32 v[14:15], v[8:9], v[4:5] op_sel_hi:[0,1]
	v_pk_fma_f32 v[12:13], v[8:9], v[4:5], v[10:11] op_sel_hi:[0,1,1]
	s_mov_b32 s0, 0
	s_delay_alu instid0(VALU_DEP_2)
	v_sub_f32_e32 v12, v14, v10
.LBB41_19:                              ;   in Loop: Header=BB41_5 Depth=1
	v_lshl_add_u64 v[14:15], v[0:1], 3, s[22:23]
	s_and_not1_b32 vcc_lo, exec_lo, s0
	s_cbranch_vccnz .LBB41_2
; %bb.20:                               ;   in Loop: Header=BB41_5 Depth=1
	flat_load_b64 v[12:13], v[14:15]
	v_pk_fma_f32 v[22:23], v[8:9], v[4:5], v[10:11] op_sel_hi:[0,1,1]
	v_pk_fma_f32 v[4:5], v[8:9], v[4:5], v[10:11] neg_lo:[0,0,1] neg_hi:[0,0,1]
	s_delay_alu instid0(VALU_DEP_2) | instskip(SKIP_2) | instid1(VALU_DEP_1)
	v_mov_b32_e32 v5, v23
	s_wait_loadcnt_dscnt 0x0
	v_pk_mul_f32 v[18:19], v[12:13], v[6:7] op_sel:[1,1] op_sel_hi:[1,0]
	v_pk_fma_f32 v[20:21], v[12:13], v[6:7], v[18:19] op_sel_hi:[0,1,1]
	v_pk_fma_f32 v[6:7], v[12:13], v[6:7], v[18:19] neg_lo:[0,0,1] neg_hi:[0,0,1]
	s_delay_alu instid0(VALU_DEP_2) | instskip(NEXT) | instid1(VALU_DEP_1)
	v_mov_b32_e32 v7, v21
	v_pk_add_f32 v[12:13], v[4:5], v[6:7]
	s_branch .LBB41_2
.LBB41_21:
	s_endpgm
	.section	.rodata,"a",@progbits
	.p2align	6, 0x0
	.amdhsa_kernel _ZL36rocblas_hemvn_kernel_lower_block_sumILi64ElPK19rocblas_complex_numIfEPKPS1_S1_EviT1_lS7_lT2_lT0_lPT3_i
		.amdhsa_group_segment_fixed_size 0
		.amdhsa_private_segment_fixed_size 0
		.amdhsa_kernarg_size 344
		.amdhsa_user_sgpr_count 2
		.amdhsa_user_sgpr_dispatch_ptr 0
		.amdhsa_user_sgpr_queue_ptr 0
		.amdhsa_user_sgpr_kernarg_segment_ptr 1
		.amdhsa_user_sgpr_dispatch_id 0
		.amdhsa_user_sgpr_kernarg_preload_length 0
		.amdhsa_user_sgpr_kernarg_preload_offset 0
		.amdhsa_user_sgpr_private_segment_size 0
		.amdhsa_wavefront_size32 1
		.amdhsa_uses_dynamic_stack 0
		.amdhsa_enable_private_segment 0
		.amdhsa_system_sgpr_workgroup_id_x 1
		.amdhsa_system_sgpr_workgroup_id_y 0
		.amdhsa_system_sgpr_workgroup_id_z 1
		.amdhsa_system_sgpr_workgroup_info 0
		.amdhsa_system_vgpr_workitem_id 0
		.amdhsa_next_free_vgpr 24
		.amdhsa_next_free_sgpr 28
		.amdhsa_named_barrier_count 0
		.amdhsa_reserve_vcc 1
		.amdhsa_float_round_mode_32 0
		.amdhsa_float_round_mode_16_64 0
		.amdhsa_float_denorm_mode_32 3
		.amdhsa_float_denorm_mode_16_64 3
		.amdhsa_fp16_overflow 0
		.amdhsa_memory_ordered 1
		.amdhsa_forward_progress 1
		.amdhsa_inst_pref_size 7
		.amdhsa_round_robin_scheduling 0
		.amdhsa_exception_fp_ieee_invalid_op 0
		.amdhsa_exception_fp_denorm_src 0
		.amdhsa_exception_fp_ieee_div_zero 0
		.amdhsa_exception_fp_ieee_overflow 0
		.amdhsa_exception_fp_ieee_underflow 0
		.amdhsa_exception_fp_ieee_inexact 0
		.amdhsa_exception_int_div_zero 0
	.end_amdhsa_kernel
	.section	.text._ZL36rocblas_hemvn_kernel_lower_block_sumILi64ElPK19rocblas_complex_numIfEPKPS1_S1_EviT1_lS7_lT2_lT0_lPT3_i,"axG",@progbits,_ZL36rocblas_hemvn_kernel_lower_block_sumILi64ElPK19rocblas_complex_numIfEPKPS1_S1_EviT1_lS7_lT2_lT0_lPT3_i,comdat
.Lfunc_end41:
	.size	_ZL36rocblas_hemvn_kernel_lower_block_sumILi64ElPK19rocblas_complex_numIfEPKPS1_S1_EviT1_lS7_lT2_lT0_lPT3_i, .Lfunc_end41-_ZL36rocblas_hemvn_kernel_lower_block_sumILi64ElPK19rocblas_complex_numIfEPKPS1_S1_EviT1_lS7_lT2_lT0_lPT3_i
                                        ; -- End function
	.set _ZL36rocblas_hemvn_kernel_lower_block_sumILi64ElPK19rocblas_complex_numIfEPKPS1_S1_EviT1_lS7_lT2_lT0_lPT3_i.num_vgpr, 24
	.set _ZL36rocblas_hemvn_kernel_lower_block_sumILi64ElPK19rocblas_complex_numIfEPKPS1_S1_EviT1_lS7_lT2_lT0_lPT3_i.num_agpr, 0
	.set _ZL36rocblas_hemvn_kernel_lower_block_sumILi64ElPK19rocblas_complex_numIfEPKPS1_S1_EviT1_lS7_lT2_lT0_lPT3_i.numbered_sgpr, 28
	.set _ZL36rocblas_hemvn_kernel_lower_block_sumILi64ElPK19rocblas_complex_numIfEPKPS1_S1_EviT1_lS7_lT2_lT0_lPT3_i.num_named_barrier, 0
	.set _ZL36rocblas_hemvn_kernel_lower_block_sumILi64ElPK19rocblas_complex_numIfEPKPS1_S1_EviT1_lS7_lT2_lT0_lPT3_i.private_seg_size, 0
	.set _ZL36rocblas_hemvn_kernel_lower_block_sumILi64ElPK19rocblas_complex_numIfEPKPS1_S1_EviT1_lS7_lT2_lT0_lPT3_i.uses_vcc, 1
	.set _ZL36rocblas_hemvn_kernel_lower_block_sumILi64ElPK19rocblas_complex_numIfEPKPS1_S1_EviT1_lS7_lT2_lT0_lPT3_i.uses_flat_scratch, 0
	.set _ZL36rocblas_hemvn_kernel_lower_block_sumILi64ElPK19rocblas_complex_numIfEPKPS1_S1_EviT1_lS7_lT2_lT0_lPT3_i.has_dyn_sized_stack, 0
	.set _ZL36rocblas_hemvn_kernel_lower_block_sumILi64ElPK19rocblas_complex_numIfEPKPS1_S1_EviT1_lS7_lT2_lT0_lPT3_i.has_recursion, 0
	.set _ZL36rocblas_hemvn_kernel_lower_block_sumILi64ElPK19rocblas_complex_numIfEPKPS1_S1_EviT1_lS7_lT2_lT0_lPT3_i.has_indirect_call, 0
	.section	.AMDGPU.csdata,"",@progbits
; Kernel info:
; codeLenInByte = 888
; TotalNumSgprs: 30
; NumVgprs: 24
; ScratchSize: 0
; MemoryBound: 0
; FloatMode: 240
; IeeeMode: 1
; LDSByteSize: 0 bytes/workgroup (compile time only)
; SGPRBlocks: 0
; VGPRBlocks: 1
; NumSGPRsForWavesPerEU: 30
; NumVGPRsForWavesPerEU: 24
; NamedBarCnt: 0
; Occupancy: 16
; WaveLimiterHint : 1
; COMPUTE_PGM_RSRC2:SCRATCH_EN: 0
; COMPUTE_PGM_RSRC2:USER_SGPR: 2
; COMPUTE_PGM_RSRC2:TRAP_HANDLER: 0
; COMPUTE_PGM_RSRC2:TGID_X_EN: 1
; COMPUTE_PGM_RSRC2:TGID_Y_EN: 0
; COMPUTE_PGM_RSRC2:TGID_Z_EN: 1
; COMPUTE_PGM_RSRC2:TIDIG_COMP_CNT: 0
	.section	.text._ZL26rocblas_hemvn_kernel_lowerILb1ELi64ELi4ELi33ELi32ELi16EiPK19rocblas_complex_numIfEPKS3_PS1_EviT6_lT7_lT5_lS8_lS9_lS7_lT8_i,"axG",@progbits,_ZL26rocblas_hemvn_kernel_lowerILb1ELi64ELi4ELi33ELi32ELi16EiPK19rocblas_complex_numIfEPKS3_PS1_EviT6_lT7_lT5_lS8_lS9_lS7_lT8_i,comdat
	.globl	_ZL26rocblas_hemvn_kernel_lowerILb1ELi64ELi4ELi33ELi32ELi16EiPK19rocblas_complex_numIfEPKS3_PS1_EviT6_lT7_lT5_lS8_lS9_lS7_lT8_i ; -- Begin function _ZL26rocblas_hemvn_kernel_lowerILb1ELi64ELi4ELi33ELi32ELi16EiPK19rocblas_complex_numIfEPKS3_PS1_EviT6_lT7_lT5_lS8_lS9_lS7_lT8_i
	.p2align	8
	.type	_ZL26rocblas_hemvn_kernel_lowerILb1ELi64ELi4ELi33ELi32ELi16EiPK19rocblas_complex_numIfEPKS3_PS1_EviT6_lT7_lT5_lS8_lS9_lS7_lT8_i,@function
_ZL26rocblas_hemvn_kernel_lowerILb1ELi64ELi4ELi33ELi32ELi16EiPK19rocblas_complex_numIfEPKS3_PS1_EviT6_lT7_lT5_lS8_lS9_lS7_lT8_i: ; @_ZL26rocblas_hemvn_kernel_lowerILb1ELi64ELi4ELi33ELi32ELi16EiPK19rocblas_complex_numIfEPKS3_PS1_EviT6_lT7_lT5_lS8_lS9_lS7_lT8_i
; %bb.0:
	s_clause 0x1
	s_load_b64 s[4:5], s[0:1], 0x84
	s_load_b32 s104, s[0:1], 0x70
	s_bfe_u32 s2, ttmp6, 0x40014
	s_lshr_b32 s6, ttmp7, 16
	s_add_co_i32 s2, s2, 1
	s_bfe_u32 s7, ttmp6, 0x40008
	s_mul_i32 s2, s6, s2
	s_getreg_b32 s3, hwreg(HW_REG_IB_STS2, 6, 4)
	s_add_co_i32 s7, s7, s2
	s_mov_b32 s27, 0
	s_wait_kmcnt 0x0
	s_lshr_b32 s2, s4, 16
	s_and_b32 s4, s4, 0xffff
	s_and_b32 s5, s5, 0xffff
	s_mul_i32 s2, s2, s4
	s_cmp_eq_u32 s3, 0
	s_mul_i32 s2, s2, s5
	s_cselect_b32 s26, s6, s7
	s_cmp_lg_u32 s2, 0x100
	s_cselect_b32 s2, -1, 0
	s_cmp_ge_u32 s26, s104
	s_cselect_b32 s4, -1, 0
	s_delay_alu instid0(SALU_CYCLE_1) | instskip(NEXT) | instid1(SALU_CYCLE_1)
	s_or_b32 s2, s2, s4
	s_and_b32 vcc_lo, exec_lo, s2
	s_cbranch_vccnz .LBB42_113
; %bb.1:
	s_clause 0x1
	s_load_b32 s8, s[0:1], 0x0
	s_load_b32 s20, s[0:1], 0x28
	s_add_nc_u64 s[6:7], s[0:1], 0x78
	s_clause 0x2
	s_load_b128 s[28:31], s[0:1], 0x38
	s_load_b32 s22, s[0:1], 0x48
	s_load_b64 s[4:5], s[0:1], 0x68
	s_load_b32 s10, s[6:7], 0x0
	s_bfe_u32 s2, ttmp6, 0x4000c
	s_and_b32 s9, ttmp6, 15
	s_add_co_i32 s2, s2, 1
	v_and_b32_e32 v32, 0x3ff, v0
	s_wait_xcnt 0x0
	s_mul_i32 s6, ttmp9, s2
	v_bfe_u32 v1, v0, 10, 10
	s_add_co_i32 s6, s9, s6
                                        ; implicit-def: $vgpr140 : SGPR spill to VGPR lane
	v_mov_b32_e32 v35, 0
	s_mov_b32 s11, s27
	s_load_b128 s[44:47], s[0:1], 0x58
	v_lshl_add_u32 v2, v1, 6, v32
	v_and_b32_e32 v34, 31, v0
	v_cmp_eq_u32_e64 s2, 0, v1
	v_mov_b32_e32 v33, v35
	v_mov_b64_e32 v[50:51], 0
	s_wait_kmcnt 0x0
	s_ashr_i32 s9, s8, 31
	s_ashr_i32 s21, s20, 31
	s_cmp_eq_u32 s3, 0
	v_lshrrev_b32_e32 v3, 5, v2
	s_cselect_b32 s19, ttmp9, s6
	s_lshr_b32 s3, s9, 26
	s_add_co_i32 s6, s10, -1
	s_add_co_i32 s3, s8, s3
	s_lshl_b32 s36, s19, 6
	s_and_not1_b32 s3, s3, 63
	v_dual_add_nc_u32 v6, 8, v3 :: v_dual_add_nc_u32 v7, 16, v3
	s_sub_co_i32 s3, s8, s3
	s_cmp_eq_u32 s19, s6
	v_dual_add_nc_u32 v8, 24, v3 :: v_dual_lshlrev_b32 v9, 2, v3
	s_cselect_b32 s34, s3, 0
	v_lshlrev_b32_e32 v4, 3, v34
	s_cmp_eq_u32 s34, 0
	s_mul_i32 s38, s22, s36
	s_cselect_b32 s25, -1, 0
	s_cmp_lg_u32 s34, 0
	v_lshl_or_b32 v10, v34, 8, v4
	s_cselect_b32 s3, -1, 0
	s_sub_co_i32 s23, s34, 32
	s_ashr_i32 s39, s38, 31
	v_cmp_gt_i32_e64 s24, s23, v3
	v_and_b32_e32 v11, 0x7fe0, v2
	s_sub_nc_u64 s[38:39], 0, s[38:39]
	v_or_b32_e32 v12, 1, v9
	v_mul_u32_u24_e32 v14, 33, v34
	v_writelane_b32 v140, s24, 0
	v_cmp_gt_i32_e64 s24, s23, v6
	v_dual_add_nc_u32 v93, v10, v11 :: v_dual_bitop2_b32 v10, 2, v9 bitop3:0x54
	s_delay_alu instid0(VALU_DEP_4)
	v_lshlrev_b32_e32 v96, 3, v14
	s_mul_i32 s52, s20, s36
	v_writelane_b32 v140, s24, 1
	v_cmp_gt_i32_e64 s24, s23, v7
	v_cmp_gt_i32_e64 s23, s23, v8
	v_cmp_le_i32_e32 vcc_lo, s34, v32
	s_mul_i32 s6, s8, s19
	s_ashr_i32 s53, s52, 31
	v_writelane_b32 v140, s24, 2
	s_ashr_i32 s7, s6, 31
	s_mul_u64 s[48:49], s[10:11], s[8:9]
	v_cmp_ge_u32_e64 s9, v9, v34
	v_cmp_eq_u32_e64 s10, v9, v34
	v_writelane_b32 v140, s23, 3
	v_cmp_ge_u32_e64 s13, v10, v34
	v_or_b32_e32 v9, 3, v9
	v_cmp_eq_u32_e64 s14, v10, v34
	v_lshlrev_b32_e32 v10, 3, v3
	v_writelane_b32 v140, s38, 4
	v_dual_lshlrev_b32 v90, 3, v32 :: v_dual_add_nc_u32 v36, s36, v32
	s_lshl_b64 s[6:7], s[6:7], 3
	s_and_b32 s3, s3, vcc_lo
	v_writelane_b32 v140, s39, 5
	s_sub_nc_u64 s[38:39], 0, s[52:53]
	s_lshl_b32 s54, s20, 3
	s_lshl_b32 s56, s20, 4
	s_mul_i32 s58, s20, 24
	s_lshl_b32 s60, s20, 5
	v_writelane_b32 v140, s38, 6
	s_add_nc_u64 s[50:51], s[4:5], s[6:7]
	v_cmp_gt_i32_e64 s6, s34, v6
	v_mul_lo_u32 v6, v1, s20
	s_ashr_i32 s37, s36, 31
	s_ashr_i32 s55, s54, 31
	;; [unrolled: 1-line block ×5, first 2 shown]
	v_dual_add_nc_u32 v97, 24, v93 :: v_dual_add_nc_u32 v99, v96, v10
	s_ashr_i32 s61, s60, 31
	s_xor_b32 s40, s3, -1
	s_cmp_gt_i32 s19, 0
	v_mul_lo_u32 v38, s22, v36
	v_mad_u32 v40, s20, v3, v34
	s_cselect_b32 s33, -1, 0
	v_writelane_b32 v140, s39, 7
	s_and_b32 s64, s2, s40
	s_lshl_b64 s[102:103], s[36:37], 3
	s_load_b256 s[36:43], s[0:1], 0x8
	v_mul_u32_u24_e32 v5, 0x108, v3
	v_cmp_gt_i32_e64 s5, s34, v3
	v_cmp_gt_i32_e64 s7, s34, v7
	v_mul_u32_u24_e32 v13, 0x420, v3
	v_cmp_eq_u32_e64 s23, 1, v3
	v_mul_i32_i24_e32 v7, 0xffffffe8, v3
	v_mad_u32_u24 v100, v3, 24, v99
	v_lshrrev_b32_e32 v3, 4, v2
	v_cmp_gt_i32_e64 s8, s34, v8
	v_cmp_ge_u32_e64 s15, v9, v34
	v_cmp_eq_u32_e64 s16, v9, v34
	v_lshl_add_u32 v44, v6, 2, v32
	v_or_b32_e32 v9, 32, v34
	v_and_b32_e32 v6, 15, v0
	v_dual_lshlrev_b32 v8, 5, v3 :: v_dual_bitop2_b32 v0, 48, v0 bitop3:0x40
	v_dual_ashrrev_i32 v39, 31, v38 :: v_dual_ashrrev_i32 v41, 31, v40
	v_add_nc_u32_e32 v98, 0x2380, v11
	v_cmp_ge_u32_e64 s11, v12, v34
	v_cmp_eq_u32_e64 s12, v12, v34
	v_mul_u32_u24_e32 v12, 0x108, v12
	v_ashrrev_i32_e32 v45, 31, v44
	v_cmp_gt_i32_e64 s18, s34, v9
	v_dual_lshlrev_b32 v0, 3, v0 :: v_dual_add_nc_u32 v108, v4, v5
	v_or_b32_e32 v9, 0x78, v90
	v_mad_u32_u24 v103, 0x218, v6, v8
	v_mul_i32_i24_e32 v3, 0xffffffe8, v3
	v_sub_nc_u64_e32 v[42:43], 0, v[34:35]
	v_sub_nc_u64_e32 v[46:47], 0, v[40:41]
	;; [unrolled: 1-line block ×3, first 2 shown]
	v_add_nc_u32_e32 v91, 0x2380, v90
	v_cmp_gt_i32_e64 s4, s34, v34
	v_mad_u32_u24 v92, 0x108, v34, v4
	v_dual_add_nc_u32 v94, 8, v93 :: v_dual_add_nc_u32 v95, 16, v93
	v_cmp_gt_u32_e64 s17, 32, v2
	v_add_nc_u32_e32 v33, 0x2180, v90
	v_lshl_add_u32 v101, v1, 5, 0x2180
	v_mad_u32_u24 v102, 0x860, v1, v90
	v_cmp_gt_u32_e64 s24, 64, v2
	v_mad_u32_u24 v104, 0x218, v6, v0
	v_mad_u32_u24 v105, 0x218, v6, v9
	;; [unrolled: 1-line block ×3, first 2 shown]
	v_dual_ashrrev_i32 v37, 31, v36 :: v_dual_add_nc_u32 v109, v4, v13
	v_add_nc_u32_e32 v107, 0x2380, v10
	v_dual_add_nc_u32 v110, v4, v12 :: v_dual_add_nc_u32 v111, v98, v7
	v_dual_add_nc_u32 v112, v103, v3 :: v_dual_lshlrev_b32 v34, 3, v34
	s_sub_nc_u64 s[62:63], 0, s[60:61]
	s_lshl_b32 s22, s22, 6
	s_lshl_b64 s[68:69], s[20:21], 6
	s_lshl_b64 s[70:71], s[20:21], 3
	;; [unrolled: 1-line block ×4, first 2 shown]
	s_mul_u64 s[76:77], s[20:21], 24
	s_mul_u64 s[78:79], s[20:21], 0x90
	s_mul_u64 s[80:81], s[20:21], 0x98
	s_mul_u64 s[82:83], s[20:21], 0x110
	s_mul_u64 s[84:85], s[20:21], 0x118
	s_mul_u64 s[86:87], s[20:21], 0x190
	s_mul_u64 s[88:89], s[20:21], 0x198
	s_mul_u64 s[90:91], s[20:21], 0x188
	s_mul_u64 s[92:93], s[20:21], 0x180
	s_mul_u64 s[94:95], s[20:21], 0x108
	s_lshl_b64 s[96:97], s[20:21], 8
	s_mul_u64 s[98:99], s[20:21], 0x88
	s_lshl_b64 s[100:101], s[20:21], 7
	s_sub_nc_u64 s[20:21], 0, s[34:35]
	s_lshl_b64 s[30:31], s[30:31], 3
	s_wait_kmcnt 0x0
	s_lshl_b64 s[42:43], s[42:43], 3
	s_branch .LBB42_4
.LBB42_2:                               ;   in Loop: Header=BB42_4 Depth=1
	s_wait_xcnt 0x0
	s_or_b32 exec_lo, exec_lo, s65
.LBB42_3:                               ;   in Loop: Header=BB42_4 Depth=1
	s_add_co_i32 s26, s26, 0x10000
	s_delay_alu instid0(SALU_CYCLE_1)
	s_cmp_lt_u32 s26, s104
	s_cbranch_scc0 .LBB42_113
.LBB42_4:                               ; =>This Loop Header: Depth=1
                                        ;     Child Loop BB42_107 Depth 2
	s_mul_u64 s[0:1], s[38:39], s[26:27]
	s_delay_alu instid0(SALU_CYCLE_1) | instskip(NEXT) | instid1(SALU_CYCLE_1)
	s_lshl_b64 s[0:1], s[0:1], 3
	s_add_nc_u64 s[0:1], s[36:37], s[0:1]
	global_load_b64 v[0:1], v35, s[0:1]
	s_wait_xcnt 0x0
	s_mov_b32 s0, -1
	s_wait_loadcnt 0x0
	v_or_b32_e32 v0, v0, v1
	s_delay_alu instid0(VALU_DEP_1) | instskip(NEXT) | instid1(VALU_DEP_1)
	v_and_b32_e32 v0, 0x7fffffff, v0
	v_cmp_ne_u32_e32 vcc_lo, 0, v0
	s_cbranch_vccz .LBB42_6
; %bb.5:                                ;   in Loop: Header=BB42_4 Depth=1
	s_and_not1_b32 vcc_lo, exec_lo, s0
	s_cbranch_vccnz .LBB42_3
	s_branch .LBB42_7
.LBB42_6:                               ;   in Loop: Header=BB42_4 Depth=1
	s_mul_u64 s[0:1], s[46:47], s[26:27]
	s_delay_alu instid0(SALU_CYCLE_1) | instskip(NEXT) | instid1(SALU_CYCLE_1)
	s_lshl_b64 s[0:1], s[0:1], 3
	s_add_nc_u64 s[0:1], s[44:45], s[0:1]
	global_load_b64 v[0:1], v35, s[0:1]
	s_wait_loadcnt 0x0
	v_cmp_eq_f32_e32 vcc_lo, 1.0, v0
	s_wait_xcnt 0x0
	v_cmp_eq_f32_e64 s0, 0, v1
	s_and_b32 s0, vcc_lo, s0
	s_delay_alu instid0(SALU_CYCLE_1)
	s_and_not1_b32 vcc_lo, exec_lo, s0
	s_cbranch_execnz .LBB42_3
.LBB42_7:                               ;   in Loop: Header=BB42_4 Depth=1
	s_lshl_b64 s[0:1], s[26:27], 3
	s_delay_alu instid0(SALU_CYCLE_1)
	s_add_nc_u64 s[66:67], s[28:29], s[0:1]
	s_add_nc_u64 s[0:1], s[40:41], s[0:1]
	s_clause 0x1
	global_load_b64 v[2:3], v35, s[66:67]
	global_load_b64 v[0:1], v35, s[0:1]
	s_wait_loadcnt 0x1
	v_add_nc_u64_e32 v[2:3], s[30:31], v[2:3]
	s_delay_alu instid0(VALU_DEP_1)
	v_lshl_add_u64 v[16:17], v[38:39], 3, v[2:3]
	s_wait_xcnt 0x0
	s_and_saveexec_b32 s0, s2
	s_cbranch_execz .LBB42_12
; %bb.8:                                ;   in Loop: Header=BB42_4 Depth=1
	s_and_saveexec_b32 s1, s3
	s_delay_alu instid0(SALU_CYCLE_1)
	s_xor_b32 s1, exec_lo, s1
; %bb.9:                                ;   in Loop: Header=BB42_4 Depth=1
	ds_store_b64 v91, v[50:51]
; %bb.10:                               ;   in Loop: Header=BB42_4 Depth=1
	s_and_not1_saveexec_b32 s1, s1
	s_cbranch_execz .LBB42_12
; %bb.11:                               ;   in Loop: Header=BB42_4 Depth=1
	flat_load_b64 v[2:3], v[16:17]
	s_wait_loadcnt_dscnt 0x0
	ds_store_b64 v91, v[2:3]
.LBB42_12:                              ;   in Loop: Header=BB42_4 Depth=1
	s_wait_xcnt 0x0
	s_or_b32 exec_lo, exec_lo, s0
	s_wait_loadcnt 0x0
	v_add_nc_u64_e32 v[0:1], s[42:43], v[0:1]
	s_and_not1_b32 vcc_lo, exec_lo, s25
	s_mov_b32 s0, -1
	s_delay_alu instid0(VALU_DEP_1) | instskip(NEXT) | instid1(VALU_DEP_1)
	v_add_nc_u64_e32 v[0:1], s[102:103], v[0:1]
	v_lshl_add_u64 v[0:1], v[40:41], 3, v[0:1]
	s_delay_alu instid0(VALU_DEP_1)
	v_lshl_add_u64 v[0:1], s[52:53], 3, v[0:1]
	s_cbranch_vccnz .LBB42_14
; %bb.13:                               ;   in Loop: Header=BB42_4 Depth=1
	s_delay_alu instid0(VALU_DEP_1) | instskip(SKIP_1) | instid1(VALU_DEP_1)
	v_lshl_add_u64 v[2:3], s[54:55], 3, v[0:1]
	s_mov_b32 s0, 0
	v_add_nc_u64_e32 v[4:5], s[68:69], v[2:3]
	s_delay_alu instid0(VALU_DEP_1)
	v_add_nc_u64_e32 v[6:7], s[68:69], v[4:5]
	s_clause 0x3
	flat_load_b64 v[8:9], v[0:1]
	flat_load_b64 v[2:3], v[2:3]
	flat_load_b64 v[4:5], v[4:5]
	flat_load_b64 v[6:7], v[6:7]
	s_wait_loadcnt_dscnt 0x303
	ds_store_b64 v108, v[8:9]
	s_wait_loadcnt_dscnt 0x203
	ds_store_b64 v108, v[2:3] offset:2112
	s_wait_loadcnt_dscnt 0x103
	ds_store_b64 v108, v[4:5] offset:4224
	;; [unrolled: 2-line block ×3, first 2 shown]
.LBB42_14:                              ;   in Loop: Header=BB42_4 Depth=1
	s_and_not1_b32 vcc_lo, exec_lo, s0
	s_cbranch_vccnz .LBB42_24
; %bb.15:                               ;   in Loop: Header=BB42_4 Depth=1
	s_wait_xcnt 0x2
	v_lshl_add_u64 v[2:3], v[42:43], 3, v[0:1]
	s_wait_xcnt 0x0
	v_dual_mov_b32 v6, 0 :: v_dual_mov_b32 v4, 0
	v_mov_b32_e32 v5, 0
	s_delay_alu instid0(VALU_DEP_3) | instskip(NEXT) | instid1(VALU_DEP_1)
	v_lshl_add_u64 v[2:3], s[34:35], 3, v[2:3]
	v_add_nc_u64_e32 v[2:3], -8, v[2:3]
	s_delay_alu instid0(VALU_DEP_1)
	v_dual_cndmask_b32 v3, v3, v1, s4 :: v_dual_cndmask_b32 v2, v2, v0, s4
	s_and_saveexec_b32 s0, s5
	s_cbranch_execz .LBB42_17
; %bb.16:                               ;   in Loop: Header=BB42_4 Depth=1
	flat_load_b64 v[4:5], v[2:3]
.LBB42_17:                              ;   in Loop: Header=BB42_4 Depth=1
	s_wait_xcnt 0x0
	s_or_b32 exec_lo, exec_lo, s0
	v_mov_b32_e32 v7, 0
	s_wait_loadcnt_dscnt 0x0
	ds_store_b64 v108, v[4:5]
	s_and_saveexec_b32 s0, s6
	s_cbranch_execz .LBB42_19
; %bb.18:                               ;   in Loop: Header=BB42_4 Depth=1
	v_lshl_add_u64 v[4:5], s[54:55], 3, v[2:3]
	flat_load_b64 v[6:7], v[4:5]
.LBB42_19:                              ;   in Loop: Header=BB42_4 Depth=1
	s_wait_xcnt 0x0
	s_or_b32 exec_lo, exec_lo, s0
	v_dual_mov_b32 v4, 0 :: v_dual_mov_b32 v8, 0
	v_mov_b32_e32 v9, 0
	s_wait_loadcnt_dscnt 0x0
	ds_store_b64 v108, v[6:7] offset:2112
	s_and_saveexec_b32 s0, s7
	s_cbranch_execz .LBB42_21
; %bb.20:                               ;   in Loop: Header=BB42_4 Depth=1
	v_lshl_add_u64 v[6:7], s[56:57], 3, v[2:3]
	flat_load_b64 v[8:9], v[6:7]
.LBB42_21:                              ;   in Loop: Header=BB42_4 Depth=1
	s_wait_xcnt 0x0
	s_or_b32 exec_lo, exec_lo, s0
	v_mov_b32_e32 v5, 0
	s_wait_loadcnt_dscnt 0x0
	ds_store_b64 v108, v[8:9] offset:4224
	s_and_saveexec_b32 s0, s8
	s_cbranch_execz .LBB42_23
; %bb.22:                               ;   in Loop: Header=BB42_4 Depth=1
	v_lshl_add_u64 v[4:5], s[58:59], 3, v[2:3]
	flat_load_b64 v[4:5], v[4:5]
.LBB42_23:                              ;   in Loop: Header=BB42_4 Depth=1
	s_wait_xcnt 0x0
	s_or_b32 exec_lo, exec_lo, s0
	v_add_nc_u64_e32 v[2:3], v[2:3], v[34:35]
	s_wait_loadcnt_dscnt 0x0
	ds_store_b64 v108, v[4:5] offset:6336
	v_lshl_add_u64 v[2:3], s[20:21], 3, v[2:3]
	s_delay_alu instid0(VALU_DEP_1) | instskip(NEXT) | instid1(VALU_DEP_1)
	v_add_nc_u64_e32 v[2:3], 8, v[2:3]
	v_dual_cndmask_b32 v1, v3, v1, s4 :: v_dual_cndmask_b32 v0, v2, v0, s4
.LBB42_24:                              ;   in Loop: Header=BB42_4 Depth=1
	s_mov_b32 s0, 0
	s_wait_dscnt 0x0
	s_barrier_signal -1
	s_barrier_wait -1
	s_wait_xcnt 0x0
	s_and_saveexec_b32 s1, s9
	s_delay_alu instid0(SALU_CYCLE_1)
	s_xor_b32 s1, exec_lo, s1
; %bb.25:                               ;   in Loop: Header=BB42_4 Depth=1
	s_and_b32 s0, s10, exec_lo
; %bb.26:                               ;   in Loop: Header=BB42_4 Depth=1
	s_or_saveexec_b32 s1, s1
	v_dual_mov_b32 v2, 0 :: v_dual_mov_b32 v3, v92
	s_xor_b32 exec_lo, exec_lo, s1
	s_cbranch_execz .LBB42_28
; %bb.27:                               ;   in Loop: Header=BB42_4 Depth=1
	ds_load_b64 v[4:5], v109
	v_mov_b32_e32 v3, v93
	s_or_b32 s0, s0, exec_lo
	s_wait_dscnt 0x0
	v_xor_b32_e32 v2, 0x80000000, v5
	ds_store_b32 v93, v4
.LBB42_28:                              ;   in Loop: Header=BB42_4 Depth=1
	s_or_b32 exec_lo, exec_lo, s1
	s_and_saveexec_b32 s1, s0
; %bb.29:                               ;   in Loop: Header=BB42_4 Depth=1
	ds_store_b32 v3, v2 offset:4
; %bb.30:                               ;   in Loop: Header=BB42_4 Depth=1
	s_or_b32 exec_lo, exec_lo, s1
	s_mov_b32 s0, 0
	s_and_saveexec_b32 s1, s11
	s_delay_alu instid0(SALU_CYCLE_1)
	s_xor_b32 s1, exec_lo, s1
; %bb.31:                               ;   in Loop: Header=BB42_4 Depth=1
	s_and_b32 s0, s12, exec_lo
; %bb.32:                               ;   in Loop: Header=BB42_4 Depth=1
	s_or_saveexec_b32 s1, s1
	v_dual_mov_b32 v2, 0 :: v_dual_mov_b32 v3, v92
	s_xor_b32 exec_lo, exec_lo, s1
	s_cbranch_execz .LBB42_34
; %bb.33:                               ;   in Loop: Header=BB42_4 Depth=1
	ds_load_b64 v[4:5], v110
	v_mov_b32_e32 v3, v94
	s_or_b32 s0, s0, exec_lo
	s_wait_dscnt 0x0
	v_xor_b32_e32 v2, 0x80000000, v5
	ds_store_b32 v94, v4
.LBB42_34:                              ;   in Loop: Header=BB42_4 Depth=1
	s_or_b32 exec_lo, exec_lo, s1
	s_and_saveexec_b32 s1, s0
; %bb.35:                               ;   in Loop: Header=BB42_4 Depth=1
	ds_store_b32 v3, v2 offset:4
; %bb.36:                               ;   in Loop: Header=BB42_4 Depth=1
	s_or_b32 exec_lo, exec_lo, s1
	s_mov_b32 s0, 0
	s_and_saveexec_b32 s1, s13
	s_delay_alu instid0(SALU_CYCLE_1)
	s_xor_b32 s1, exec_lo, s1
; %bb.37:                               ;   in Loop: Header=BB42_4 Depth=1
	s_and_b32 s0, s14, exec_lo
; %bb.38:                               ;   in Loop: Header=BB42_4 Depth=1
	s_or_saveexec_b32 s1, s1
	v_dual_mov_b32 v2, 0 :: v_dual_mov_b32 v3, v92
	s_xor_b32 exec_lo, exec_lo, s1
	s_cbranch_execz .LBB42_40
; %bb.39:                               ;   in Loop: Header=BB42_4 Depth=1
	ds_load_b64 v[4:5], v110 offset:264
	v_mov_b32_e32 v3, v95
	s_or_b32 s0, s0, exec_lo
	s_wait_dscnt 0x0
	v_xor_b32_e32 v2, 0x80000000, v5
	ds_store_b32 v95, v4
.LBB42_40:                              ;   in Loop: Header=BB42_4 Depth=1
	s_or_b32 exec_lo, exec_lo, s1
	s_and_saveexec_b32 s1, s0
; %bb.41:                               ;   in Loop: Header=BB42_4 Depth=1
	ds_store_b32 v3, v2 offset:4
; %bb.42:                               ;   in Loop: Header=BB42_4 Depth=1
	s_or_b32 exec_lo, exec_lo, s1
	s_mov_b32 s0, 0
	s_and_saveexec_b32 s1, s15
	s_delay_alu instid0(SALU_CYCLE_1)
	s_xor_b32 s1, exec_lo, s1
; %bb.43:                               ;   in Loop: Header=BB42_4 Depth=1
	s_and_b32 s0, s16, exec_lo
; %bb.44:                               ;   in Loop: Header=BB42_4 Depth=1
	s_or_saveexec_b32 s1, s1
	v_dual_mov_b32 v2, 0 :: v_dual_mov_b32 v3, v92
	s_xor_b32 exec_lo, exec_lo, s1
	s_cbranch_execz .LBB42_46
; %bb.45:                               ;   in Loop: Header=BB42_4 Depth=1
	ds_load_b64 v[4:5], v110 offset:528
	v_mov_b32_e32 v3, v97
	s_or_b32 s0, s0, exec_lo
	s_wait_dscnt 0x0
	v_xor_b32_e32 v2, 0x80000000, v5
	ds_store_b32 v97, v4
.LBB42_46:                              ;   in Loop: Header=BB42_4 Depth=1
	s_or_b32 exec_lo, exec_lo, s1
	s_and_saveexec_b32 s1, s0
; %bb.47:                               ;   in Loop: Header=BB42_4 Depth=1
	ds_store_b32 v3, v2 offset:4
; %bb.48:                               ;   in Loop: Header=BB42_4 Depth=1
	s_or_b32 exec_lo, exec_lo, s1
	s_wait_dscnt 0x0
	s_barrier_signal -1
	s_barrier_wait -1
	ds_load_b64 v[14:15], v109
	ds_load_b128 v[2:5], v98
	ds_load_2addr_b64 v[6:9], v110 offset1:33
	ds_load_b128 v[10:13], v98 offset:16
	ds_load_b64 v[18:19], v110 offset:528
	v_mov_b64_e32 v[52:53], 0
	s_wait_dscnt 0x0
	s_barrier_signal -1
	s_barrier_wait -1
	v_pk_mul_f32 v[20:21], v[2:3], v[14:15] op_sel:[1,1] op_sel_hi:[0,1]
	v_dual_mov_b32 v22, v5 :: v_dual_mov_b32 v23, v4
	v_pk_mul_f32 v[24:25], v[10:11], v[8:9] op_sel:[1,1] op_sel_hi:[0,1]
	v_dual_mov_b32 v28, v13 :: v_dual_mov_b32 v29, v12
	s_delay_alu instid0(VALU_DEP_4) | instskip(NEXT) | instid1(VALU_DEP_4)
	v_pk_fma_f32 v[26:27], v[2:3], v[14:15], v[20:21] op_sel_hi:[1,0,1]
	v_pk_mul_f32 v[22:23], v[22:23], v[6:7] op_sel:[0,1]
	v_pk_fma_f32 v[2:3], v[2:3], v[14:15], v[20:21] neg_lo:[0,0,1] neg_hi:[0,0,1]
	v_pk_fma_f32 v[20:21], v[10:11], v[8:9], v[24:25] op_sel_hi:[1,0,1]
	s_delay_alu instid0(VALU_DEP_3)
	v_pk_fma_f32 v[14:15], v[4:5], v[6:7], v[22:23] op_sel_hi:[1,0,1]
	v_mov_b32_e32 v3, v27
	v_pk_fma_f32 v[4:5], v[4:5], v[6:7], v[22:23] neg_lo:[0,0,1] neg_hi:[0,0,1]
	v_pk_mul_f32 v[26:27], v[28:29], v[18:19] op_sel:[0,1]
	v_pk_fma_f32 v[6:7], v[10:11], v[8:9], v[24:25] neg_lo:[0,0,1] neg_hi:[0,0,1]
	v_mov_b32_e32 v5, v15
	v_pk_add_f32 v[2:3], v[2:3], 0 op_sel_hi:[1,0]
	s_delay_alu instid0(VALU_DEP_4) | instskip(SKIP_1) | instid1(VALU_DEP_3)
	v_pk_fma_f32 v[8:9], v[12:13], v[18:19], v[26:27] op_sel_hi:[1,0,1]
	v_mov_b32_e32 v7, v21
	v_pk_add_f32 v[2:3], v[2:3], v[4:5]
	v_pk_fma_f32 v[4:5], v[12:13], v[18:19], v[26:27] neg_lo:[0,0,1] neg_hi:[0,0,1]
	s_delay_alu instid0(VALU_DEP_4) | instskip(NEXT) | instid1(VALU_DEP_3)
	v_mov_b32_e32 v5, v9
	v_pk_add_f32 v[2:3], v[2:3], v[6:7]
	s_delay_alu instid0(VALU_DEP_1)
	v_pk_add_f32 v[2:3], v[2:3], v[4:5]
	ds_store_b64 v99, v[2:3]
	s_wait_dscnt 0x0
	s_barrier_signal -1
	s_barrier_wait -1
	s_and_saveexec_b32 s0, s17
	s_cbranch_execz .LBB42_50
; %bb.49:                               ;   in Loop: Header=BB42_4 Depth=1
	ds_load_2addr_b64 v[2:5], v96 offset1:7
	ds_load_2addr_b64 v[6:9], v96 offset0:1 offset1:2
	ds_load_2addr_b64 v[10:13], v96 offset0:3 offset1:4
	ds_load_2addr_b64 v[18:21], v96 offset0:5 offset1:6
	s_wait_dscnt 0x2
	v_dual_add_f32 v2, v6, v2 :: v_dual_add_f32 v3, v7, v3
	s_delay_alu instid0(VALU_DEP_1) | instskip(SKIP_1) | instid1(VALU_DEP_1)
	v_dual_add_f32 v2, v8, v2 :: v_dual_add_f32 v3, v9, v3
	s_wait_dscnt 0x1
	v_dual_add_f32 v2, v2, v10 :: v_dual_add_f32 v3, v3, v11
	s_delay_alu instid0(VALU_DEP_1) | instskip(SKIP_1) | instid1(VALU_DEP_1)
	v_dual_add_f32 v2, v2, v12 :: v_dual_add_f32 v3, v3, v13
	s_wait_dscnt 0x0
	v_dual_add_f32 v2, v2, v18 :: v_dual_add_f32 v3, v3, v19
	s_delay_alu instid0(VALU_DEP_1) | instskip(NEXT) | instid1(VALU_DEP_1)
	v_dual_add_f32 v2, v2, v20 :: v_dual_add_f32 v3, v3, v21
	v_pk_add_f32 v[52:53], v[2:3], v[4:5]
.LBB42_50:                              ;   in Loop: Header=BB42_4 Depth=1
	s_or_b32 exec_lo, exec_lo, s0
	v_lshl_add_u64 v[2:3], s[60:61], 3, v[0:1]
	s_and_not1_b32 vcc_lo, exec_lo, s25
	s_mov_b32 s0, -1
	s_barrier_signal -1
	s_barrier_wait -1
	s_cbranch_vccnz .LBB42_52
; %bb.51:                               ;   in Loop: Header=BB42_4 Depth=1
	v_lshl_add_u64 v[0:1], s[54:55], 3, v[2:3]
	s_mov_b32 s0, 0
	s_delay_alu instid0(VALU_DEP_1) | instskip(NEXT) | instid1(VALU_DEP_1)
	v_add_nc_u64_e32 v[4:5], s[68:69], v[0:1]
	v_add_nc_u64_e32 v[6:7], s[68:69], v[4:5]
	s_clause 0x3
	flat_load_b64 v[8:9], v[2:3] offset:256
	flat_load_b64 v[0:1], v[0:1] offset:256
	;; [unrolled: 1-line block ×4, first 2 shown]
	s_wait_loadcnt_dscnt 0x303
	ds_store_b64 v108, v[8:9]
	s_wait_loadcnt_dscnt 0x203
	ds_store_b64 v108, v[0:1] offset:2112
	s_wait_loadcnt_dscnt 0x103
	ds_store_b64 v108, v[4:5] offset:4224
	;; [unrolled: 2-line block ×3, first 2 shown]
.LBB42_52:                              ;   in Loop: Header=BB42_4 Depth=1
	s_wait_xcnt 0x2
	v_add_nc_u64_e32 v[0:1], 0x100, v[2:3]
	s_and_not1_b32 vcc_lo, exec_lo, s0
	s_cbranch_vccnz .LBB42_62
; %bb.53:                               ;   in Loop: Header=BB42_4 Depth=1
	v_lshl_add_u64 v[2:3], v[42:43], 3, v[2:3]
	s_wait_xcnt 0x0
	v_dual_mov_b32 v6, 0 :: v_dual_mov_b32 v4, 0
	v_mov_b32_e32 v5, 0
	s_delay_alu instid0(VALU_DEP_3) | instskip(NEXT) | instid1(VALU_DEP_1)
	v_lshl_add_u64 v[2:3], s[34:35], 3, v[2:3]
	v_add_nc_u64_e32 v[2:3], -8, v[2:3]
	s_delay_alu instid0(VALU_DEP_1) | instskip(SKIP_3) | instid1(SALU_CYCLE_1)
	v_dual_cndmask_b32 v3, v3, v1, s18 :: v_dual_cndmask_b32 v2, v2, v0, s18
	s_mov_b32 s0, exec_lo
	v_readlane_b32 s1, v140, 0
	s_and_b32 s1, s0, s1
	s_mov_b32 exec_lo, s1
	s_cbranch_execz .LBB42_55
; %bb.54:                               ;   in Loop: Header=BB42_4 Depth=1
	flat_load_b64 v[4:5], v[2:3]
.LBB42_55:                              ;   in Loop: Header=BB42_4 Depth=1
	s_wait_xcnt 0x0
	s_or_b32 exec_lo, exec_lo, s0
	v_mov_b32_e32 v7, 0
	s_wait_loadcnt_dscnt 0x0
	ds_store_b64 v108, v[4:5]
	s_mov_b32 s0, exec_lo
	v_readlane_b32 s1, v140, 1
	s_and_b32 s1, s0, s1
	s_delay_alu instid0(SALU_CYCLE_1)
	s_mov_b32 exec_lo, s1
	s_cbranch_execz .LBB42_57
; %bb.56:                               ;   in Loop: Header=BB42_4 Depth=1
	v_lshl_add_u64 v[4:5], s[54:55], 3, v[2:3]
	flat_load_b64 v[6:7], v[4:5]
.LBB42_57:                              ;   in Loop: Header=BB42_4 Depth=1
	s_wait_xcnt 0x0
	s_or_b32 exec_lo, exec_lo, s0
	v_dual_mov_b32 v4, 0 :: v_dual_mov_b32 v8, 0
	v_mov_b32_e32 v9, 0
	s_wait_loadcnt_dscnt 0x0
	ds_store_b64 v108, v[6:7] offset:2112
	s_mov_b32 s0, exec_lo
	v_readlane_b32 s1, v140, 2
	s_and_b32 s1, s0, s1
	s_delay_alu instid0(SALU_CYCLE_1)
	s_mov_b32 exec_lo, s1
	s_cbranch_execz .LBB42_59
; %bb.58:                               ;   in Loop: Header=BB42_4 Depth=1
	v_lshl_add_u64 v[6:7], s[56:57], 3, v[2:3]
	flat_load_b64 v[8:9], v[6:7]
.LBB42_59:                              ;   in Loop: Header=BB42_4 Depth=1
	s_wait_xcnt 0x0
	s_or_b32 exec_lo, exec_lo, s0
	v_mov_b32_e32 v5, 0
	s_wait_loadcnt_dscnt 0x0
	ds_store_b64 v108, v[8:9] offset:4224
	s_mov_b32 s0, exec_lo
	v_readlane_b32 s1, v140, 3
	s_and_b32 s1, s0, s1
	s_delay_alu instid0(SALU_CYCLE_1)
	s_mov_b32 exec_lo, s1
	s_cbranch_execz .LBB42_61
; %bb.60:                               ;   in Loop: Header=BB42_4 Depth=1
	v_lshl_add_u64 v[4:5], s[58:59], 3, v[2:3]
	flat_load_b64 v[4:5], v[4:5]
.LBB42_61:                              ;   in Loop: Header=BB42_4 Depth=1
	s_wait_xcnt 0x0
	s_or_b32 exec_lo, exec_lo, s0
	v_add_nc_u64_e32 v[2:3], v[2:3], v[34:35]
	s_wait_loadcnt_dscnt 0x0
	ds_store_b64 v108, v[4:5] offset:6336
	v_lshl_add_u64 v[2:3], s[20:21], 3, v[2:3]
	s_delay_alu instid0(VALU_DEP_1) | instskip(NEXT) | instid1(VALU_DEP_1)
	v_add_nc_u64_e32 v[2:3], 0x108, v[2:3]
	v_dual_cndmask_b32 v1, v3, v1, s18 :: v_dual_cndmask_b32 v0, v2, v0, s18
.LBB42_62:                              ;   in Loop: Header=BB42_4 Depth=1
	s_mov_b32 s0, 0
	s_wait_dscnt 0x0
	s_barrier_signal -1
	s_barrier_wait -1
	s_wait_xcnt 0x0
	s_and_saveexec_b32 s1, s9
	s_delay_alu instid0(SALU_CYCLE_1)
	s_xor_b32 s1, exec_lo, s1
; %bb.63:                               ;   in Loop: Header=BB42_4 Depth=1
	s_and_b32 s0, s10, exec_lo
; %bb.64:                               ;   in Loop: Header=BB42_4 Depth=1
	s_or_saveexec_b32 s1, s1
	v_dual_mov_b32 v2, 0 :: v_dual_mov_b32 v3, v92
	s_xor_b32 exec_lo, exec_lo, s1
	s_cbranch_execz .LBB42_66
; %bb.65:                               ;   in Loop: Header=BB42_4 Depth=1
	ds_load_b64 v[4:5], v109
	v_mov_b32_e32 v3, v93
	s_or_b32 s0, s0, exec_lo
	s_wait_dscnt 0x0
	v_xor_b32_e32 v2, 0x80000000, v5
	ds_store_b32 v93, v4
.LBB42_66:                              ;   in Loop: Header=BB42_4 Depth=1
	s_or_b32 exec_lo, exec_lo, s1
	s_and_saveexec_b32 s1, s0
; %bb.67:                               ;   in Loop: Header=BB42_4 Depth=1
	ds_store_b32 v3, v2 offset:4
; %bb.68:                               ;   in Loop: Header=BB42_4 Depth=1
	s_or_b32 exec_lo, exec_lo, s1
	s_mov_b32 s0, 0
	s_and_saveexec_b32 s1, s11
	s_delay_alu instid0(SALU_CYCLE_1)
	s_xor_b32 s1, exec_lo, s1
; %bb.69:                               ;   in Loop: Header=BB42_4 Depth=1
	s_and_b32 s0, s12, exec_lo
; %bb.70:                               ;   in Loop: Header=BB42_4 Depth=1
	s_or_saveexec_b32 s1, s1
	v_dual_mov_b32 v2, 0 :: v_dual_mov_b32 v3, v92
	s_xor_b32 exec_lo, exec_lo, s1
	s_cbranch_execz .LBB42_72
; %bb.71:                               ;   in Loop: Header=BB42_4 Depth=1
	ds_load_b64 v[4:5], v110
	v_mov_b32_e32 v3, v94
	s_or_b32 s0, s0, exec_lo
	s_wait_dscnt 0x0
	v_xor_b32_e32 v2, 0x80000000, v5
	ds_store_b32 v94, v4
.LBB42_72:                              ;   in Loop: Header=BB42_4 Depth=1
	s_or_b32 exec_lo, exec_lo, s1
	s_and_saveexec_b32 s1, s0
; %bb.73:                               ;   in Loop: Header=BB42_4 Depth=1
	ds_store_b32 v3, v2 offset:4
; %bb.74:                               ;   in Loop: Header=BB42_4 Depth=1
	s_or_b32 exec_lo, exec_lo, s1
	s_mov_b32 s0, 0
	s_and_saveexec_b32 s1, s13
	s_delay_alu instid0(SALU_CYCLE_1)
	s_xor_b32 s1, exec_lo, s1
; %bb.75:                               ;   in Loop: Header=BB42_4 Depth=1
	s_and_b32 s0, s14, exec_lo
; %bb.76:                               ;   in Loop: Header=BB42_4 Depth=1
	s_or_saveexec_b32 s1, s1
	v_dual_mov_b32 v2, 0 :: v_dual_mov_b32 v3, v92
	s_xor_b32 exec_lo, exec_lo, s1
	s_cbranch_execz .LBB42_78
; %bb.77:                               ;   in Loop: Header=BB42_4 Depth=1
	ds_load_b64 v[4:5], v110 offset:264
	v_mov_b32_e32 v3, v95
	s_or_b32 s0, s0, exec_lo
	s_wait_dscnt 0x0
	v_xor_b32_e32 v2, 0x80000000, v5
	ds_store_b32 v95, v4
.LBB42_78:                              ;   in Loop: Header=BB42_4 Depth=1
	s_or_b32 exec_lo, exec_lo, s1
	s_and_saveexec_b32 s1, s0
; %bb.79:                               ;   in Loop: Header=BB42_4 Depth=1
	ds_store_b32 v3, v2 offset:4
; %bb.80:                               ;   in Loop: Header=BB42_4 Depth=1
	s_or_b32 exec_lo, exec_lo, s1
	s_mov_b32 s0, 0
	s_and_saveexec_b32 s1, s15
	s_delay_alu instid0(SALU_CYCLE_1)
	s_xor_b32 s1, exec_lo, s1
; %bb.81:                               ;   in Loop: Header=BB42_4 Depth=1
	s_and_b32 s0, s16, exec_lo
; %bb.82:                               ;   in Loop: Header=BB42_4 Depth=1
	s_or_saveexec_b32 s1, s1
	v_dual_mov_b32 v2, 0 :: v_dual_mov_b32 v3, v92
	s_xor_b32 exec_lo, exec_lo, s1
	s_cbranch_execz .LBB42_84
; %bb.83:                               ;   in Loop: Header=BB42_4 Depth=1
	ds_load_b64 v[4:5], v110 offset:528
	v_mov_b32_e32 v3, v97
	s_or_b32 s0, s0, exec_lo
	s_wait_dscnt 0x0
	v_xor_b32_e32 v2, 0x80000000, v5
	ds_store_b32 v97, v4
.LBB42_84:                              ;   in Loop: Header=BB42_4 Depth=1
	s_or_b32 exec_lo, exec_lo, s1
	s_and_saveexec_b32 s1, s0
; %bb.85:                               ;   in Loop: Header=BB42_4 Depth=1
	ds_store_b32 v3, v2 offset:4
; %bb.86:                               ;   in Loop: Header=BB42_4 Depth=1
	s_or_b32 exec_lo, exec_lo, s1
	s_wait_dscnt 0x0
	s_barrier_signal -1
	s_barrier_wait -1
	ds_load_b64 v[14:15], v109
	ds_load_b128 v[2:5], v98 offset:256
	ds_load_2addr_b64 v[6:9], v110 offset1:33
	ds_load_b128 v[10:13], v98 offset:272
	ds_load_b64 v[18:19], v110 offset:528
	s_wait_dscnt 0x0
	s_barrier_signal -1
	s_barrier_wait -1
	v_pk_mul_f32 v[20:21], v[2:3], v[14:15] op_sel:[1,1] op_sel_hi:[0,1]
	v_dual_mov_b32 v22, v5 :: v_dual_mov_b32 v23, v4
	v_pk_mul_f32 v[24:25], v[10:11], v[8:9] op_sel:[1,1] op_sel_hi:[0,1]
	v_dual_mov_b32 v28, v13 :: v_dual_mov_b32 v29, v12
	s_delay_alu instid0(VALU_DEP_4) | instskip(NEXT) | instid1(VALU_DEP_4)
	v_pk_fma_f32 v[26:27], v[2:3], v[14:15], v[20:21] op_sel_hi:[1,0,1]
	v_pk_mul_f32 v[22:23], v[22:23], v[6:7] op_sel:[0,1]
	v_pk_fma_f32 v[2:3], v[2:3], v[14:15], v[20:21] neg_lo:[0,0,1] neg_hi:[0,0,1]
	v_pk_fma_f32 v[20:21], v[10:11], v[8:9], v[24:25] op_sel_hi:[1,0,1]
	s_delay_alu instid0(VALU_DEP_3)
	v_pk_fma_f32 v[14:15], v[4:5], v[6:7], v[22:23] op_sel_hi:[1,0,1]
	v_mov_b32_e32 v3, v27
	v_pk_fma_f32 v[4:5], v[4:5], v[6:7], v[22:23] neg_lo:[0,0,1] neg_hi:[0,0,1]
	v_pk_mul_f32 v[26:27], v[28:29], v[18:19] op_sel:[0,1]
	v_pk_fma_f32 v[6:7], v[10:11], v[8:9], v[24:25] neg_lo:[0,0,1] neg_hi:[0,0,1]
	v_mov_b32_e32 v5, v15
	v_pk_add_f32 v[2:3], v[2:3], 0 op_sel_hi:[1,0]
	s_delay_alu instid0(VALU_DEP_4) | instskip(SKIP_1) | instid1(VALU_DEP_3)
	v_pk_fma_f32 v[8:9], v[12:13], v[18:19], v[26:27] op_sel_hi:[1,0,1]
	v_mov_b32_e32 v7, v21
	v_pk_add_f32 v[2:3], v[2:3], v[4:5]
	v_pk_fma_f32 v[4:5], v[12:13], v[18:19], v[26:27] neg_lo:[0,0,1] neg_hi:[0,0,1]
	s_delay_alu instid0(VALU_DEP_4) | instskip(NEXT) | instid1(VALU_DEP_3)
	v_mov_b32_e32 v5, v9
	v_pk_add_f32 v[2:3], v[2:3], v[6:7]
	s_delay_alu instid0(VALU_DEP_1)
	v_pk_add_f32 v[2:3], v[2:3], v[4:5]
	ds_store_b64 v99, v[2:3]
	s_wait_dscnt 0x0
	s_barrier_signal -1
	s_barrier_wait -1
	s_and_saveexec_b32 s0, s23
	s_cbranch_execz .LBB42_88
; %bb.87:                               ;   in Loop: Header=BB42_4 Depth=1
	ds_load_2addr_b64 v[2:5], v96 offset1:7
	ds_load_2addr_b64 v[6:9], v96 offset0:1 offset1:2
	ds_load_2addr_b64 v[10:13], v96 offset0:3 offset1:4
	;; [unrolled: 1-line block ×3, first 2 shown]
	s_wait_dscnt 0x2
	v_dual_add_f32 v2, v6, v2 :: v_dual_add_f32 v3, v7, v3
	s_delay_alu instid0(VALU_DEP_1) | instskip(SKIP_1) | instid1(VALU_DEP_1)
	v_dual_add_f32 v2, v8, v2 :: v_dual_add_f32 v3, v9, v3
	s_wait_dscnt 0x1
	v_dual_add_f32 v2, v2, v10 :: v_dual_add_f32 v3, v3, v11
	s_delay_alu instid0(VALU_DEP_1) | instskip(SKIP_1) | instid1(VALU_DEP_1)
	v_dual_add_f32 v2, v2, v12 :: v_dual_add_f32 v3, v3, v13
	s_wait_dscnt 0x0
	v_dual_add_f32 v2, v2, v18 :: v_dual_add_f32 v3, v3, v19
	s_delay_alu instid0(VALU_DEP_1) | instskip(NEXT) | instid1(VALU_DEP_1)
	v_pk_add_f32 v[2:3], v[2:3], v[20:21]
	v_pk_add_f32 v[52:53], v[2:3], v[4:5]
.LBB42_88:                              ;   in Loop: Header=BB42_4 Depth=1
	s_or_b32 exec_lo, exec_lo, s0
	v_lshl_add_u64 v[18:19], s[62:63], 3, v[0:1]
	s_and_not1_b32 vcc_lo, exec_lo, s25
	s_mov_b32 s0, -1
	s_barrier_signal -1
	s_barrier_wait -1
	s_cbranch_vccnz .LBB42_90
; %bb.89:                               ;   in Loop: Header=BB42_4 Depth=1
	v_lshl_add_u64 v[0:1], s[54:55], 3, v[18:19]
	s_mov_b32 s0, 0
	s_delay_alu instid0(VALU_DEP_1) | instskip(NEXT) | instid1(VALU_DEP_1)
	v_add_nc_u64_e32 v[2:3], s[68:69], v[0:1]
	v_add_nc_u64_e32 v[4:5], s[68:69], v[2:3]
	s_clause 0x3
	flat_load_b64 v[6:7], v[18:19]
	flat_load_b64 v[0:1], v[0:1]
	;; [unrolled: 1-line block ×4, first 2 shown]
	s_wait_loadcnt_dscnt 0x303
	ds_store_b64 v108, v[6:7]
	s_wait_loadcnt_dscnt 0x203
	ds_store_b64 v108, v[0:1] offset:2112
	s_wait_loadcnt_dscnt 0x103
	ds_store_b64 v108, v[2:3] offset:4224
	;; [unrolled: 2-line block ×3, first 2 shown]
.LBB42_90:                              ;   in Loop: Header=BB42_4 Depth=1
	s_and_not1_b32 vcc_lo, exec_lo, s0
	s_cbranch_vccnz .LBB42_100
; %bb.91:                               ;   in Loop: Header=BB42_4 Depth=1
	s_wait_xcnt 0x2
	v_lshl_add_u64 v[0:1], v[42:43], 3, v[18:19]
	s_mov_b64 s[0:1], 0xfffffffffffffef8
	s_wait_xcnt 0x0
	v_dual_mov_b32 v4, 0 :: v_dual_mov_b32 v2, 0
	v_mov_b32_e32 v3, 0
	v_lshl_add_u64 v[0:1], s[34:35], 3, v[0:1]
	s_delay_alu instid0(VALU_DEP_1) | instskip(NEXT) | instid1(VALU_DEP_1)
	v_add_nc_u64_e32 v[0:1], s[0:1], v[0:1]
	v_dual_cndmask_b32 v1, v1, v19, s18 :: v_dual_cndmask_b32 v0, v0, v18, s18
	s_and_saveexec_b32 s0, s5
	s_cbranch_execz .LBB42_93
; %bb.92:                               ;   in Loop: Header=BB42_4 Depth=1
	flat_load_b64 v[2:3], v[0:1]
.LBB42_93:                              ;   in Loop: Header=BB42_4 Depth=1
	s_wait_xcnt 0x0
	s_or_b32 exec_lo, exec_lo, s0
	v_mov_b32_e32 v5, 0
	s_wait_loadcnt_dscnt 0x0
	ds_store_b64 v108, v[2:3]
	s_and_saveexec_b32 s0, s6
	s_cbranch_execz .LBB42_95
; %bb.94:                               ;   in Loop: Header=BB42_4 Depth=1
	v_lshl_add_u64 v[2:3], s[54:55], 3, v[0:1]
	flat_load_b64 v[4:5], v[2:3]
.LBB42_95:                              ;   in Loop: Header=BB42_4 Depth=1
	s_wait_xcnt 0x0
	s_or_b32 exec_lo, exec_lo, s0
	v_dual_mov_b32 v2, 0 :: v_dual_mov_b32 v6, 0
	v_mov_b32_e32 v7, 0
	s_wait_loadcnt_dscnt 0x0
	ds_store_b64 v108, v[4:5] offset:2112
	s_and_saveexec_b32 s0, s7
	s_cbranch_execz .LBB42_97
; %bb.96:                               ;   in Loop: Header=BB42_4 Depth=1
	v_lshl_add_u64 v[4:5], s[56:57], 3, v[0:1]
	flat_load_b64 v[6:7], v[4:5]
.LBB42_97:                              ;   in Loop: Header=BB42_4 Depth=1
	s_wait_xcnt 0x0
	s_or_b32 exec_lo, exec_lo, s0
	v_mov_b32_e32 v3, 0
	s_wait_loadcnt_dscnt 0x0
	ds_store_b64 v108, v[6:7] offset:4224
	s_and_saveexec_b32 s0, s8
	s_cbranch_execz .LBB42_99
; %bb.98:                               ;   in Loop: Header=BB42_4 Depth=1
	v_lshl_add_u64 v[2:3], s[58:59], 3, v[0:1]
	flat_load_b64 v[2:3], v[2:3]
.LBB42_99:                              ;   in Loop: Header=BB42_4 Depth=1
	s_wait_xcnt 0x0
	s_or_b32 exec_lo, exec_lo, s0
	v_add_nc_u64_e32 v[0:1], v[0:1], v[34:35]
	s_wait_loadcnt_dscnt 0x0
	ds_store_b64 v108, v[2:3] offset:6336
	v_lshl_add_u64 v[0:1], s[20:21], 3, v[0:1]
	s_delay_alu instid0(VALU_DEP_1) | instskip(NEXT) | instid1(VALU_DEP_1)
	v_add_nc_u64_e32 v[0:1], 0x108, v[0:1]
	v_dual_cndmask_b32 v19, v1, v19, s18 :: v_dual_cndmask_b32 v18, v0, v18, s18
.LBB42_100:                             ;   in Loop: Header=BB42_4 Depth=1
	s_wait_dscnt 0x0
	s_barrier_signal -1
	s_barrier_wait -1
	ds_load_b64 v[8:9], v108
	ds_load_b64 v[10:11], v111
	ds_load_2addr_b64 v[20:23], v107 offset0:8 offset1:16
	ds_load_b64 v[12:13], v108 offset:2112
	ds_load_b64 v[24:25], v108 offset:4224
	ds_load_b64 v[26:27], v108 offset:6336
	ds_load_b64 v[28:29], v107 offset:192
	s_wait_xcnt 0x0
	ds_load_2addr_b64 v[4:7], v100 offset1:1
	ds_load_2addr_b64 v[0:3], v100 offset0:2 offset1:3
	s_wait_dscnt 0x7
	v_pk_mul_f32 v[14:15], v[10:11], v[8:9] op_sel:[1,1] op_sel_hi:[0,1]
	s_wait_dscnt 0x5
	v_pk_mul_f32 v[30:31], v[20:21], v[12:13] op_sel:[1,1] op_sel_hi:[0,1]
	s_wait_dscnt 0x4
	v_pk_mul_f32 v[56:57], v[22:23], v[24:25] op_sel:[1,1] op_sel_hi:[0,1]
	v_pk_fma_f32 v[54:55], v[10:11], v[8:9], v[14:15] op_sel_hi:[1,0,1]
	v_pk_fma_f32 v[8:9], v[10:11], v[8:9], v[14:15] neg_lo:[0,0,1] neg_hi:[0,0,1]
	v_pk_fma_f32 v[10:11], v[20:21], v[12:13], v[30:31] op_sel_hi:[1,0,1]
	v_pk_fma_f32 v[20:21], v[20:21], v[12:13], v[30:31] neg_lo:[0,0,1] neg_hi:[0,0,1]
	v_pk_fma_f32 v[30:31], v[22:23], v[24:25], v[56:57] op_sel_hi:[1,0,1]
	v_mov_b32_e32 v9, v55
	s_wait_dscnt 0x2
	v_pk_mul_f32 v[54:55], v[28:29], v[26:27] op_sel:[1,1] op_sel_hi:[0,1]
	v_mov_b32_e32 v21, v11
	v_pk_fma_f32 v[22:23], v[22:23], v[24:25], v[56:57] neg_lo:[0,0,1] neg_hi:[0,0,1]
	v_pk_add_f32 v[58:59], v[8:9], 0 op_sel_hi:[1,0]
	ds_load_b128 v[12:15], v98 offset:256
	ds_load_b128 v[8:11], v98 offset:272
	v_pk_fma_f32 v[24:25], v[28:29], v[26:27], v[54:55] op_sel_hi:[1,0,1]
	v_mov_b32_e32 v23, v31
	v_pk_fma_f32 v[26:27], v[28:29], v[26:27], v[54:55] neg_lo:[0,0,1] neg_hi:[0,0,1]
	v_pk_add_f32 v[20:21], v[58:59], v[20:21]
	s_wait_dscnt 0x0
	v_mov_b32_e32 v27, v25
	s_barrier_signal -1
	s_barrier_wait -1
	v_pk_add_f32 v[20:21], v[20:21], v[22:23]
	s_delay_alu instid0(VALU_DEP_1)
	v_pk_add_f32 v[20:21], v[20:21], v[26:27]
	ds_store_b64 v99, v[20:21]
	s_wait_dscnt 0x0
	s_barrier_signal -1
	s_barrier_wait -1
	s_and_saveexec_b32 s0, s23
	s_cbranch_execz .LBB42_102
; %bb.101:                              ;   in Loop: Header=BB42_4 Depth=1
	ds_load_2addr_b64 v[20:23], v96 offset1:1
	ds_load_2addr_b64 v[24:27], v96 offset0:2 offset1:3
	ds_load_2addr_b64 v[28:31], v96 offset0:4 offset1:5
	s_wait_dscnt 0x2
	v_pk_add_f32 v[20:21], v[52:53], v[20:21]
	s_delay_alu instid0(VALU_DEP_1) | instskip(SKIP_1) | instid1(VALU_DEP_1)
	v_pk_add_f32 v[20:21], v[20:21], v[22:23]
	s_wait_dscnt 0x1
	v_pk_add_f32 v[24:25], v[20:21], v[24:25]
	ds_load_2addr_b64 v[20:23], v96 offset0:6 offset1:7
	v_pk_add_f32 v[24:25], v[24:25], v[26:27]
	s_wait_dscnt 0x1
	s_delay_alu instid0(VALU_DEP_1) | instskip(NEXT) | instid1(VALU_DEP_1)
	v_pk_add_f32 v[24:25], v[24:25], v[28:29]
	v_pk_add_f32 v[24:25], v[24:25], v[30:31]
	s_wait_dscnt 0x0
	s_delay_alu instid0(VALU_DEP_1) | instskip(NEXT) | instid1(VALU_DEP_1)
	v_pk_add_f32 v[20:21], v[24:25], v[20:21]
	v_pk_add_f32 v[52:53], v[20:21], v[22:23]
.LBB42_102:                             ;   in Loop: Header=BB42_4 Depth=1
	s_or_b32 exec_lo, exec_lo, s0
	v_pk_mul_f32 v[20:21], v[4:5], v[12:13] op_sel:[1,1] op_sel_hi:[1,0]
	v_dual_mov_b32 v22, v7 :: v_dual_mov_b32 v24, v15
	v_mov_b32_e32 v25, v14
	v_pk_mul_f32 v[26:27], v[0:1], v[8:9] op_sel:[1,1] op_sel_hi:[1,0]
	s_delay_alu instid0(VALU_DEP_4) | instskip(SKIP_3) | instid1(VALU_DEP_4)
	v_pk_fma_f32 v[28:29], v[4:5], v[12:13], v[20:21] op_sel_hi:[0,1,1] neg_lo:[0,0,1] neg_hi:[0,0,1]
	v_mov_b32_e32 v28, v3
	v_pk_fma_f32 v[4:5], v[4:5], v[12:13], v[20:21]
	v_pk_mul_f32 v[22:23], v[22:23], v[24:25] op_sel_hi:[0,1]
	v_dual_mov_b32 v24, v11 :: v_dual_mov_b32 v5, v29
	v_pk_fma_f32 v[20:21], v[0:1], v[8:9], v[26:27] op_sel_hi:[0,1,1] neg_lo:[0,0,1] neg_hi:[0,0,1]
	v_pk_fma_f32 v[0:1], v[0:1], v[8:9], v[26:27]
	s_delay_alu instid0(VALU_DEP_4) | instskip(SKIP_3) | instid1(VALU_DEP_4)
	v_pk_fma_f32 v[12:13], v[6:7], v[14:15], v[22:23] op_sel_hi:[0,1,1] neg_lo:[0,0,1] neg_hi:[0,0,1]
	v_mov_b32_e32 v25, v10
	v_pk_fma_f32 v[6:7], v[6:7], v[14:15], v[22:23]
	v_pk_add_f32 v[4:5], v[4:5], 0 op_sel_hi:[1,0]
	v_mov_b32_e32 v7, v13
	s_delay_alu instid0(VALU_DEP_4) | instskip(SKIP_2) | instid1(VALU_DEP_2)
	v_pk_mul_f32 v[14:15], v[28:29], v[24:25] op_sel_hi:[0,1]
	s_barrier_signal -1
	s_barrier_wait -1
	v_pk_add_f32 v[4:5], v[4:5], v[6:7]
	s_delay_alu instid0(VALU_DEP_2) | instskip(SKIP_2) | instid1(VALU_DEP_3)
	v_pk_fma_f32 v[8:9], v[2:3], v[10:11], v[14:15] op_sel_hi:[0,1,1] neg_lo:[0,0,1] neg_hi:[0,0,1]
	v_mov_b32_e32 v1, v21
	v_pk_fma_f32 v[2:3], v[2:3], v[10:11], v[14:15]
	v_mov_b32_e32 v3, v9
	s_delay_alu instid0(VALU_DEP_3) | instskip(NEXT) | instid1(VALU_DEP_1)
	v_pk_add_f32 v[0:1], v[4:5], v[0:1]
	v_pk_add_f32 v[0:1], v[0:1], v[2:3]
	ds_store_b64 v99, v[0:1]
	s_wait_dscnt 0x0
	s_barrier_signal -1
	s_barrier_wait -1
	s_and_saveexec_b32 s0, s17
	s_cbranch_execz .LBB42_104
; %bb.103:                              ;   in Loop: Header=BB42_4 Depth=1
	ds_load_2addr_b64 v[0:3], v96 offset1:1
	ds_load_2addr_b64 v[4:7], v96 offset0:2 offset1:3
	ds_load_2addr_b64 v[8:11], v96 offset0:4 offset1:5
	s_wait_dscnt 0x2
	v_pk_add_f32 v[0:1], v[52:53], v[0:1]
	s_delay_alu instid0(VALU_DEP_1) | instskip(SKIP_1) | instid1(VALU_DEP_1)
	v_pk_add_f32 v[0:1], v[0:1], v[2:3]
	s_wait_dscnt 0x1
	v_pk_add_f32 v[4:5], v[0:1], v[4:5]
	ds_load_2addr_b64 v[0:3], v96 offset0:6 offset1:7
	v_pk_add_f32 v[4:5], v[4:5], v[6:7]
	s_wait_dscnt 0x1
	s_delay_alu instid0(VALU_DEP_1) | instskip(NEXT) | instid1(VALU_DEP_1)
	v_pk_add_f32 v[4:5], v[4:5], v[8:9]
	v_pk_add_f32 v[4:5], v[4:5], v[10:11]
	s_wait_dscnt 0x0
	s_delay_alu instid0(VALU_DEP_1) | instskip(NEXT) | instid1(VALU_DEP_1)
	v_pk_add_f32 v[0:1], v[4:5], v[0:1]
	v_pk_add_f32 v[52:53], v[0:1], v[2:3]
.LBB42_104:                             ;   in Loop: Header=BB42_4 Depth=1
	s_or_b32 exec_lo, exec_lo, s0
	s_mul_u64 s[0:1], s[48:49], s[26:27]
	s_and_not1_b32 vcc_lo, exec_lo, s33
	s_lshl_b64 s[0:1], s[0:1], 3
	s_delay_alu instid0(SALU_CYCLE_1)
	s_add_nc_u64 s[0:1], s[50:51], s[0:1]
	s_barrier_signal -1
	s_barrier_wait -1
	s_cbranch_vccnz .LBB42_111
; %bb.105:                              ;   in Loop: Header=BB42_4 Depth=1
	v_readlane_b32 s66, v140, 6
	v_readlane_b32 s67, v140, 7
	v_mov_b32_e32 v113, v32
	s_mov_b32 vcc_lo, 0
	s_mov_b32 s65, s19
	v_lshl_add_u64 v[0:1], s[66:67], 3, v[18:19]
	s_mov_b64 s[66:67], 0xffffffffffffff00
	s_delay_alu instid0(VALU_DEP_1) | instskip(NEXT) | instid1(VALU_DEP_1)
	v_lshl_add_u64 v[0:1], v[46:47], 3, v[0:1]
	v_lshl_add_u64 v[0:1], v[44:45], 3, v[0:1]
	s_delay_alu instid0(VALU_DEP_1) | instskip(SKIP_2) | instid1(VALU_DEP_2)
	v_lshl_add_u64 v[2:3], v[48:49], 3, v[0:1]
	v_add_nc_u64_e32 v[0:1], s[66:67], v[0:1]
	s_mov_b64 s[66:67], 0xfffffffffffffef8
	v_lshl_add_u64 v[2:3], s[34:35], 3, v[2:3]
	s_delay_alu instid0(VALU_DEP_1) | instskip(SKIP_2) | instid1(VALU_DEP_1)
	v_add_nc_u64_e32 v[2:3], s[66:67], v[2:3]
	v_readlane_b32 s66, v140, 4
	v_readlane_b32 s67, v140, 5
	v_lshl_add_u64 v[54:55], s[66:67], 3, v[16:17]
	s_delay_alu instid0(VALU_DEP_4)
	v_dual_cndmask_b32 v57, v1, v3, s3 :: v_dual_cndmask_b32 v56, v0, v2, s3
	s_branch .LBB42_107
.LBB42_106:                             ;   in Loop: Header=BB42_107 Depth=2
	s_wait_xcnt 0x0
	s_or_b32 exec_lo, exec_lo, vcc_hi
	v_pk_mul_f32 v[114:115], v[64:65], v[4:5] op_sel:[1,1] op_sel_hi:[0,1]
	v_dual_mov_b32 v116, v7 :: v_dual_mov_b32 v120, v3
	v_pk_mul_f32 v[118:119], v[60:61], v[0:1] op_sel:[1,1] op_sel_hi:[0,1]
	v_pk_mul_f32 v[124:125], v[70:71], v[12:13] op_sel:[1,1] op_sel_hi:[0,1]
	s_delay_alu instid0(VALU_DEP_4) | instskip(NEXT) | instid1(VALU_DEP_4)
	v_pk_fma_f32 v[122:123], v[64:65], v[4:5], v[114:115] op_sel_hi:[1,0,1]
	v_pk_mul_f32 v[116:117], v[62:63], v[116:117] op_sel:[1,0] op_sel_hi:[0,0]
	v_pk_fma_f32 v[4:5], v[64:65], v[4:5], v[114:115] neg_lo:[0,0,1] neg_hi:[0,0,1]
	v_mov_b32_e32 v122, v15
	v_pk_mul_f32 v[114:115], v[58:59], v[120:121] op_sel:[1,0] op_sel_hi:[0,0]
	v_mov_b32_e32 v5, v123
	v_pk_fma_f32 v[64:65], v[62:63], v[6:7], v[116:117] op_sel_hi:[1,0,1]
	v_pk_fma_f32 v[6:7], v[62:63], v[6:7], v[116:117] neg_lo:[0,0,1] neg_hi:[0,0,1]
	v_pk_fma_f32 v[120:121], v[60:61], v[0:1], v[118:119] op_sel_hi:[1,0,1]
	v_pk_fma_f32 v[0:1], v[60:61], v[0:1], v[118:119] neg_lo:[0,0,1] neg_hi:[0,0,1]
	v_pk_add_f32 v[4:5], v[52:53], v[4:5]
	v_mov_b32_e32 v7, v65
	v_pk_fma_f32 v[60:61], v[58:59], v[2:3], v[114:115] op_sel_hi:[1,0,1]
	v_mov_b32_e32 v1, v121
	v_pk_fma_f32 v[2:3], v[58:59], v[2:3], v[114:115] neg_lo:[0,0,1] neg_hi:[0,0,1]
	v_pk_fma_f32 v[62:63], v[70:71], v[12:13], v[124:125] op_sel_hi:[1,0,1]
	v_pk_add_f32 v[4:5], v[4:5], v[6:7]
	v_pk_mul_f32 v[6:7], v[66:67], v[122:123] op_sel:[1,0] op_sel_hi:[0,0]
	v_mov_b32_e32 v3, v61
	v_pk_mul_f32 v[52:53], v[72:73], v[8:9] op_sel:[1,1] op_sel_hi:[0,1]
	v_pk_fma_f32 v[12:13], v[70:71], v[12:13], v[124:125] neg_lo:[0,0,1] neg_hi:[0,0,1]
	v_pk_add_f32 v[0:1], v[4:5], v[0:1]
	v_mov_b32_e32 v4, v11
	v_pk_fma_f32 v[58:59], v[66:67], v[14:15], v[6:7] op_sel_hi:[1,0,1]
	v_mov_b32_e32 v13, v63
	v_pk_fma_f32 v[6:7], v[66:67], v[14:15], v[6:7] neg_lo:[0,0,1] neg_hi:[0,0,1]
	v_pk_add_f32 v[0:1], v[0:1], v[2:3]
	v_pk_fma_f32 v[2:3], v[72:73], v[8:9], v[52:53] op_sel_hi:[1,0,1]
	v_pk_mul_f32 v[4:5], v[68:69], v[4:5] op_sel:[1,0] op_sel_hi:[0,0]
	v_mov_b32_e32 v7, v59
	v_pk_fma_f32 v[8:9], v[72:73], v[8:9], v[52:53] neg_lo:[0,0,1] neg_hi:[0,0,1]
	v_pk_add_f32 v[0:1], v[0:1], v[12:13]
	v_mov_b32_e32 v9, v3
	v_pk_fma_f32 v[2:3], v[68:69], v[10:11], v[4:5] op_sel_hi:[1,0,1]
	v_pk_mul_f32 v[12:13], v[80:81], v[16:17] op_sel:[1,1] op_sel_hi:[0,1]
	v_mov_b32_e32 v2, v19
	v_pk_add_f32 v[0:1], v[0:1], v[6:7]
	v_pk_fma_f32 v[4:5], v[68:69], v[10:11], v[4:5] neg_lo:[0,0,1] neg_hi:[0,0,1]
	v_mov_b32_e32 v5, v3
	v_pk_fma_f32 v[6:7], v[80:81], v[16:17], v[12:13] op_sel_hi:[1,0,1]
	v_pk_mul_f32 v[2:3], v[78:79], v[2:3] op_sel:[1,0] op_sel_hi:[0,0]
	v_pk_add_f32 v[0:1], v[0:1], v[8:9]
	v_pk_fma_f32 v[8:9], v[80:81], v[16:17], v[12:13] neg_lo:[0,0,1] neg_hi:[0,0,1]
	v_mov_b32_e32 v6, v23
	v_pk_mul_f32 v[10:11], v[76:77], v[20:21] op_sel:[1,1] op_sel_hi:[0,1]
	v_add_nc_u64_e32 v[56:57], s[72:73], v[56:57]
	v_pk_add_f32 v[0:1], v[0:1], v[4:5]
	v_pk_fma_f32 v[4:5], v[78:79], v[18:19], v[2:3] op_sel_hi:[1,0,1]
	v_mov_b32_e32 v9, v7
	v_pk_fma_f32 v[2:3], v[78:79], v[18:19], v[2:3] neg_lo:[0,0,1] neg_hi:[0,0,1]
	v_pk_mul_f32 v[6:7], v[74:75], v[6:7] op_sel:[1,0] op_sel_hi:[0,0]
	s_delay_alu instid0(VALU_DEP_4) | instskip(NEXT) | instid1(VALU_DEP_4)
	v_dual_add_nc_u32 v113, 64, v113 :: v_dual_mov_b32 v3, v5
	v_pk_add_f32 v[0:1], v[0:1], v[8:9]
	v_pk_fma_f32 v[4:5], v[76:77], v[20:21], v[10:11] op_sel_hi:[1,0,1]
	v_pk_fma_f32 v[10:11], v[76:77], v[20:21], v[10:11] neg_lo:[0,0,1] neg_hi:[0,0,1]
	v_pk_fma_f32 v[8:9], v[74:75], v[22:23], v[6:7] op_sel_hi:[1,0,1]
	v_dual_mov_b32 v4, v27 :: v_dual_mov_b32 v8, v31
	v_pk_add_f32 v[0:1], v[0:1], v[2:3]
	v_mov_b32_e32 v11, v5
	v_pk_fma_f32 v[2:3], v[74:75], v[22:23], v[6:7] neg_lo:[0,0,1] neg_hi:[0,0,1]
	v_pk_mul_f32 v[6:7], v[88:89], v[24:25] op_sel:[1,1] op_sel_hi:[0,1]
	v_mov_b32_e32 v3, v9
	v_pk_mul_f32 v[4:5], v[86:87], v[4:5] op_sel:[1,0] op_sel_hi:[0,0]
	v_pk_add_f32 v[0:1], v[0:1], v[10:11]
	v_pk_mul_f32 v[8:9], v[82:83], v[8:9] op_sel:[1,0] op_sel_hi:[0,0]
	v_pk_fma_f32 v[10:11], v[88:89], v[24:25], v[6:7] op_sel_hi:[1,0,1]
	v_pk_fma_f32 v[6:7], v[88:89], v[24:25], v[6:7] neg_lo:[0,0,1] neg_hi:[0,0,1]
	v_pk_fma_f32 v[12:13], v[86:87], v[26:27], v[4:5] op_sel_hi:[1,0,1]
	v_pk_add_f32 v[0:1], v[0:1], v[2:3]
	v_pk_mul_f32 v[2:3], v[84:85], v[28:29] op_sel:[1,1] op_sel_hi:[0,1]
	v_mov_b32_e32 v7, v11
	v_pk_fma_f32 v[4:5], v[86:87], v[26:27], v[4:5] neg_lo:[0,0,1] neg_hi:[0,0,1]
	v_mov_b32_e32 v5, v13
	s_add_co_i32 s65, s65, -1
	v_pk_fma_f32 v[10:11], v[84:85], v[28:29], v[2:3] op_sel_hi:[1,0,1]
	v_pk_add_f32 v[0:1], v[0:1], v[6:7]
	v_pk_fma_f32 v[2:3], v[84:85], v[28:29], v[2:3] neg_lo:[0,0,1] neg_hi:[0,0,1]
	v_pk_fma_f32 v[6:7], v[82:83], v[30:31], v[8:9] op_sel_hi:[1,0,1]
	s_add_co_i32 vcc_lo, vcc_lo, s22
	v_mov_b32_e32 v3, v11
	v_pk_add_f32 v[0:1], v[0:1], v[4:5]
	v_pk_fma_f32 v[4:5], v[82:83], v[30:31], v[8:9] neg_lo:[0,0,1] neg_hi:[0,0,1]
	v_mov_b32_e32 v5, v7
	s_cmp_eq_u32 s65, 0
	s_wait_storecnt 0x0
	v_pk_add_f32 v[0:1], v[0:1], v[2:3]
	s_barrier_signal -1
	s_barrier_wait -1
	s_delay_alu instid0(VALU_DEP_1)
	v_pk_add_f32 v[52:53], v[0:1], v[4:5]
	s_cbranch_scc1 .LBB42_111
.LBB42_107:                             ;   Parent Loop BB42_4 Depth=1
                                        ; =>  This Inner Loop Header: Depth=2
	s_and_saveexec_b32 s66, s2
	s_cbranch_execz .LBB42_109
; %bb.108:                              ;   in Loop: Header=BB42_107 Depth=2
	s_ashr_i32 vcc_hi, vcc_lo, 31
	s_delay_alu instid0(SALU_CYCLE_1)
	v_lshl_add_u64 v[0:1], vcc, 3, v[54:55]
	flat_load_b64 v[0:1], v[0:1]
	s_wait_loadcnt_dscnt 0x0
	ds_store_b64 v33, v[0:1]
.LBB42_109:                             ;   in Loop: Header=BB42_107 Depth=2
	s_wait_xcnt 0x0
	s_or_b32 exec_lo, exec_lo, s66
	v_add_nc_u64_e32 v[0:1], s[70:71], v[56:57]
	v_add_nc_u64_e32 v[2:3], s[74:75], v[56:57]
	v_add_nc_u64_e32 v[4:5], s[76:77], v[56:57]
	s_wait_dscnt 0x0
	s_barrier_signal -1
	s_barrier_wait -1
	s_clause 0x3
	flat_load_b64 v[64:65], v[56:57]
	flat_load_b64 v[62:63], v[0:1]
	;; [unrolled: 1-line block ×4, first 2 shown]
	ds_load_b64 v[8:9], v91
	s_wait_xcnt 0x0
	ds_load_b128 v[4:7], v101
	v_add_nc_u64_e32 v[12:13], s[100:101], v[56:57]
	v_add_nc_u64_e32 v[20:21], s[78:79], v[56:57]
	v_add_nc_u64_e32 v[22:23], s[80:81], v[56:57]
	ds_load_b128 v[0:3], v101 offset:16
	v_add_nc_u64_e32 v[74:75], s[82:83], v[56:57]
	v_add_nc_u64_e32 v[82:83], s[84:85], v[56:57]
	;; [unrolled: 1-line block ×4, first 2 shown]
	s_wait_loadcnt_dscnt 0x202
	v_dual_mul_f32 v14, v63, v9 :: v_dual_mul_f32 v15, v63, v8
	v_dual_mul_f32 v10, v65, v9 :: v_dual_mul_f32 v11, v65, v8
	s_wait_loadcnt 0x1
	v_dual_mul_f32 v16, v61, v9 :: v_dual_mul_f32 v17, v61, v8
	s_wait_loadcnt 0x0
	v_dual_mul_f32 v18, v59, v9 :: v_dual_mul_f32 v19, v59, v8
	v_dual_fmac_f32 v10, v64, v8 :: v_dual_fma_f32 v11, v64, v9, -v11
	v_dual_fmac_f32 v14, v62, v8 :: v_dual_fma_f32 v15, v62, v9, -v15
	;; [unrolled: 1-line block ×3, first 2 shown]
	s_delay_alu instid0(VALU_DEP_4)
	v_dual_fmac_f32 v18, v58, v8 :: v_dual_fma_f32 v19, v58, v9, -v19
	v_add_nc_u64_e32 v[8:9], s[98:99], v[56:57]
	ds_store_2addr_b64 v102, v[10:11], v[14:15] offset1:67
	ds_store_2addr_b64 v102, v[16:17], v[18:19] offset0:134 offset1:201
	s_wait_dscnt 0x0
	s_barrier_signal -1
	s_barrier_wait -1
	ds_load_2addr_b64 v[24:27], v103 offset1:1
	ds_load_2addr_b64 v[114:117], v103 offset0:2 offset1:3
	s_wait_dscnt 0x0
	s_barrier_signal -1
	s_barrier_wait -1
	s_clause 0x3
	flat_load_b64 v[70:71], v[12:13]
	flat_load_b64 v[66:67], v[8:9]
	;; [unrolled: 1-line block ×4, first 2 shown]
	s_wait_xcnt 0x2
	ds_load_b64 v[8:9], v91
	ds_load_b128 v[12:15], v101 offset:128
	v_add_nc_u64_e32 v[16:17], s[96:97], v[56:57]
	v_add_nc_u64_e32 v[18:19], s[94:95], v[56:57]
	v_pk_add_f32 v[24:25], v[24:25], 0 op_sel_hi:[1,0]
	s_delay_alu instid0(VALU_DEP_1) | instskip(NEXT) | instid1(VALU_DEP_1)
	v_pk_add_f32 v[134:135], v[24:25], v[26:27]
	v_pk_add_f32 v[114:115], v[134:135], v[114:115]
	s_delay_alu instid0(VALU_DEP_1)
	v_pk_add_f32 v[114:115], v[114:115], v[116:117]
	s_wait_loadcnt_dscnt 0x301
	s_wait_xcnt 0x1
	v_dual_mul_f32 v20, v71, v9 :: v_dual_mul_f32 v10, v71, v8
	s_wait_loadcnt 0x2
	s_wait_xcnt 0x0
	v_dual_mul_f32 v22, v67, v9 :: v_dual_mul_f32 v11, v67, v8
	s_wait_loadcnt 0x1
	v_dual_mul_f32 v28, v73, v9 :: v_dual_mul_f32 v29, v73, v8
	s_wait_loadcnt 0x0
	v_dual_mul_f32 v30, v69, v9 :: v_dual_mul_f32 v31, v69, v8
	v_dual_fmac_f32 v20, v70, v8 :: v_dual_fma_f32 v21, v70, v9, -v10
	v_dual_fmac_f32 v22, v66, v8 :: v_dual_fma_f32 v23, v66, v9, -v11
	v_dual_fmac_f32 v28, v72, v8 :: v_dual_fma_f32 v29, v72, v9, -v29
	s_delay_alu instid0(VALU_DEP_4)
	v_dual_fmac_f32 v30, v68, v8 :: v_dual_fma_f32 v31, v68, v9, -v31
	ds_load_b128 v[8:11], v101 offset:144
	ds_store_2addr_b64 v102, v[20:21], v[22:23] offset1:67
	ds_store_2addr_b64 v102, v[28:29], v[30:31] offset0:134 offset1:201
	s_wait_dscnt 0x0
	s_barrier_signal -1
	s_barrier_wait -1
	ds_load_2addr_b64 v[28:31], v103 offset1:1
	ds_load_2addr_b64 v[118:121], v103 offset0:2 offset1:3
	s_wait_dscnt 0x0
	s_barrier_signal -1
	s_barrier_wait -1
	s_clause 0x3
	flat_load_b64 v[80:81], v[16:17]
	flat_load_b64 v[78:79], v[18:19]
	;; [unrolled: 1-line block ×4, first 2 shown]
	ds_load_b64 v[20:21], v91
	ds_load_b128 v[16:19], v101 offset:256
	v_pk_add_f32 v[24:25], v[28:29], 0 op_sel_hi:[1,0]
	s_delay_alu instid0(VALU_DEP_1) | instskip(NEXT) | instid1(VALU_DEP_1)
	v_pk_add_f32 v[136:137], v[24:25], v[30:31]
	v_pk_add_f32 v[116:117], v[136:137], v[118:119]
	s_delay_alu instid0(VALU_DEP_1)
	v_pk_add_f32 v[116:117], v[116:117], v[120:121]
	s_wait_loadcnt_dscnt 0x301
	s_wait_xcnt 0x0
	v_dual_mul_f32 v82, v81, v21 :: v_dual_mul_f32 v22, v81, v20
	s_wait_loadcnt 0x2
	v_dual_mul_f32 v84, v79, v21 :: v_dual_mul_f32 v23, v79, v20
	s_wait_loadcnt 0x1
	;; [unrolled: 2-line block ×3, first 2 shown]
	v_dual_mul_f32 v88, v75, v21 :: v_dual_mul_f32 v89, v75, v20
	v_dual_fmac_f32 v82, v80, v20 :: v_dual_fmac_f32 v84, v78, v20
	v_dual_fma_f32 v83, v80, v21, -v22 :: v_dual_fma_f32 v85, v78, v21, -v23
	v_dual_fmac_f32 v86, v76, v20 :: v_dual_fma_f32 v87, v76, v21, -v87
	s_delay_alu instid0(VALU_DEP_4)
	v_dual_fmac_f32 v88, v74, v20 :: v_dual_fma_f32 v89, v74, v21, -v89
	ds_load_b128 v[20:23], v101 offset:272
	ds_store_2addr_b64 v102, v[82:83], v[84:85] offset1:67
	ds_store_2addr_b64 v102, v[86:87], v[88:89] offset0:134 offset1:201
	s_wait_dscnt 0x0
	s_barrier_signal -1
	s_barrier_wait -1
	ds_load_2addr_b64 v[122:125], v103 offset1:1
	ds_load_2addr_b64 v[126:129], v103 offset0:2 offset1:3
	s_wait_dscnt 0x0
	s_barrier_signal -1
	s_barrier_wait -1
	s_clause 0x1
	flat_load_b64 v[88:89], v[130:131]
	flat_load_b64 v[86:87], v[132:133]
	v_add_nc_u64_e32 v[82:83], s[86:87], v[56:57]
	s_wait_xcnt 0x1
	v_add_nc_u64_e32 v[130:131], s[88:89], v[56:57]
	s_clause 0x1
	flat_load_b64 v[84:85], v[82:83]
	flat_load_b64 v[82:83], v[130:131]
	s_wait_xcnt 0x0
	ds_load_b64 v[130:131], v91
	ds_load_b128 v[24:27], v101 offset:384
	v_pk_add_f32 v[28:29], v[122:123], 0 op_sel_hi:[1,0]
	s_delay_alu instid0(VALU_DEP_1) | instskip(NEXT) | instid1(VALU_DEP_1)
	v_pk_add_f32 v[138:139], v[28:29], v[124:125]
	v_pk_add_f32 v[118:119], v[138:139], v[126:127]
	s_delay_alu instid0(VALU_DEP_1) | instskip(SKIP_3) | instid1(VALU_DEP_1)
	v_pk_add_f32 v[118:119], v[118:119], v[128:129]
	s_wait_loadcnt_dscnt 0x301
	v_dual_mul_f32 v31, v89, v130 :: v_dual_mul_f32 v28, v89, v131
	s_wait_loadcnt 0x2
	v_dual_mul_f32 v30, v87, v131 :: v_dual_fma_f32 v29, v88, v131, -v31
	s_delay_alu instid0(VALU_DEP_2) | instskip(SKIP_1) | instid1(VALU_DEP_2)
	v_dual_mul_f32 v31, v87, v130 :: v_dual_fmac_f32 v28, v88, v130
	s_wait_loadcnt 0x1
	v_dual_fmac_f32 v30, v86, v130 :: v_dual_mul_f32 v122, v85, v130
	s_delay_alu instid0(VALU_DEP_2) | instskip(SKIP_4) | instid1(VALU_DEP_2)
	v_fma_f32 v31, v86, v131, -v31
	ds_store_2addr_b64 v102, v[28:29], v[30:31] offset1:67
	s_wait_loadcnt 0x0
	v_dual_mul_f32 v28, v85, v131 :: v_dual_mul_f32 v30, v83, v131
	v_dual_fma_f32 v29, v84, v131, -v122 :: v_dual_mul_f32 v31, v83, v130
	v_dual_fmac_f32 v28, v84, v130 :: v_dual_fmac_f32 v30, v82, v130
	s_delay_alu instid0(VALU_DEP_2)
	v_fma_f32 v31, v82, v131, -v31
	ds_store_2addr_b64 v102, v[28:29], v[30:31] offset0:134 offset1:201
	ds_load_b128 v[28:31], v101 offset:400
	s_wait_dscnt 0x0
	s_barrier_signal -1
	s_barrier_wait -1
	ds_load_2addr_b64 v[122:125], v103 offset1:1
	ds_load_2addr_b64 v[130:133], v103 offset0:2 offset1:3
	s_wait_dscnt 0x0
	s_barrier_signal -1
	s_barrier_wait -1
	v_pk_add_f32 v[122:123], v[122:123], 0 op_sel_hi:[1,0]
	s_delay_alu instid0(VALU_DEP_1) | instskip(NEXT) | instid1(VALU_DEP_1)
	v_pk_add_f32 v[122:123], v[122:123], v[124:125]
	v_pk_add_f32 v[122:123], v[122:123], v[130:131]
	s_delay_alu instid0(VALU_DEP_1)
	v_pk_add_f32 v[120:121], v[122:123], v[132:133]
	ds_store_2addr_b64 v112, v[114:115], v[116:117] offset1:16
	ds_store_2addr_b64 v112, v[118:119], v[120:121] offset0:32 offset1:48
	s_wait_dscnt 0x0
	s_barrier_signal -1
	s_barrier_wait -1
	s_and_saveexec_b32 vcc_hi, s24
	s_cbranch_execz .LBB42_106
; %bb.110:                              ;   in Loop: Header=BB42_107 Depth=2
	ds_load_b64 v[126:127], v104
	ds_load_2addr_b64 v[114:117], v104 offset0:1 offset1:2
	ds_load_2addr_b64 v[118:121], v104 offset0:3 offset1:4
	ds_load_2addr_b64 v[122:125], v104 offset0:5 offset1:6
	s_wait_dscnt 0x2
	v_dual_add_f32 v114, v114, v126 :: v_dual_add_f32 v115, v115, v127
	s_delay_alu instid0(VALU_DEP_1) | instskip(SKIP_3) | instid1(VALU_DEP_1)
	v_dual_add_f32 v126, v116, v114 :: v_dual_add_f32 v127, v117, v115
	ds_load_2addr_b64 v[114:117], v104 offset0:7 offset1:8
	s_wait_dscnt 0x2
	v_dual_add_f32 v118, v126, v118 :: v_dual_add_f32 v119, v127, v119
	v_dual_add_f32 v126, v118, v120 :: v_dual_add_f32 v127, v119, v121
	ds_load_2addr_b64 v[118:121], v104 offset0:9 offset1:10
	s_wait_dscnt 0x2
	v_pk_add_f32 v[122:123], v[126:127], v[122:123]
	s_delay_alu instid0(VALU_DEP_1) | instskip(SKIP_3) | instid1(VALU_DEP_1)
	v_pk_add_f32 v[126:127], v[122:123], v[124:125]
	ds_load_2addr_b64 v[122:125], v104 offset0:11 offset1:12
	s_wait_dscnt 0x2
	v_pk_add_f32 v[114:115], v[126:127], v[114:115]
	v_pk_add_f32 v[114:115], v[114:115], v[116:117]
	s_wait_dscnt 0x1
	s_delay_alu instid0(VALU_DEP_1)
	v_pk_add_f32 v[118:119], v[114:115], v[118:119]
	ds_load_2addr_b64 v[114:117], v104 offset0:13 offset1:14
	v_pk_add_f32 v[118:119], v[118:119], v[120:121]
	ds_load_b64 v[120:121], v105
	s_wait_dscnt 0x2
	v_pk_add_f32 v[118:119], v[118:119], v[122:123]
	s_delay_alu instid0(VALU_DEP_1) | instskip(SKIP_1) | instid1(VALU_DEP_1)
	v_pk_add_f32 v[118:119], v[118:119], v[124:125]
	s_wait_dscnt 0x1
	v_pk_add_f32 v[114:115], v[118:119], v[114:115]
	s_delay_alu instid0(VALU_DEP_1) | instskip(SKIP_1) | instid1(VALU_DEP_1)
	v_pk_add_f32 v[114:115], v[114:115], v[116:117]
	s_wait_dscnt 0x0
	v_pk_add_f32 v[114:115], v[114:115], v[120:121]
	global_store_b64 v113, v[114:115], s[0:1] scale_offset
	s_branch .LBB42_106
.LBB42_111:                             ;   in Loop: Header=BB42_4 Depth=1
	ds_store_b64 v106, v[52:53]
	s_wait_dscnt 0x0
	s_barrier_signal -1
	s_barrier_wait -1
	s_and_saveexec_b32 s65, s64
	s_cbranch_execz .LBB42_2
; %bb.112:                              ;   in Loop: Header=BB42_4 Depth=1
	ds_load_2addr_b64 v[0:3], v90 offset1:67
	ds_load_2addr_b64 v[4:7], v90 offset0:134 offset1:201
	s_wait_dscnt 0x1
	v_pk_add_f32 v[0:1], v[2:3], v[0:1]
	v_lshl_add_u64 v[2:3], v[36:37], 3, s[0:1]
	s_wait_dscnt 0x0
	s_delay_alu instid0(VALU_DEP_2) | instskip(NEXT) | instid1(VALU_DEP_1)
	v_pk_add_f32 v[0:1], v[4:5], v[0:1]
	v_pk_add_f32 v[0:1], v[0:1], v[6:7]
	global_store_b64 v[2:3], v[0:1], off
	s_branch .LBB42_2
.LBB42_113:
	s_sendmsg sendmsg(MSG_DEALLOC_VGPRS)
	s_endpgm
	.section	.rodata,"a",@progbits
	.p2align	6, 0x0
	.amdhsa_kernel _ZL26rocblas_hemvn_kernel_lowerILb1ELi64ELi4ELi33ELi32ELi16EiPK19rocblas_complex_numIfEPKS3_PS1_EviT6_lT7_lT5_lS8_lS9_lS7_lT8_i
		.amdhsa_group_segment_fixed_size 9600
		.amdhsa_private_segment_fixed_size 0
		.amdhsa_kernarg_size 376
		.amdhsa_user_sgpr_count 2
		.amdhsa_user_sgpr_dispatch_ptr 0
		.amdhsa_user_sgpr_queue_ptr 0
		.amdhsa_user_sgpr_kernarg_segment_ptr 1
		.amdhsa_user_sgpr_dispatch_id 0
		.amdhsa_user_sgpr_kernarg_preload_length 0
		.amdhsa_user_sgpr_kernarg_preload_offset 0
		.amdhsa_user_sgpr_private_segment_size 0
		.amdhsa_wavefront_size32 1
		.amdhsa_uses_dynamic_stack 0
		.amdhsa_enable_private_segment 0
		.amdhsa_system_sgpr_workgroup_id_x 1
		.amdhsa_system_sgpr_workgroup_id_y 0
		.amdhsa_system_sgpr_workgroup_id_z 1
		.amdhsa_system_sgpr_workgroup_info 0
		.amdhsa_system_vgpr_workitem_id 1
		.amdhsa_next_free_vgpr 141
		.amdhsa_next_free_sgpr 105
		.amdhsa_named_barrier_count 0
		.amdhsa_reserve_vcc 1
		.amdhsa_float_round_mode_32 0
		.amdhsa_float_round_mode_16_64 0
		.amdhsa_float_denorm_mode_32 3
		.amdhsa_float_denorm_mode_16_64 3
		.amdhsa_fp16_overflow 0
		.amdhsa_memory_ordered 1
		.amdhsa_forward_progress 1
		.amdhsa_inst_pref_size 63
		.amdhsa_round_robin_scheduling 0
		.amdhsa_exception_fp_ieee_invalid_op 0
		.amdhsa_exception_fp_denorm_src 0
		.amdhsa_exception_fp_ieee_div_zero 0
		.amdhsa_exception_fp_ieee_overflow 0
		.amdhsa_exception_fp_ieee_underflow 0
		.amdhsa_exception_fp_ieee_inexact 0
		.amdhsa_exception_int_div_zero 0
	.end_amdhsa_kernel
	.section	.text._ZL26rocblas_hemvn_kernel_lowerILb1ELi64ELi4ELi33ELi32ELi16EiPK19rocblas_complex_numIfEPKS3_PS1_EviT6_lT7_lT5_lS8_lS9_lS7_lT8_i,"axG",@progbits,_ZL26rocblas_hemvn_kernel_lowerILb1ELi64ELi4ELi33ELi32ELi16EiPK19rocblas_complex_numIfEPKS3_PS1_EviT6_lT7_lT5_lS8_lS9_lS7_lT8_i,comdat
.Lfunc_end42:
	.size	_ZL26rocblas_hemvn_kernel_lowerILb1ELi64ELi4ELi33ELi32ELi16EiPK19rocblas_complex_numIfEPKS3_PS1_EviT6_lT7_lT5_lS8_lS9_lS7_lT8_i, .Lfunc_end42-_ZL26rocblas_hemvn_kernel_lowerILb1ELi64ELi4ELi33ELi32ELi16EiPK19rocblas_complex_numIfEPKS3_PS1_EviT6_lT7_lT5_lS8_lS9_lS7_lT8_i
                                        ; -- End function
	.set _ZL26rocblas_hemvn_kernel_lowerILb1ELi64ELi4ELi33ELi32ELi16EiPK19rocblas_complex_numIfEPKS3_PS1_EviT6_lT7_lT5_lS8_lS9_lS7_lT8_i.num_vgpr, 141
	.set _ZL26rocblas_hemvn_kernel_lowerILb1ELi64ELi4ELi33ELi32ELi16EiPK19rocblas_complex_numIfEPKS3_PS1_EviT6_lT7_lT5_lS8_lS9_lS7_lT8_i.num_agpr, 0
	.set _ZL26rocblas_hemvn_kernel_lowerILb1ELi64ELi4ELi33ELi32ELi16EiPK19rocblas_complex_numIfEPKS3_PS1_EviT6_lT7_lT5_lS8_lS9_lS7_lT8_i.numbered_sgpr, 105
	.set _ZL26rocblas_hemvn_kernel_lowerILb1ELi64ELi4ELi33ELi32ELi16EiPK19rocblas_complex_numIfEPKS3_PS1_EviT6_lT7_lT5_lS8_lS9_lS7_lT8_i.num_named_barrier, 0
	.set _ZL26rocblas_hemvn_kernel_lowerILb1ELi64ELi4ELi33ELi32ELi16EiPK19rocblas_complex_numIfEPKS3_PS1_EviT6_lT7_lT5_lS8_lS9_lS7_lT8_i.private_seg_size, 0
	.set _ZL26rocblas_hemvn_kernel_lowerILb1ELi64ELi4ELi33ELi32ELi16EiPK19rocblas_complex_numIfEPKS3_PS1_EviT6_lT7_lT5_lS8_lS9_lS7_lT8_i.uses_vcc, 1
	.set _ZL26rocblas_hemvn_kernel_lowerILb1ELi64ELi4ELi33ELi32ELi16EiPK19rocblas_complex_numIfEPKS3_PS1_EviT6_lT7_lT5_lS8_lS9_lS7_lT8_i.uses_flat_scratch, 1
	.set _ZL26rocblas_hemvn_kernel_lowerILb1ELi64ELi4ELi33ELi32ELi16EiPK19rocblas_complex_numIfEPKS3_PS1_EviT6_lT7_lT5_lS8_lS9_lS7_lT8_i.has_dyn_sized_stack, 0
	.set _ZL26rocblas_hemvn_kernel_lowerILb1ELi64ELi4ELi33ELi32ELi16EiPK19rocblas_complex_numIfEPKS3_PS1_EviT6_lT7_lT5_lS8_lS9_lS7_lT8_i.has_recursion, 0
	.set _ZL26rocblas_hemvn_kernel_lowerILb1ELi64ELi4ELi33ELi32ELi16EiPK19rocblas_complex_numIfEPKS3_PS1_EviT6_lT7_lT5_lS8_lS9_lS7_lT8_i.has_indirect_call, 0
	.section	.AMDGPU.csdata,"",@progbits
; Kernel info:
; codeLenInByte = 7996
; TotalNumSgprs: 107
; NumVgprs: 141
; ScratchSize: 0
; MemoryBound: 1
; FloatMode: 240
; IeeeMode: 1
; LDSByteSize: 9600 bytes/workgroup (compile time only)
; SGPRBlocks: 0
; VGPRBlocks: 8
; NumSGPRsForWavesPerEU: 107
; NumVGPRsForWavesPerEU: 141
; NamedBarCnt: 0
; Occupancy: 7
; WaveLimiterHint : 1
; COMPUTE_PGM_RSRC2:SCRATCH_EN: 0
; COMPUTE_PGM_RSRC2:USER_SGPR: 2
; COMPUTE_PGM_RSRC2:TRAP_HANDLER: 0
; COMPUTE_PGM_RSRC2:TGID_X_EN: 1
; COMPUTE_PGM_RSRC2:TGID_Y_EN: 0
; COMPUTE_PGM_RSRC2:TGID_Z_EN: 1
; COMPUTE_PGM_RSRC2:TIDIG_COMP_CNT: 1
	.section	.text._ZL36rocblas_hemvn_kernel_lower_block_sumILi64EiPK19rocblas_complex_numIfEPKPS1_S1_EviT1_lS7_lT2_lT0_lPT3_i,"axG",@progbits,_ZL36rocblas_hemvn_kernel_lower_block_sumILi64EiPK19rocblas_complex_numIfEPKPS1_S1_EviT1_lS7_lT2_lT0_lPT3_i,comdat
	.globl	_ZL36rocblas_hemvn_kernel_lower_block_sumILi64EiPK19rocblas_complex_numIfEPKPS1_S1_EviT1_lS7_lT2_lT0_lPT3_i ; -- Begin function _ZL36rocblas_hemvn_kernel_lower_block_sumILi64EiPK19rocblas_complex_numIfEPKPS1_S1_EviT1_lS7_lT2_lT0_lPT3_i
	.p2align	8
	.type	_ZL36rocblas_hemvn_kernel_lower_block_sumILi64EiPK19rocblas_complex_numIfEPKPS1_S1_EviT1_lS7_lT2_lT0_lPT3_i,@function
_ZL36rocblas_hemvn_kernel_lower_block_sumILi64EiPK19rocblas_complex_numIfEPKPS1_S1_EviT1_lS7_lT2_lT0_lPT3_i: ; @_ZL36rocblas_hemvn_kernel_lower_block_sumILi64EiPK19rocblas_complex_numIfEPKPS1_S1_EviT1_lS7_lT2_lT0_lPT3_i
; %bb.0:
	s_load_b32 s3, s[0:1], 0x50
	s_bfe_u32 s2, ttmp6, 0x40014
	s_lshr_b32 s4, ttmp7, 16
	s_add_co_i32 s2, s2, 1
	s_bfe_u32 s6, ttmp6, 0x40008
	s_mul_i32 s5, s4, s2
	s_getreg_b32 s2, hwreg(HW_REG_IB_STS2, 6, 4)
	s_add_co_i32 s6, s6, s5
	s_cmp_eq_u32 s2, 0
	s_mov_b32 s17, 0
	s_cselect_b32 s16, s4, s6
	s_wait_kmcnt 0x0
	s_cmp_ge_u32 s16, s3
	s_cbranch_scc1 .LBB43_21
; %bb.1:
	s_clause 0x1
	s_load_b32 s20, s[0:1], 0x0
	s_load_b32 s21, s[0:1], 0x38
	s_bfe_u32 s4, ttmp6, 0x4000c
	s_and_b32 s5, ttmp6, 15
	s_add_co_i32 s4, s4, 1
	s_clause 0x1
	s_load_b64 s[18:19], s[0:1], 0x48
	s_load_b128 s[12:15], s[0:1], 0x28
	s_mul_i32 s4, ttmp9, s4
	v_mov_b32_e32 v16, 0
	s_add_co_i32 s5, s5, s4
	s_cmp_eq_u32 s2, 0
	s_cselect_b32 s24, ttmp9, s5
	s_load_b256 s[4:11], s[0:1], 0x8
	v_lshl_or_b32 v1, s24, 6, v0
	s_wait_kmcnt 0x0
	s_delay_alu instid0(VALU_DEP_1) | instskip(SKIP_3) | instid1(SALU_CYCLE_1)
	v_mad_u32 v2, s20, s24, v1
	v_mul_lo_u32 v0, s21, v1
	v_cmp_gt_i32_e64 s2, s20, v1
	s_ashr_i32 s21, s20, 31
	s_lshl_b64 s[20:21], s[20:21], 3
	s_lshl_b64 s[14:15], s[14:15], 3
	v_dual_ashrrev_i32 v3, 31, v2 :: v_dual_ashrrev_i32 v1, 31, v0
	s_delay_alu instid0(VALU_DEP_1)
	v_lshl_add_u64 v[2:3], v[2:3], 3, s[18:19]
	s_add_nc_u64 s[18:19], s[0:1], 0x58
	s_branch .LBB43_5
.LBB43_2:                               ;   in Loop: Header=BB43_5 Depth=1
	flat_store_b64 v[14:15], v[12:13]
.LBB43_3:                               ;   in Loop: Header=BB43_5 Depth=1
	s_wait_xcnt 0x0
	s_or_b32 exec_lo, exec_lo, s25
.LBB43_4:                               ;   in Loop: Header=BB43_5 Depth=1
	s_add_co_i32 s16, s16, 0x10000
	s_delay_alu instid0(SALU_CYCLE_1)
	s_cmp_lt_u32 s16, s3
	s_cbranch_scc0 .LBB43_21
.LBB43_5:                               ; =>This Loop Header: Depth=1
                                        ;     Child Loop BB43_16 Depth 2
	s_mul_u64 s[0:1], s[6:7], s[16:17]
	s_delay_alu instid0(SALU_CYCLE_1) | instskip(NEXT) | instid1(SALU_CYCLE_1)
	s_lshl_b64 s[0:1], s[0:1], 3
	s_add_nc_u64 s[0:1], s[4:5], s[0:1]
	global_load_b64 v[4:5], v16, s[0:1]
	s_wait_xcnt 0x0
	s_mul_u64 s[0:1], s[10:11], s[16:17]
	s_delay_alu instid0(SALU_CYCLE_1) | instskip(NEXT) | instid1(SALU_CYCLE_1)
	s_lshl_b64 s[0:1], s[0:1], 3
	s_add_nc_u64 s[0:1], s[8:9], s[0:1]
	global_load_b64 v[6:7], v16, s[0:1]
	s_wait_loadcnt 0x1
	v_or_b32_e32 v8, v4, v5
	s_delay_alu instid0(VALU_DEP_1)
	v_and_b32_e32 v8, 0x7fffffff, v8
	s_wait_loadcnt 0x0
	v_cmp_eq_f32_e32 vcc_lo, 1.0, v6
	s_wait_xcnt 0x0
	v_cmp_eq_f32_e64 s1, 0, v7
	v_cmp_eq_u32_e64 s0, 0, v8
	s_and_b32 s1, vcc_lo, s1
	s_delay_alu instid0(SALU_CYCLE_1) | instskip(NEXT) | instid1(SALU_CYCLE_1)
	s_and_b32 s1, s0, s1
	s_and_b32 vcc_lo, exec_lo, s1
	s_cbranch_vccnz .LBB43_4
; %bb.6:                                ;   in Loop: Header=BB43_5 Depth=1
	s_lshl_b64 s[22:23], s[16:17], 3
	s_and_not1_b32 vcc_lo, exec_lo, s0
	s_add_nc_u64 s[22:23], s[12:13], s[22:23]
	s_mov_b32 s0, -1
	s_load_b64 s[22:23], s[22:23], 0x0
	s_wait_kmcnt 0x0
	s_wait_xcnt 0x0
	s_add_nc_u64 s[22:23], s[22:23], s[14:15]
	s_cbranch_vccnz .LBB43_12
; %bb.7:                                ;   in Loop: Header=BB43_5 Depth=1
	s_and_saveexec_b32 s1, s2
	s_cbranch_execz .LBB43_11
; %bb.8:                                ;   in Loop: Header=BB43_5 Depth=1
	v_cmp_neq_f32_e32 vcc_lo, 0, v6
	v_cmp_neq_f32_e64 s0, 0, v7
	v_dual_mov_b32 v8, 0 :: v_dual_mov_b32 v9, 0
	s_or_b32 s0, vcc_lo, s0
	s_delay_alu instid0(SALU_CYCLE_1)
	s_and_not1_b32 vcc_lo, exec_lo, s0
	s_cbranch_vccnz .LBB43_10
; %bb.9:                                ;   in Loop: Header=BB43_5 Depth=1
	v_lshl_add_u64 v[8:9], v[0:1], 3, s[22:23]
	flat_load_b64 v[8:9], v[8:9]
	s_wait_loadcnt_dscnt 0x0
	v_pk_mul_f32 v[10:11], v[8:9], v[6:7] op_sel:[1,1] op_sel_hi:[1,0]
	s_delay_alu instid0(VALU_DEP_1) | instskip(SKIP_2) | instid1(VALU_DEP_2)
	v_pk_fma_f32 v[12:13], v[8:9], v[6:7], v[10:11] op_sel_hi:[0,1,1]
	s_wait_xcnt 0x0
	v_pk_fma_f32 v[8:9], v[8:9], v[6:7], v[10:11] neg_lo:[0,0,1] neg_hi:[0,0,1]
	v_mov_b32_e32 v9, v13
.LBB43_10:                              ;   in Loop: Header=BB43_5 Depth=1
	v_lshl_add_u64 v[10:11], v[0:1], 3, s[22:23]
	flat_store_b64 v[10:11], v[8:9]
.LBB43_11:                              ;   in Loop: Header=BB43_5 Depth=1
	s_wait_xcnt 0x0
	s_or_b32 exec_lo, exec_lo, s1
	s_mov_b32 s0, 0
.LBB43_12:                              ;   in Loop: Header=BB43_5 Depth=1
	s_delay_alu instid0(SALU_CYCLE_1)
	s_and_not1_b32 vcc_lo, exec_lo, s0
	s_cbranch_vccnz .LBB43_4
; %bb.13:                               ;   in Loop: Header=BB43_5 Depth=1
	s_and_saveexec_b32 s25, s2
	s_cbranch_execz .LBB43_3
; %bb.14:                               ;   in Loop: Header=BB43_5 Depth=1
	s_load_b32 s0, s[18:19], 0x0
	v_mov_b32_e32 v9, 0
	s_delay_alu instid0(VALU_DEP_1)
	v_mov_b32_e32 v8, v9
	s_wait_kmcnt 0x0
	s_cmp_ge_i32 s24, s0
	s_cbranch_scc1 .LBB43_17
; %bb.15:                               ;   in Loop: Header=BB43_5 Depth=1
	s_mov_b32 s1, s17
	v_mov_b32_e32 v8, 0
	s_mul_u64 s[26:27], s[20:21], s[0:1]
	s_mov_b32 s1, s24
	v_mad_nc_u64_u32 v[10:11], s26, s16, v[2:3]
	s_delay_alu instid0(VALU_DEP_2) | instskip(NEXT) | instid1(VALU_DEP_2)
	v_mov_b32_e32 v9, v8
	v_mad_u32 v11, s27, s16, v11
.LBB43_16:                              ;   Parent Loop BB43_5 Depth=1
                                        ; =>  This Inner Loop Header: Depth=2
	global_load_b64 v[12:13], v[10:11], off
	s_wait_xcnt 0x0
	v_add_nc_u64_e32 v[10:11], s[20:21], v[10:11]
	s_add_co_i32 s1, s1, 1
	s_delay_alu instid0(SALU_CYCLE_1)
	s_cmp_ge_i32 s1, s0
	s_wait_loadcnt 0x0
	v_pk_add_f32 v[8:9], v[8:9], v[12:13]
	s_cbranch_scc0 .LBB43_16
.LBB43_17:                              ;   in Loop: Header=BB43_5 Depth=1
	v_cmp_neq_f32_e32 vcc_lo, 0, v6
	v_cmp_neq_f32_e64 s0, 0, v7
	s_delay_alu instid0(VALU_DEP_3) | instskip(SKIP_1) | instid1(SALU_CYCLE_1)
	v_pk_mul_f32 v[10:11], v[8:9], v[4:5] op_sel:[1,1] op_sel_hi:[1,0]
                                        ; implicit-def: $vgpr13
	s_or_b32 s0, vcc_lo, s0
	s_and_not1_b32 vcc_lo, exec_lo, s0
	s_mov_b32 s0, -1
	s_cbranch_vccz .LBB43_19
; %bb.18:                               ;   in Loop: Header=BB43_5 Depth=1
	v_pk_mul_f32 v[14:15], v[8:9], v[4:5] op_sel_hi:[0,1]
	v_pk_fma_f32 v[12:13], v[8:9], v[4:5], v[10:11] op_sel_hi:[0,1,1]
	s_mov_b32 s0, 0
	s_delay_alu instid0(VALU_DEP_2)
	v_sub_f32_e32 v12, v14, v10
.LBB43_19:                              ;   in Loop: Header=BB43_5 Depth=1
	v_lshl_add_u64 v[14:15], v[0:1], 3, s[22:23]
	s_and_not1_b32 vcc_lo, exec_lo, s0
	s_cbranch_vccnz .LBB43_2
; %bb.20:                               ;   in Loop: Header=BB43_5 Depth=1
	flat_load_b64 v[12:13], v[14:15]
	v_pk_fma_f32 v[22:23], v[8:9], v[4:5], v[10:11] op_sel_hi:[0,1,1]
	v_pk_fma_f32 v[4:5], v[8:9], v[4:5], v[10:11] neg_lo:[0,0,1] neg_hi:[0,0,1]
	s_delay_alu instid0(VALU_DEP_2) | instskip(SKIP_2) | instid1(VALU_DEP_1)
	v_mov_b32_e32 v5, v23
	s_wait_loadcnt_dscnt 0x0
	v_pk_mul_f32 v[18:19], v[12:13], v[6:7] op_sel:[1,1] op_sel_hi:[1,0]
	v_pk_fma_f32 v[20:21], v[12:13], v[6:7], v[18:19] op_sel_hi:[0,1,1]
	v_pk_fma_f32 v[6:7], v[12:13], v[6:7], v[18:19] neg_lo:[0,0,1] neg_hi:[0,0,1]
	s_delay_alu instid0(VALU_DEP_2) | instskip(NEXT) | instid1(VALU_DEP_1)
	v_mov_b32_e32 v7, v21
	v_pk_add_f32 v[12:13], v[4:5], v[6:7]
	s_branch .LBB43_2
.LBB43_21:
	s_endpgm
	.section	.rodata,"a",@progbits
	.p2align	6, 0x0
	.amdhsa_kernel _ZL36rocblas_hemvn_kernel_lower_block_sumILi64EiPK19rocblas_complex_numIfEPKPS1_S1_EviT1_lS7_lT2_lT0_lPT3_i
		.amdhsa_group_segment_fixed_size 0
		.amdhsa_private_segment_fixed_size 0
		.amdhsa_kernarg_size 344
		.amdhsa_user_sgpr_count 2
		.amdhsa_user_sgpr_dispatch_ptr 0
		.amdhsa_user_sgpr_queue_ptr 0
		.amdhsa_user_sgpr_kernarg_segment_ptr 1
		.amdhsa_user_sgpr_dispatch_id 0
		.amdhsa_user_sgpr_kernarg_preload_length 0
		.amdhsa_user_sgpr_kernarg_preload_offset 0
		.amdhsa_user_sgpr_private_segment_size 0
		.amdhsa_wavefront_size32 1
		.amdhsa_uses_dynamic_stack 0
		.amdhsa_enable_private_segment 0
		.amdhsa_system_sgpr_workgroup_id_x 1
		.amdhsa_system_sgpr_workgroup_id_y 0
		.amdhsa_system_sgpr_workgroup_id_z 1
		.amdhsa_system_sgpr_workgroup_info 0
		.amdhsa_system_vgpr_workitem_id 0
		.amdhsa_next_free_vgpr 24
		.amdhsa_next_free_sgpr 28
		.amdhsa_named_barrier_count 0
		.amdhsa_reserve_vcc 1
		.amdhsa_float_round_mode_32 0
		.amdhsa_float_round_mode_16_64 0
		.amdhsa_float_denorm_mode_32 3
		.amdhsa_float_denorm_mode_16_64 3
		.amdhsa_fp16_overflow 0
		.amdhsa_memory_ordered 1
		.amdhsa_forward_progress 1
		.amdhsa_inst_pref_size 7
		.amdhsa_round_robin_scheduling 0
		.amdhsa_exception_fp_ieee_invalid_op 0
		.amdhsa_exception_fp_denorm_src 0
		.amdhsa_exception_fp_ieee_div_zero 0
		.amdhsa_exception_fp_ieee_overflow 0
		.amdhsa_exception_fp_ieee_underflow 0
		.amdhsa_exception_fp_ieee_inexact 0
		.amdhsa_exception_int_div_zero 0
	.end_amdhsa_kernel
	.section	.text._ZL36rocblas_hemvn_kernel_lower_block_sumILi64EiPK19rocblas_complex_numIfEPKPS1_S1_EviT1_lS7_lT2_lT0_lPT3_i,"axG",@progbits,_ZL36rocblas_hemvn_kernel_lower_block_sumILi64EiPK19rocblas_complex_numIfEPKPS1_S1_EviT1_lS7_lT2_lT0_lPT3_i,comdat
.Lfunc_end43:
	.size	_ZL36rocblas_hemvn_kernel_lower_block_sumILi64EiPK19rocblas_complex_numIfEPKPS1_S1_EviT1_lS7_lT2_lT0_lPT3_i, .Lfunc_end43-_ZL36rocblas_hemvn_kernel_lower_block_sumILi64EiPK19rocblas_complex_numIfEPKPS1_S1_EviT1_lS7_lT2_lT0_lPT3_i
                                        ; -- End function
	.set _ZL36rocblas_hemvn_kernel_lower_block_sumILi64EiPK19rocblas_complex_numIfEPKPS1_S1_EviT1_lS7_lT2_lT0_lPT3_i.num_vgpr, 24
	.set _ZL36rocblas_hemvn_kernel_lower_block_sumILi64EiPK19rocblas_complex_numIfEPKPS1_S1_EviT1_lS7_lT2_lT0_lPT3_i.num_agpr, 0
	.set _ZL36rocblas_hemvn_kernel_lower_block_sumILi64EiPK19rocblas_complex_numIfEPKPS1_S1_EviT1_lS7_lT2_lT0_lPT3_i.numbered_sgpr, 28
	.set _ZL36rocblas_hemvn_kernel_lower_block_sumILi64EiPK19rocblas_complex_numIfEPKPS1_S1_EviT1_lS7_lT2_lT0_lPT3_i.num_named_barrier, 0
	.set _ZL36rocblas_hemvn_kernel_lower_block_sumILi64EiPK19rocblas_complex_numIfEPKPS1_S1_EviT1_lS7_lT2_lT0_lPT3_i.private_seg_size, 0
	.set _ZL36rocblas_hemvn_kernel_lower_block_sumILi64EiPK19rocblas_complex_numIfEPKPS1_S1_EviT1_lS7_lT2_lT0_lPT3_i.uses_vcc, 1
	.set _ZL36rocblas_hemvn_kernel_lower_block_sumILi64EiPK19rocblas_complex_numIfEPKPS1_S1_EviT1_lS7_lT2_lT0_lPT3_i.uses_flat_scratch, 0
	.set _ZL36rocblas_hemvn_kernel_lower_block_sumILi64EiPK19rocblas_complex_numIfEPKPS1_S1_EviT1_lS7_lT2_lT0_lPT3_i.has_dyn_sized_stack, 0
	.set _ZL36rocblas_hemvn_kernel_lower_block_sumILi64EiPK19rocblas_complex_numIfEPKPS1_S1_EviT1_lS7_lT2_lT0_lPT3_i.has_recursion, 0
	.set _ZL36rocblas_hemvn_kernel_lower_block_sumILi64EiPK19rocblas_complex_numIfEPKPS1_S1_EviT1_lS7_lT2_lT0_lPT3_i.has_indirect_call, 0
	.section	.AMDGPU.csdata,"",@progbits
; Kernel info:
; codeLenInByte = 896
; TotalNumSgprs: 30
; NumVgprs: 24
; ScratchSize: 0
; MemoryBound: 0
; FloatMode: 240
; IeeeMode: 1
; LDSByteSize: 0 bytes/workgroup (compile time only)
; SGPRBlocks: 0
; VGPRBlocks: 1
; NumSGPRsForWavesPerEU: 30
; NumVGPRsForWavesPerEU: 24
; NamedBarCnt: 0
; Occupancy: 16
; WaveLimiterHint : 1
; COMPUTE_PGM_RSRC2:SCRATCH_EN: 0
; COMPUTE_PGM_RSRC2:USER_SGPR: 2
; COMPUTE_PGM_RSRC2:TRAP_HANDLER: 0
; COMPUTE_PGM_RSRC2:TGID_X_EN: 1
; COMPUTE_PGM_RSRC2:TGID_Y_EN: 0
; COMPUTE_PGM_RSRC2:TGID_Z_EN: 1
; COMPUTE_PGM_RSRC2:TIDIG_COMP_CNT: 0
	.section	.text._ZL26rocblas_hemvn_kernel_lowerILb1ELi64ELi4ELi33ELi32ELi16El19rocblas_complex_numIfEPKPKS1_PS1_EviT6_lT7_lT5_lS8_lS9_lS7_lT8_i,"axG",@progbits,_ZL26rocblas_hemvn_kernel_lowerILb1ELi64ELi4ELi33ELi32ELi16El19rocblas_complex_numIfEPKPKS1_PS1_EviT6_lT7_lT5_lS8_lS9_lS7_lT8_i,comdat
	.globl	_ZL26rocblas_hemvn_kernel_lowerILb1ELi64ELi4ELi33ELi32ELi16El19rocblas_complex_numIfEPKPKS1_PS1_EviT6_lT7_lT5_lS8_lS9_lS7_lT8_i ; -- Begin function _ZL26rocblas_hemvn_kernel_lowerILb1ELi64ELi4ELi33ELi32ELi16El19rocblas_complex_numIfEPKPKS1_PS1_EviT6_lT7_lT5_lS8_lS9_lS7_lT8_i
	.p2align	8
	.type	_ZL26rocblas_hemvn_kernel_lowerILb1ELi64ELi4ELi33ELi32ELi16El19rocblas_complex_numIfEPKPKS1_PS1_EviT6_lT7_lT5_lS8_lS9_lS7_lT8_i,@function
_ZL26rocblas_hemvn_kernel_lowerILb1ELi64ELi4ELi33ELi32ELi16El19rocblas_complex_numIfEPKPKS1_PS1_EviT6_lT7_lT5_lS8_lS9_lS7_lT8_i: ; @_ZL26rocblas_hemvn_kernel_lowerILb1ELi64ELi4ELi33ELi32ELi16El19rocblas_complex_numIfEPKPKS1_PS1_EviT6_lT7_lT5_lS8_lS9_lS7_lT8_i
; %bb.0:
	s_clause 0x1
	s_load_b64 s[2:3], s[0:1], 0x84
	s_load_b32 s23, s[0:1], 0x70
	s_bfe_u32 s4, ttmp6, 0x40014
	s_lshr_b32 s5, ttmp7, 16
	s_add_co_i32 s4, s4, 1
	s_bfe_u32 s7, ttmp6, 0x40008
	s_mul_i32 s4, s5, s4
	s_getreg_b32 s6, hwreg(HW_REG_IB_STS2, 6, 4)
	s_add_co_i32 s7, s7, s4
	s_mov_b32 s37, 0
	s_wait_kmcnt 0x0
	s_lshr_b32 s4, s2, 16
	s_and_b32 s2, s2, 0xffff
	s_and_b32 s3, s3, 0xffff
	s_mul_i32 s2, s4, s2
	s_cmp_eq_u32 s6, 0
	s_mul_i32 s2, s2, s3
	s_cselect_b32 s34, s5, s7
	s_cmp_lg_u32 s2, 0x100
	s_cselect_b32 s2, -1, 0
	s_cmp_ge_u32 s34, s23
	s_cselect_b32 s3, -1, 0
	s_delay_alu instid0(SALU_CYCLE_1) | instskip(NEXT) | instid1(SALU_CYCLE_1)
	s_or_b32 s2, s2, s3
	s_and_b32 vcc_lo, exec_lo, s2
	s_cbranch_vccnz .LBB44_114
; %bb.1:
	s_clause 0x5
	s_load_b32 s2, s[0:1], 0x0
	s_load_b64 s[8:9], s[0:1], 0x4
	s_load_b128 s[24:27], s[0:1], 0x18
	s_load_b64 s[92:93], s[0:1], 0x28
	s_load_b64 s[4:5], s[0:1], 0x68
	;; [unrolled: 1-line block ×3, first 2 shown]
	s_bfe_u32 s3, ttmp6, 0x4000c
	s_and_b32 s7, ttmp6, 15
	s_add_co_i32 s3, s3, 1
	s_add_nc_u64 s[10:11], s[0:1], 0x78
	s_mul_i32 s3, ttmp9, s3
	s_clause 0x1
	s_load_b128 s[28:31], s[0:1], 0x38
	s_load_b64 s[38:39], s[0:1], 0x48
	s_add_co_i32 s7, s7, s3
	s_load_b32 s36, s[10:11], 0x0
	v_and_b32_e32 v32, 0x3ff, v0
	v_bfe_u32 v1, v0, 10, 10
	v_dual_mov_b32 v35, 0 :: v_dual_bitop2_b32 v34, 31, v0 bitop3:0x40
                                        ; implicit-def: $vgpr144 : SGPR spill to VGPR lane
	v_mov_b64_e32 v[48:49], 0
	s_mov_b64 s[94:95], 0xfffffffffffffef8
	s_delay_alu instid0(VALU_DEP_3) | instskip(NEXT) | instid1(VALU_DEP_3)
	v_lshl_add_u32 v4, v1, 6, v32
	v_mul_u32_u24_e32 v14, 33, v34
	s_wait_kmcnt 0x0
	s_ashr_i32 s3, s2, 31
	s_cmp_eq_u32 s6, 0
	v_sub_nc_u64_e32 v[42:43], 0, v[34:35]
	s_cselect_b32 s33, ttmp9, s7
	s_or_b32 s0, s8, s9
	v_and_b32_e32 v11, 0x7fe0, v4
	s_bitset0_b32 s0, 31
	v_lshlrev_b32_e32 v93, 3, v14
	s_cmp_eq_u32 s0, 0
	v_cmp_gt_u32_e64 s15, 32, v4
	s_cselect_b32 s100, -1, 0
	s_cmp_lg_u32 s0, 0
	s_mul_u64 s[42:43], s[36:37], s[2:3]
	s_cselect_b32 s18, -1, 0
	s_cmp_neq_f32 s12, 1.0
	v_add_nc_u32_e32 v95, 0x2380, v11
	v_cmp_eq_u32_e64 s0, 0, v1
	v_lshl_add_u32 v99, v1, 5, 0x2180
	s_cselect_b32 s19, -1, 0
	s_cmp_neq_f32 s13, 0
	v_cmp_gt_u32_e64 s22, 64, v4
	s_mul_u64 s[52:53], s[92:93], 0xc0
	s_mul_u64 s[70:71], s[92:93], 24
	s_cselect_b32 s35, -1, 0
	s_lshl_b32 s96, s33, 6
	s_delay_alu instid0(SALU_CYCLE_1)
	v_dual_lshlrev_b32 v33, 3, v32 :: v_dual_add_nc_u32 v38, s96, v32
	v_lshrrev_b32_e32 v2, 5, v4
	s_lshr_b32 s1, s3, 26
	s_add_co_i32 s6, s36, -1
	s_add_co_i32 s1, s2, s1
	v_ashrrev_i32_e32 v39, 31, v38
	v_dual_add_nc_u32 v8, 24, v2 :: v_dual_lshlrev_b32 v9, 2, v2
	v_lshlrev_b32_e32 v5, 3, v34
	s_and_not1_b32 s1, s1, 63
	v_mad_nc_u64_u32 v[36:37], s92, v2, v[34:35]
	s_sub_co_i32 s1, s2, s1
	s_cmp_eq_u32 s33, s6
	v_or_b32_e32 v12, 1, v9
	v_lshl_or_b32 v10, v34, 8, v5
	s_cselect_b32 s40, s1, 0
	s_mul_i32 s6, s2, s33
	s_cmp_eq_u32 s40, 0
	v_dual_add_nc_u32 v3, 8, v2 :: v_dual_add_nc_u32 v7, 16, v2
	v_dual_add_nc_u32 v90, v10, v11 :: v_dual_bitop2_b32 v10, 2, v9 bitop3:0x54
	s_cselect_b32 s101, -1, 0
	s_cmp_lg_u32 s40, 0
	v_add_nc_u32_e32 v88, 0x2380, v33
	s_cselect_b32 s1, -1, 0
	s_sub_co_i32 s20, s40, 32
	v_cmp_ge_u32_e64 s11, v10, v34
	v_cmp_eq_u32_e64 s12, v10, v34
	v_lshlrev_b32_e32 v10, 3, v2
	v_cmp_gt_i32_e64 s17, s20, v2
	s_ashr_i32 s7, s6, 31
	v_cmp_gt_i32_e64 s21, s20, v7
	s_lshl_b64 s[6:7], s[6:7], 3
	v_mad_u32 v37, s93, v2, v37
	s_add_nc_u64 s[44:45], s[4:5], s[6:7]
	v_cmp_gt_i32_e64 s6, s40, v8
	v_writelane_b32 v144, s17, 0
	v_cmp_gt_i32_e64 s17, s20, v3
	v_cmp_gt_i32_e64 s20, s20, v8
	v_dual_lshrrev_b32 v8, 4, v4 :: v_dual_add_nc_u32 v96, v93, v10
	v_mul_u32_u24_e32 v6, 0x108, v2
	v_cmp_gt_i32_e64 s3, s40, v2
	v_cmp_gt_i32_e64 s4, s40, v3
	;; [unrolled: 1-line block ×3, first 2 shown]
	v_mul_u32_u24_e32 v13, 0x420, v2
	v_writelane_b32 v144, s21, 1
	v_cmp_eq_u32_e64 s21, 1, v2
	v_mul_i32_i24_e32 v7, 0xffffffe8, v2
	v_mad_u32_u24 v97, v2, 24, v96
	v_dual_mov_b32 v3, v35 :: v_dual_lshlrev_b32 v2, 2, v1
	v_mul_u64_e32 v[40:41], s[38:39], v[38:39]
	v_cmp_ge_u32_e64 s7, v9, v34
	v_cmp_eq_u32_e64 s8, v9, v34
	v_dual_add_nc_u32 v91, 8, v90 :: v_dual_bitop2_b32 v9, 3, v9 bitop3:0x54
	v_mul_u64_e32 v[46:47], s[92:93], v[2:3]
	v_lshlrev_b32_e32 v2, 5, v8
	v_cmp_le_i32_e32 vcc_lo, s40, v32
	v_cmp_ge_u32_e64 s9, v12, v34
	v_cmp_ge_u32_e64 s13, v9, v34
	v_cmp_eq_u32_e64 s14, v9, v34
	v_or_b32_e32 v9, 32, v34
	v_cmp_eq_u32_e64 s10, v12, v34
	v_mul_u32_u24_e32 v12, 0x108, v12
	v_or_b32_e32 v3, 0x78, v33
	v_add_nc_u32_e32 v106, v5, v6
	v_cmp_gt_i32_e64 s16, s40, v9
	v_and_b32_e32 v9, 15, v0
	v_and_b32_e32 v0, 48, v0
	s_and_b32 s1, s1, vcc_lo
	s_ashr_i32 s97, s96, 31
	s_lshl_b64 s[48:49], s[92:93], 6
	v_mad_u32_u24 v101, 0x218, v9, v2
	v_dual_lshlrev_b32 v0, 3, v0 :: v_dual_add_nc_u32 v107, v5, v13
	v_mul_i32_i24_e32 v2, 0xffffffe8, v8
	s_lshl_b64 s[50:51], s[92:93], 7
	s_ashr_i32 s41, s40, 31
	s_lshl_b64 s[54:55], s[92:93], 5
	s_xor_b32 s36, s1, -1
	v_sub_nc_u64_e32 v[44:45], 0, v[36:37]
	s_cmp_gt_i32 s33, 0
	v_cmp_gt_i32_e64 s2, s40, v34
	v_mad_u32_u24 v89, 0x108, v34, v5
	v_dual_add_nc_u32 v92, 16, v90 :: v_dual_add_nc_u32 v94, 24, v90
	v_add_nc_u32_e32 v98, 0x2180, v33
	v_mad_u32_u24 v100, 0x860, v1, v33
	v_mad_u32_u24 v102, 0x218, v9, v0
	;; [unrolled: 1-line block ×4, first 2 shown]
	v_add_nc_u32_e32 v105, 0x2380, v10
	v_dual_add_nc_u32 v108, v5, v12 :: v_dual_add_nc_u32 v109, v95, v7
	v_add_nc_u32_e32 v110, v101, v2
	v_lshlrev_b32_e32 v34, 3, v34
	s_mul_u64 s[46:47], s[92:93], s[96:97]
	s_mul_u64 s[58:59], s[38:39], s[96:97]
	s_cselect_b32 s102, -1, 0
	s_or_b32 s19, s19, s35
	s_sub_nc_u64 s[56:57], 0, s[54:55]
	s_sub_nc_u64 s[58:59], 0, s[58:59]
	;; [unrolled: 1-line block ×3, first 2 shown]
	s_and_b32 s103, s0, s36
	s_sub_nc_u64 s[62:63], 0, s[40:41]
	s_lshl_b64 s[64:65], s[92:93], 3
	s_lshl_b64 s[66:67], s[92:93], 9
	;; [unrolled: 1-line block ×3, first 2 shown]
	s_mul_u64 s[72:73], s[92:93], 0x90
	s_mul_u64 s[74:75], s[92:93], 0x98
	;; [unrolled: 1-line block ×9, first 2 shown]
	s_lshl_b64 s[90:91], s[92:93], 8
	s_mul_u64 s[92:93], s[92:93], 0x88
	s_or_b32 s104, s19, s18
	s_lshl_b64 s[96:97], s[96:97], 3
	s_lshl_b64 s[30:31], s[30:31], 3
	;; [unrolled: 1-line block ×3, first 2 shown]
	s_branch .LBB44_4
.LBB44_2:                               ;   in Loop: Header=BB44_4 Depth=1
	s_wait_xcnt 0x0
	s_or_b32 exec_lo, exec_lo, s35
.LBB44_3:                               ;   in Loop: Header=BB44_4 Depth=1
	s_add_co_i32 s34, s34, 0x10000
	s_delay_alu instid0(SALU_CYCLE_1)
	s_cmp_lt_u32 s34, s23
	s_cbranch_scc0 .LBB44_114
.LBB44_4:                               ; =>This Loop Header: Depth=1
                                        ;     Child Loop BB44_108 Depth 2
	s_and_not1_b32 vcc_lo, exec_lo, s104
	s_cbranch_vccnz .LBB44_3
; %bb.5:                                ;   in Loop: Header=BB44_4 Depth=1
	s_and_b32 vcc_lo, exec_lo, s100
	s_mov_b32 s35, -1
	s_cbranch_vccz .LBB44_7
; %bb.6:                                ;   in Loop: Header=BB44_4 Depth=1
	s_mov_b32 s35, 0
.LBB44_7:                               ;   in Loop: Header=BB44_4 Depth=1
	s_delay_alu instid0(SALU_CYCLE_1)
	s_and_not1_b32 vcc_lo, exec_lo, s35
	s_cbranch_vccnz .LBB44_3
; %bb.8:                                ;   in Loop: Header=BB44_4 Depth=1
	v_mov_b32_e32 v0, s34
	s_clause 0x1
	global_load_b64 v[2:3], v0, s[28:29] scale_offset
	global_load_b64 v[0:1], v0, s[24:25] scale_offset
	s_wait_loadcnt 0x1
	v_add_nc_u64_e32 v[2:3], s[30:31], v[2:3]
	s_delay_alu instid0(VALU_DEP_1)
	v_lshl_add_u64 v[16:17], v[40:41], 3, v[2:3]
	s_wait_xcnt 0x0
	s_and_saveexec_b32 s35, s0
	s_cbranch_execz .LBB44_13
; %bb.9:                                ;   in Loop: Header=BB44_4 Depth=1
	s_and_saveexec_b32 s18, s1
	s_delay_alu instid0(SALU_CYCLE_1)
	s_xor_b32 s36, exec_lo, s18
; %bb.10:                               ;   in Loop: Header=BB44_4 Depth=1
	ds_store_b64 v88, v[48:49]
; %bb.11:                               ;   in Loop: Header=BB44_4 Depth=1
	s_and_not1_saveexec_b32 s18, s36
	s_cbranch_execz .LBB44_13
; %bb.12:                               ;   in Loop: Header=BB44_4 Depth=1
	flat_load_b64 v[2:3], v[16:17]
	s_wait_loadcnt_dscnt 0x0
	ds_store_b64 v88, v[2:3]
.LBB44_13:                              ;   in Loop: Header=BB44_4 Depth=1
	s_wait_xcnt 0x0
	s_or_b32 exec_lo, exec_lo, s35
	s_wait_loadcnt 0x0
	v_add_nc_u64_e32 v[0:1], s[26:27], v[0:1]
	s_and_not1_b32 vcc_lo, exec_lo, s101
	s_mov_b32 s35, -1
	s_delay_alu instid0(VALU_DEP_1) | instskip(NEXT) | instid1(VALU_DEP_1)
	v_add_nc_u64_e32 v[0:1], s[96:97], v[0:1]
	v_lshl_add_u64 v[0:1], v[36:37], 3, v[0:1]
	s_delay_alu instid0(VALU_DEP_1)
	v_lshl_add_u64 v[0:1], s[46:47], 3, v[0:1]
	s_cbranch_vccnz .LBB44_15
; %bb.14:                               ;   in Loop: Header=BB44_4 Depth=1
	s_delay_alu instid0(VALU_DEP_1) | instskip(SKIP_1) | instid1(VALU_DEP_1)
	v_add_nc_u64_e32 v[2:3], s[48:49], v[0:1]
	s_mov_b32 s35, 0
	v_add_nc_u64_e32 v[4:5], s[48:49], v[2:3]
	s_delay_alu instid0(VALU_DEP_1)
	v_add_nc_u64_e32 v[6:7], s[48:49], v[4:5]
	s_clause 0x3
	flat_load_b64 v[8:9], v[0:1]
	flat_load_b64 v[2:3], v[2:3]
	;; [unrolled: 1-line block ×4, first 2 shown]
	s_wait_loadcnt_dscnt 0x303
	ds_store_b64 v106, v[8:9]
	s_wait_loadcnt_dscnt 0x203
	ds_store_b64 v106, v[2:3] offset:2112
	s_wait_loadcnt_dscnt 0x103
	ds_store_b64 v106, v[4:5] offset:4224
	;; [unrolled: 2-line block ×3, first 2 shown]
.LBB44_15:                              ;   in Loop: Header=BB44_4 Depth=1
	s_and_not1_b32 vcc_lo, exec_lo, s35
	s_cbranch_vccnz .LBB44_25
; %bb.16:                               ;   in Loop: Header=BB44_4 Depth=1
	s_wait_xcnt 0x2
	v_lshl_add_u64 v[2:3], v[42:43], 3, v[0:1]
	s_wait_xcnt 0x0
	v_dual_mov_b32 v6, 0 :: v_dual_mov_b32 v4, 0
	v_mov_b32_e32 v5, 0
	s_delay_alu instid0(VALU_DEP_3) | instskip(NEXT) | instid1(VALU_DEP_1)
	v_lshl_add_u64 v[2:3], s[40:41], 3, v[2:3]
	v_add_nc_u64_e32 v[2:3], -8, v[2:3]
	s_delay_alu instid0(VALU_DEP_1)
	v_dual_cndmask_b32 v3, v3, v1, s2 :: v_dual_cndmask_b32 v2, v2, v0, s2
	s_and_saveexec_b32 s35, s3
	s_cbranch_execz .LBB44_18
; %bb.17:                               ;   in Loop: Header=BB44_4 Depth=1
	flat_load_b64 v[4:5], v[2:3]
.LBB44_18:                              ;   in Loop: Header=BB44_4 Depth=1
	s_wait_xcnt 0x0
	s_or_b32 exec_lo, exec_lo, s35
	v_mov_b32_e32 v7, 0
	s_wait_loadcnt_dscnt 0x0
	ds_store_b64 v106, v[4:5]
	s_and_saveexec_b32 s35, s4
	s_cbranch_execz .LBB44_20
; %bb.19:                               ;   in Loop: Header=BB44_4 Depth=1
	v_add_nc_u64_e32 v[4:5], s[48:49], v[2:3]
	flat_load_b64 v[6:7], v[4:5]
.LBB44_20:                              ;   in Loop: Header=BB44_4 Depth=1
	s_wait_xcnt 0x0
	s_or_b32 exec_lo, exec_lo, s35
	v_dual_mov_b32 v4, 0 :: v_dual_mov_b32 v8, 0
	v_mov_b32_e32 v9, 0
	s_wait_loadcnt_dscnt 0x0
	ds_store_b64 v106, v[6:7] offset:2112
	s_and_saveexec_b32 s35, s5
	s_cbranch_execz .LBB44_22
; %bb.21:                               ;   in Loop: Header=BB44_4 Depth=1
	v_add_nc_u64_e32 v[6:7], s[50:51], v[2:3]
	flat_load_b64 v[8:9], v[6:7]
.LBB44_22:                              ;   in Loop: Header=BB44_4 Depth=1
	s_wait_xcnt 0x0
	s_or_b32 exec_lo, exec_lo, s35
	v_mov_b32_e32 v5, 0
	s_wait_loadcnt_dscnt 0x0
	ds_store_b64 v106, v[8:9] offset:4224
	s_and_saveexec_b32 s35, s6
	s_cbranch_execz .LBB44_24
; %bb.23:                               ;   in Loop: Header=BB44_4 Depth=1
	v_add_nc_u64_e32 v[4:5], s[52:53], v[2:3]
	flat_load_b64 v[4:5], v[4:5]
.LBB44_24:                              ;   in Loop: Header=BB44_4 Depth=1
	s_wait_xcnt 0x0
	s_or_b32 exec_lo, exec_lo, s35
	v_add_nc_u64_e32 v[2:3], v[2:3], v[34:35]
	s_wait_loadcnt_dscnt 0x0
	ds_store_b64 v106, v[4:5] offset:6336
	v_lshl_add_u64 v[2:3], s[62:63], 3, v[2:3]
	s_delay_alu instid0(VALU_DEP_1) | instskip(NEXT) | instid1(VALU_DEP_1)
	v_add_nc_u64_e32 v[2:3], 8, v[2:3]
	v_dual_cndmask_b32 v1, v3, v1, s2 :: v_dual_cndmask_b32 v0, v2, v0, s2
.LBB44_25:                              ;   in Loop: Header=BB44_4 Depth=1
	s_mov_b32 s35, s37
	s_mov_b32 s36, 0
	s_wait_dscnt 0x0
	s_barrier_signal -1
	s_barrier_wait -1
	s_wait_xcnt 0x0
	s_and_saveexec_b32 s18, s7
	s_delay_alu instid0(SALU_CYCLE_1)
	s_xor_b32 s98, exec_lo, s18
; %bb.26:                               ;   in Loop: Header=BB44_4 Depth=1
	s_and_b32 s36, s8, exec_lo
; %bb.27:                               ;   in Loop: Header=BB44_4 Depth=1
	s_or_saveexec_b32 s98, s98
	v_dual_mov_b32 v2, 0 :: v_dual_mov_b32 v3, v89
	s_xor_b32 exec_lo, exec_lo, s98
	s_cbranch_execz .LBB44_29
; %bb.28:                               ;   in Loop: Header=BB44_4 Depth=1
	ds_load_b64 v[4:5], v107
	v_mov_b32_e32 v3, v90
	s_or_b32 s36, s36, exec_lo
	s_wait_dscnt 0x0
	v_xor_b32_e32 v2, 0x80000000, v5
	ds_store_b32 v90, v4
.LBB44_29:                              ;   in Loop: Header=BB44_4 Depth=1
	s_or_b32 exec_lo, exec_lo, s98
	s_and_saveexec_b32 s98, s36
; %bb.30:                               ;   in Loop: Header=BB44_4 Depth=1
	ds_store_b32 v3, v2 offset:4
; %bb.31:                               ;   in Loop: Header=BB44_4 Depth=1
	s_or_b32 exec_lo, exec_lo, s98
	s_mov_b32 s36, 0
	s_and_saveexec_b32 s18, s9
	s_delay_alu instid0(SALU_CYCLE_1)
	s_xor_b32 s98, exec_lo, s18
; %bb.32:                               ;   in Loop: Header=BB44_4 Depth=1
	s_and_b32 s36, s10, exec_lo
; %bb.33:                               ;   in Loop: Header=BB44_4 Depth=1
	s_or_saveexec_b32 s98, s98
	v_dual_mov_b32 v2, 0 :: v_dual_mov_b32 v3, v89
	s_xor_b32 exec_lo, exec_lo, s98
	s_cbranch_execz .LBB44_35
; %bb.34:                               ;   in Loop: Header=BB44_4 Depth=1
	ds_load_b64 v[4:5], v108
	v_mov_b32_e32 v3, v91
	s_or_b32 s36, s36, exec_lo
	s_wait_dscnt 0x0
	v_xor_b32_e32 v2, 0x80000000, v5
	ds_store_b32 v91, v4
.LBB44_35:                              ;   in Loop: Header=BB44_4 Depth=1
	s_or_b32 exec_lo, exec_lo, s98
	s_and_saveexec_b32 s98, s36
; %bb.36:                               ;   in Loop: Header=BB44_4 Depth=1
	ds_store_b32 v3, v2 offset:4
; %bb.37:                               ;   in Loop: Header=BB44_4 Depth=1
	s_or_b32 exec_lo, exec_lo, s98
	s_mov_b32 s36, 0
	s_and_saveexec_b32 s18, s11
	s_delay_alu instid0(SALU_CYCLE_1)
	s_xor_b32 s98, exec_lo, s18
; %bb.38:                               ;   in Loop: Header=BB44_4 Depth=1
	s_and_b32 s36, s12, exec_lo
; %bb.39:                               ;   in Loop: Header=BB44_4 Depth=1
	s_or_saveexec_b32 s98, s98
	v_dual_mov_b32 v2, 0 :: v_dual_mov_b32 v3, v89
	s_xor_b32 exec_lo, exec_lo, s98
	s_cbranch_execz .LBB44_41
; %bb.40:                               ;   in Loop: Header=BB44_4 Depth=1
	ds_load_b64 v[4:5], v108 offset:264
	v_mov_b32_e32 v3, v92
	s_or_b32 s36, s36, exec_lo
	s_wait_dscnt 0x0
	v_xor_b32_e32 v2, 0x80000000, v5
	ds_store_b32 v92, v4
.LBB44_41:                              ;   in Loop: Header=BB44_4 Depth=1
	s_or_b32 exec_lo, exec_lo, s98
	s_and_saveexec_b32 s98, s36
; %bb.42:                               ;   in Loop: Header=BB44_4 Depth=1
	ds_store_b32 v3, v2 offset:4
; %bb.43:                               ;   in Loop: Header=BB44_4 Depth=1
	s_or_b32 exec_lo, exec_lo, s98
	s_mov_b32 s36, 0
	s_and_saveexec_b32 s18, s13
	s_delay_alu instid0(SALU_CYCLE_1)
	s_xor_b32 s98, exec_lo, s18
; %bb.44:                               ;   in Loop: Header=BB44_4 Depth=1
	s_and_b32 s36, s14, exec_lo
; %bb.45:                               ;   in Loop: Header=BB44_4 Depth=1
	s_or_saveexec_b32 s98, s98
	v_dual_mov_b32 v2, 0 :: v_dual_mov_b32 v3, v89
	s_xor_b32 exec_lo, exec_lo, s98
	s_cbranch_execz .LBB44_47
; %bb.46:                               ;   in Loop: Header=BB44_4 Depth=1
	ds_load_b64 v[4:5], v108 offset:528
	v_mov_b32_e32 v3, v94
	s_or_b32 s36, s36, exec_lo
	s_wait_dscnt 0x0
	v_xor_b32_e32 v2, 0x80000000, v5
	ds_store_b32 v94, v4
.LBB44_47:                              ;   in Loop: Header=BB44_4 Depth=1
	s_or_b32 exec_lo, exec_lo, s98
	s_and_saveexec_b32 s98, s36
; %bb.48:                               ;   in Loop: Header=BB44_4 Depth=1
	ds_store_b32 v3, v2 offset:4
; %bb.49:                               ;   in Loop: Header=BB44_4 Depth=1
	s_or_b32 exec_lo, exec_lo, s98
	s_wait_dscnt 0x0
	s_barrier_signal -1
	s_barrier_wait -1
	ds_load_b64 v[14:15], v107
	ds_load_b128 v[2:5], v95
	ds_load_2addr_b64 v[6:9], v108 offset1:33
	ds_load_b128 v[10:13], v95 offset:16
	ds_load_b64 v[18:19], v108 offset:528
	v_mov_b64_e32 v[50:51], 0
	s_wait_dscnt 0x0
	s_barrier_signal -1
	s_barrier_wait -1
	v_pk_mul_f32 v[20:21], v[2:3], v[14:15] op_sel:[1,1] op_sel_hi:[0,1]
	v_dual_mov_b32 v22, v5 :: v_dual_mov_b32 v23, v4
	v_pk_mul_f32 v[24:25], v[10:11], v[8:9] op_sel:[1,1] op_sel_hi:[0,1]
	v_dual_mov_b32 v28, v13 :: v_dual_mov_b32 v29, v12
	s_delay_alu instid0(VALU_DEP_4) | instskip(NEXT) | instid1(VALU_DEP_4)
	v_pk_fma_f32 v[26:27], v[2:3], v[14:15], v[20:21] op_sel_hi:[1,0,1]
	v_pk_mul_f32 v[22:23], v[22:23], v[6:7] op_sel:[0,1]
	v_pk_fma_f32 v[2:3], v[2:3], v[14:15], v[20:21] neg_lo:[0,0,1] neg_hi:[0,0,1]
	v_pk_fma_f32 v[20:21], v[10:11], v[8:9], v[24:25] op_sel_hi:[1,0,1]
	s_delay_alu instid0(VALU_DEP_3)
	v_pk_fma_f32 v[14:15], v[4:5], v[6:7], v[22:23] op_sel_hi:[1,0,1]
	v_mov_b32_e32 v3, v27
	v_pk_fma_f32 v[4:5], v[4:5], v[6:7], v[22:23] neg_lo:[0,0,1] neg_hi:[0,0,1]
	v_pk_mul_f32 v[26:27], v[28:29], v[18:19] op_sel:[0,1]
	v_pk_fma_f32 v[6:7], v[10:11], v[8:9], v[24:25] neg_lo:[0,0,1] neg_hi:[0,0,1]
	v_mov_b32_e32 v5, v15
	v_pk_add_f32 v[2:3], v[2:3], 0 op_sel_hi:[1,0]
	s_delay_alu instid0(VALU_DEP_4) | instskip(SKIP_1) | instid1(VALU_DEP_3)
	v_pk_fma_f32 v[8:9], v[12:13], v[18:19], v[26:27] op_sel_hi:[1,0,1]
	v_mov_b32_e32 v7, v21
	v_pk_add_f32 v[2:3], v[2:3], v[4:5]
	v_pk_fma_f32 v[4:5], v[12:13], v[18:19], v[26:27] neg_lo:[0,0,1] neg_hi:[0,0,1]
	s_delay_alu instid0(VALU_DEP_4) | instskip(NEXT) | instid1(VALU_DEP_3)
	v_mov_b32_e32 v5, v9
	v_pk_add_f32 v[2:3], v[2:3], v[6:7]
	s_delay_alu instid0(VALU_DEP_1)
	v_pk_add_f32 v[2:3], v[2:3], v[4:5]
	ds_store_b64 v96, v[2:3]
	s_wait_dscnt 0x0
	s_barrier_signal -1
	s_barrier_wait -1
	s_and_saveexec_b32 s36, s15
	s_cbranch_execz .LBB44_51
; %bb.50:                               ;   in Loop: Header=BB44_4 Depth=1
	ds_load_2addr_b64 v[2:5], v93 offset1:7
	ds_load_2addr_b64 v[6:9], v93 offset0:1 offset1:2
	ds_load_2addr_b64 v[10:13], v93 offset0:3 offset1:4
	;; [unrolled: 1-line block ×3, first 2 shown]
	s_wait_dscnt 0x2
	v_dual_add_f32 v2, v6, v2 :: v_dual_add_f32 v3, v7, v3
	s_delay_alu instid0(VALU_DEP_1) | instskip(SKIP_1) | instid1(VALU_DEP_1)
	v_dual_add_f32 v2, v8, v2 :: v_dual_add_f32 v3, v9, v3
	s_wait_dscnt 0x1
	v_dual_add_f32 v2, v2, v10 :: v_dual_add_f32 v3, v3, v11
	s_delay_alu instid0(VALU_DEP_1) | instskip(SKIP_1) | instid1(VALU_DEP_1)
	v_dual_add_f32 v2, v2, v12 :: v_dual_add_f32 v3, v3, v13
	s_wait_dscnt 0x0
	v_dual_add_f32 v2, v2, v18 :: v_dual_add_f32 v3, v3, v19
	s_delay_alu instid0(VALU_DEP_1) | instskip(NEXT) | instid1(VALU_DEP_1)
	v_dual_add_f32 v2, v2, v20 :: v_dual_add_f32 v3, v3, v21
	v_pk_add_f32 v[50:51], v[2:3], v[4:5]
.LBB44_51:                              ;   in Loop: Header=BB44_4 Depth=1
	s_or_b32 exec_lo, exec_lo, s36
	v_lshl_add_u64 v[2:3], s[54:55], 3, v[0:1]
	s_and_not1_b32 vcc_lo, exec_lo, s101
	s_mov_b32 s36, -1
	s_barrier_signal -1
	s_barrier_wait -1
	s_cbranch_vccnz .LBB44_53
; %bb.52:                               ;   in Loop: Header=BB44_4 Depth=1
	v_add_nc_u64_e32 v[0:1], s[48:49], v[2:3]
	s_mov_b32 s36, 0
	s_delay_alu instid0(VALU_DEP_1) | instskip(NEXT) | instid1(VALU_DEP_1)
	v_add_nc_u64_e32 v[4:5], s[48:49], v[0:1]
	v_add_nc_u64_e32 v[6:7], s[48:49], v[4:5]
	s_clause 0x3
	flat_load_b64 v[8:9], v[2:3] offset:256
	flat_load_b64 v[0:1], v[0:1] offset:256
	;; [unrolled: 1-line block ×4, first 2 shown]
	s_wait_loadcnt_dscnt 0x303
	ds_store_b64 v106, v[8:9]
	s_wait_loadcnt_dscnt 0x203
	ds_store_b64 v106, v[0:1] offset:2112
	s_wait_loadcnt_dscnt 0x103
	ds_store_b64 v106, v[4:5] offset:4224
	;; [unrolled: 2-line block ×3, first 2 shown]
.LBB44_53:                              ;   in Loop: Header=BB44_4 Depth=1
	s_wait_xcnt 0x2
	v_add_nc_u64_e32 v[0:1], 0x100, v[2:3]
	s_and_not1_b32 vcc_lo, exec_lo, s36
	s_cbranch_vccnz .LBB44_63
; %bb.54:                               ;   in Loop: Header=BB44_4 Depth=1
	v_lshl_add_u64 v[2:3], v[42:43], 3, v[2:3]
	s_wait_xcnt 0x0
	v_dual_mov_b32 v6, 0 :: v_dual_mov_b32 v4, 0
	v_mov_b32_e32 v5, 0
	s_delay_alu instid0(VALU_DEP_3) | instskip(NEXT) | instid1(VALU_DEP_1)
	v_lshl_add_u64 v[2:3], s[40:41], 3, v[2:3]
	v_add_nc_u64_e32 v[2:3], -8, v[2:3]
	s_delay_alu instid0(VALU_DEP_1) | instskip(SKIP_3) | instid1(SALU_CYCLE_1)
	v_dual_cndmask_b32 v3, v3, v1, s16 :: v_dual_cndmask_b32 v2, v2, v0, s16
	s_mov_b32 s36, exec_lo
	v_readlane_b32 s18, v144, 0
	s_and_b32 s18, s36, s18
	s_mov_b32 exec_lo, s18
	s_cbranch_execz .LBB44_56
; %bb.55:                               ;   in Loop: Header=BB44_4 Depth=1
	flat_load_b64 v[4:5], v[2:3]
.LBB44_56:                              ;   in Loop: Header=BB44_4 Depth=1
	s_wait_xcnt 0x0
	s_or_b32 exec_lo, exec_lo, s36
	v_mov_b32_e32 v7, 0
	s_wait_loadcnt_dscnt 0x0
	ds_store_b64 v106, v[4:5]
	s_and_saveexec_b32 s36, s17
	s_cbranch_execz .LBB44_58
; %bb.57:                               ;   in Loop: Header=BB44_4 Depth=1
	v_add_nc_u64_e32 v[4:5], s[48:49], v[2:3]
	flat_load_b64 v[6:7], v[4:5]
.LBB44_58:                              ;   in Loop: Header=BB44_4 Depth=1
	s_wait_xcnt 0x0
	s_or_b32 exec_lo, exec_lo, s36
	v_dual_mov_b32 v4, 0 :: v_dual_mov_b32 v8, 0
	v_mov_b32_e32 v9, 0
	s_wait_loadcnt_dscnt 0x0
	ds_store_b64 v106, v[6:7] offset:2112
	s_mov_b32 s36, exec_lo
	v_readlane_b32 s18, v144, 1
	s_and_b32 s18, s36, s18
	s_delay_alu instid0(SALU_CYCLE_1)
	s_mov_b32 exec_lo, s18
	s_cbranch_execz .LBB44_60
; %bb.59:                               ;   in Loop: Header=BB44_4 Depth=1
	v_add_nc_u64_e32 v[6:7], s[50:51], v[2:3]
	flat_load_b64 v[8:9], v[6:7]
.LBB44_60:                              ;   in Loop: Header=BB44_4 Depth=1
	s_wait_xcnt 0x0
	s_or_b32 exec_lo, exec_lo, s36
	v_mov_b32_e32 v5, 0
	s_wait_loadcnt_dscnt 0x0
	ds_store_b64 v106, v[8:9] offset:4224
	s_and_saveexec_b32 s36, s20
	s_cbranch_execz .LBB44_62
; %bb.61:                               ;   in Loop: Header=BB44_4 Depth=1
	v_add_nc_u64_e32 v[4:5], s[52:53], v[2:3]
	flat_load_b64 v[4:5], v[4:5]
.LBB44_62:                              ;   in Loop: Header=BB44_4 Depth=1
	s_wait_xcnt 0x0
	s_or_b32 exec_lo, exec_lo, s36
	v_add_nc_u64_e32 v[2:3], v[2:3], v[34:35]
	s_wait_loadcnt_dscnt 0x0
	ds_store_b64 v106, v[4:5] offset:6336
	v_lshl_add_u64 v[2:3], s[62:63], 3, v[2:3]
	s_delay_alu instid0(VALU_DEP_1) | instskip(NEXT) | instid1(VALU_DEP_1)
	v_add_nc_u64_e32 v[2:3], 0x108, v[2:3]
	v_dual_cndmask_b32 v1, v3, v1, s16 :: v_dual_cndmask_b32 v0, v2, v0, s16
.LBB44_63:                              ;   in Loop: Header=BB44_4 Depth=1
	s_mov_b32 s36, 0
	s_wait_dscnt 0x0
	s_barrier_signal -1
	s_barrier_wait -1
	s_wait_xcnt 0x0
	s_and_saveexec_b32 s18, s7
	s_delay_alu instid0(SALU_CYCLE_1)
	s_xor_b32 s98, exec_lo, s18
; %bb.64:                               ;   in Loop: Header=BB44_4 Depth=1
	s_and_b32 s36, s8, exec_lo
; %bb.65:                               ;   in Loop: Header=BB44_4 Depth=1
	s_or_saveexec_b32 s98, s98
	v_dual_mov_b32 v2, 0 :: v_dual_mov_b32 v3, v89
	s_xor_b32 exec_lo, exec_lo, s98
	s_cbranch_execz .LBB44_67
; %bb.66:                               ;   in Loop: Header=BB44_4 Depth=1
	ds_load_b64 v[4:5], v107
	v_mov_b32_e32 v3, v90
	s_or_b32 s36, s36, exec_lo
	s_wait_dscnt 0x0
	v_xor_b32_e32 v2, 0x80000000, v5
	ds_store_b32 v90, v4
.LBB44_67:                              ;   in Loop: Header=BB44_4 Depth=1
	s_or_b32 exec_lo, exec_lo, s98
	s_and_saveexec_b32 s98, s36
; %bb.68:                               ;   in Loop: Header=BB44_4 Depth=1
	ds_store_b32 v3, v2 offset:4
; %bb.69:                               ;   in Loop: Header=BB44_4 Depth=1
	s_or_b32 exec_lo, exec_lo, s98
	s_mov_b32 s36, 0
	s_and_saveexec_b32 s18, s9
	s_delay_alu instid0(SALU_CYCLE_1)
	s_xor_b32 s98, exec_lo, s18
; %bb.70:                               ;   in Loop: Header=BB44_4 Depth=1
	s_and_b32 s36, s10, exec_lo
; %bb.71:                               ;   in Loop: Header=BB44_4 Depth=1
	s_or_saveexec_b32 s98, s98
	v_dual_mov_b32 v2, 0 :: v_dual_mov_b32 v3, v89
	s_xor_b32 exec_lo, exec_lo, s98
	s_cbranch_execz .LBB44_73
; %bb.72:                               ;   in Loop: Header=BB44_4 Depth=1
	ds_load_b64 v[4:5], v108
	v_mov_b32_e32 v3, v91
	s_or_b32 s36, s36, exec_lo
	s_wait_dscnt 0x0
	v_xor_b32_e32 v2, 0x80000000, v5
	ds_store_b32 v91, v4
.LBB44_73:                              ;   in Loop: Header=BB44_4 Depth=1
	s_or_b32 exec_lo, exec_lo, s98
	s_and_saveexec_b32 s98, s36
; %bb.74:                               ;   in Loop: Header=BB44_4 Depth=1
	ds_store_b32 v3, v2 offset:4
; %bb.75:                               ;   in Loop: Header=BB44_4 Depth=1
	s_or_b32 exec_lo, exec_lo, s98
	s_mov_b32 s36, 0
	s_and_saveexec_b32 s18, s11
	s_delay_alu instid0(SALU_CYCLE_1)
	s_xor_b32 s98, exec_lo, s18
; %bb.76:                               ;   in Loop: Header=BB44_4 Depth=1
	s_and_b32 s36, s12, exec_lo
; %bb.77:                               ;   in Loop: Header=BB44_4 Depth=1
	s_or_saveexec_b32 s98, s98
	v_dual_mov_b32 v2, 0 :: v_dual_mov_b32 v3, v89
	s_xor_b32 exec_lo, exec_lo, s98
	s_cbranch_execz .LBB44_79
; %bb.78:                               ;   in Loop: Header=BB44_4 Depth=1
	ds_load_b64 v[4:5], v108 offset:264
	v_mov_b32_e32 v3, v92
	s_or_b32 s36, s36, exec_lo
	s_wait_dscnt 0x0
	v_xor_b32_e32 v2, 0x80000000, v5
	ds_store_b32 v92, v4
.LBB44_79:                              ;   in Loop: Header=BB44_4 Depth=1
	s_or_b32 exec_lo, exec_lo, s98
	s_and_saveexec_b32 s98, s36
; %bb.80:                               ;   in Loop: Header=BB44_4 Depth=1
	ds_store_b32 v3, v2 offset:4
; %bb.81:                               ;   in Loop: Header=BB44_4 Depth=1
	s_or_b32 exec_lo, exec_lo, s98
	s_mov_b32 s36, 0
	s_and_saveexec_b32 s18, s13
	s_delay_alu instid0(SALU_CYCLE_1)
	s_xor_b32 s98, exec_lo, s18
; %bb.82:                               ;   in Loop: Header=BB44_4 Depth=1
	s_and_b32 s36, s14, exec_lo
; %bb.83:                               ;   in Loop: Header=BB44_4 Depth=1
	s_or_saveexec_b32 s98, s98
	v_dual_mov_b32 v2, 0 :: v_dual_mov_b32 v3, v89
	s_xor_b32 exec_lo, exec_lo, s98
	s_cbranch_execz .LBB44_85
; %bb.84:                               ;   in Loop: Header=BB44_4 Depth=1
	ds_load_b64 v[4:5], v108 offset:528
	v_mov_b32_e32 v3, v94
	s_or_b32 s36, s36, exec_lo
	s_wait_dscnt 0x0
	v_xor_b32_e32 v2, 0x80000000, v5
	ds_store_b32 v94, v4
.LBB44_85:                              ;   in Loop: Header=BB44_4 Depth=1
	s_or_b32 exec_lo, exec_lo, s98
	s_and_saveexec_b32 s98, s36
; %bb.86:                               ;   in Loop: Header=BB44_4 Depth=1
	ds_store_b32 v3, v2 offset:4
; %bb.87:                               ;   in Loop: Header=BB44_4 Depth=1
	s_or_b32 exec_lo, exec_lo, s98
	s_wait_dscnt 0x0
	s_barrier_signal -1
	s_barrier_wait -1
	ds_load_b64 v[14:15], v107
	ds_load_b128 v[2:5], v95 offset:256
	ds_load_2addr_b64 v[6:9], v108 offset1:33
	ds_load_b128 v[10:13], v95 offset:272
	ds_load_b64 v[18:19], v108 offset:528
	s_wait_dscnt 0x0
	s_barrier_signal -1
	s_barrier_wait -1
	v_pk_mul_f32 v[20:21], v[2:3], v[14:15] op_sel:[1,1] op_sel_hi:[0,1]
	v_dual_mov_b32 v22, v5 :: v_dual_mov_b32 v23, v4
	v_pk_mul_f32 v[24:25], v[10:11], v[8:9] op_sel:[1,1] op_sel_hi:[0,1]
	v_dual_mov_b32 v28, v13 :: v_dual_mov_b32 v29, v12
	s_delay_alu instid0(VALU_DEP_4) | instskip(NEXT) | instid1(VALU_DEP_4)
	v_pk_fma_f32 v[26:27], v[2:3], v[14:15], v[20:21] op_sel_hi:[1,0,1]
	v_pk_mul_f32 v[22:23], v[22:23], v[6:7] op_sel:[0,1]
	v_pk_fma_f32 v[2:3], v[2:3], v[14:15], v[20:21] neg_lo:[0,0,1] neg_hi:[0,0,1]
	v_pk_fma_f32 v[20:21], v[10:11], v[8:9], v[24:25] op_sel_hi:[1,0,1]
	s_delay_alu instid0(VALU_DEP_3)
	v_pk_fma_f32 v[14:15], v[4:5], v[6:7], v[22:23] op_sel_hi:[1,0,1]
	v_mov_b32_e32 v3, v27
	v_pk_fma_f32 v[4:5], v[4:5], v[6:7], v[22:23] neg_lo:[0,0,1] neg_hi:[0,0,1]
	v_pk_mul_f32 v[26:27], v[28:29], v[18:19] op_sel:[0,1]
	v_pk_fma_f32 v[6:7], v[10:11], v[8:9], v[24:25] neg_lo:[0,0,1] neg_hi:[0,0,1]
	v_mov_b32_e32 v5, v15
	v_pk_add_f32 v[2:3], v[2:3], 0 op_sel_hi:[1,0]
	s_delay_alu instid0(VALU_DEP_4) | instskip(SKIP_1) | instid1(VALU_DEP_3)
	v_pk_fma_f32 v[8:9], v[12:13], v[18:19], v[26:27] op_sel_hi:[1,0,1]
	v_mov_b32_e32 v7, v21
	v_pk_add_f32 v[2:3], v[2:3], v[4:5]
	v_pk_fma_f32 v[4:5], v[12:13], v[18:19], v[26:27] neg_lo:[0,0,1] neg_hi:[0,0,1]
	s_delay_alu instid0(VALU_DEP_4) | instskip(NEXT) | instid1(VALU_DEP_3)
	v_mov_b32_e32 v5, v9
	v_pk_add_f32 v[2:3], v[2:3], v[6:7]
	s_delay_alu instid0(VALU_DEP_1)
	v_pk_add_f32 v[2:3], v[2:3], v[4:5]
	ds_store_b64 v96, v[2:3]
	s_wait_dscnt 0x0
	s_barrier_signal -1
	s_barrier_wait -1
	s_and_saveexec_b32 s36, s21
	s_cbranch_execz .LBB44_89
; %bb.88:                               ;   in Loop: Header=BB44_4 Depth=1
	ds_load_2addr_b64 v[2:5], v93 offset1:7
	ds_load_2addr_b64 v[6:9], v93 offset0:1 offset1:2
	ds_load_2addr_b64 v[10:13], v93 offset0:3 offset1:4
	;; [unrolled: 1-line block ×3, first 2 shown]
	s_wait_dscnt 0x2
	v_dual_add_f32 v2, v6, v2 :: v_dual_add_f32 v3, v7, v3
	s_delay_alu instid0(VALU_DEP_1) | instskip(SKIP_1) | instid1(VALU_DEP_1)
	v_dual_add_f32 v2, v8, v2 :: v_dual_add_f32 v3, v9, v3
	s_wait_dscnt 0x1
	v_dual_add_f32 v2, v2, v10 :: v_dual_add_f32 v3, v3, v11
	s_delay_alu instid0(VALU_DEP_1) | instskip(SKIP_1) | instid1(VALU_DEP_1)
	v_dual_add_f32 v2, v2, v12 :: v_dual_add_f32 v3, v3, v13
	s_wait_dscnt 0x0
	v_dual_add_f32 v2, v2, v18 :: v_dual_add_f32 v3, v3, v19
	s_delay_alu instid0(VALU_DEP_1) | instskip(NEXT) | instid1(VALU_DEP_1)
	v_pk_add_f32 v[2:3], v[2:3], v[20:21]
	v_pk_add_f32 v[50:51], v[2:3], v[4:5]
.LBB44_89:                              ;   in Loop: Header=BB44_4 Depth=1
	s_or_b32 exec_lo, exec_lo, s36
	v_lshl_add_u64 v[18:19], s[56:57], 3, v[0:1]
	s_and_not1_b32 vcc_lo, exec_lo, s101
	s_mov_b32 s36, -1
	s_barrier_signal -1
	s_barrier_wait -1
	s_cbranch_vccnz .LBB44_91
; %bb.90:                               ;   in Loop: Header=BB44_4 Depth=1
	v_add_nc_u64_e32 v[0:1], s[48:49], v[18:19]
	s_mov_b32 s36, 0
	s_delay_alu instid0(VALU_DEP_1) | instskip(NEXT) | instid1(VALU_DEP_1)
	v_add_nc_u64_e32 v[2:3], s[48:49], v[0:1]
	v_add_nc_u64_e32 v[4:5], s[48:49], v[2:3]
	s_clause 0x3
	flat_load_b64 v[6:7], v[18:19]
	flat_load_b64 v[0:1], v[0:1]
	;; [unrolled: 1-line block ×4, first 2 shown]
	s_wait_loadcnt_dscnt 0x303
	ds_store_b64 v106, v[6:7]
	s_wait_loadcnt_dscnt 0x203
	ds_store_b64 v106, v[0:1] offset:2112
	s_wait_loadcnt_dscnt 0x103
	ds_store_b64 v106, v[2:3] offset:4224
	;; [unrolled: 2-line block ×3, first 2 shown]
.LBB44_91:                              ;   in Loop: Header=BB44_4 Depth=1
	s_and_not1_b32 vcc_lo, exec_lo, s36
	s_cbranch_vccnz .LBB44_101
; %bb.92:                               ;   in Loop: Header=BB44_4 Depth=1
	s_wait_xcnt 0x2
	v_lshl_add_u64 v[0:1], v[42:43], 3, v[18:19]
	s_wait_xcnt 0x0
	v_dual_mov_b32 v4, 0 :: v_dual_mov_b32 v2, 0
	v_mov_b32_e32 v3, 0
	s_delay_alu instid0(VALU_DEP_3) | instskip(NEXT) | instid1(VALU_DEP_1)
	v_lshl_add_u64 v[0:1], s[40:41], 3, v[0:1]
	v_add_nc_u64_e32 v[0:1], s[94:95], v[0:1]
	s_delay_alu instid0(VALU_DEP_1)
	v_dual_cndmask_b32 v1, v1, v19, s16 :: v_dual_cndmask_b32 v0, v0, v18, s16
	s_and_saveexec_b32 s36, s3
	s_cbranch_execz .LBB44_94
; %bb.93:                               ;   in Loop: Header=BB44_4 Depth=1
	flat_load_b64 v[2:3], v[0:1]
.LBB44_94:                              ;   in Loop: Header=BB44_4 Depth=1
	s_wait_xcnt 0x0
	s_or_b32 exec_lo, exec_lo, s36
	v_mov_b32_e32 v5, 0
	s_wait_loadcnt_dscnt 0x0
	ds_store_b64 v106, v[2:3]
	s_and_saveexec_b32 s36, s4
	s_cbranch_execz .LBB44_96
; %bb.95:                               ;   in Loop: Header=BB44_4 Depth=1
	v_add_nc_u64_e32 v[2:3], s[48:49], v[0:1]
	flat_load_b64 v[4:5], v[2:3]
.LBB44_96:                              ;   in Loop: Header=BB44_4 Depth=1
	s_wait_xcnt 0x0
	s_or_b32 exec_lo, exec_lo, s36
	v_dual_mov_b32 v2, 0 :: v_dual_mov_b32 v6, 0
	v_mov_b32_e32 v7, 0
	s_wait_loadcnt_dscnt 0x0
	ds_store_b64 v106, v[4:5] offset:2112
	s_and_saveexec_b32 s36, s5
	s_cbranch_execz .LBB44_98
; %bb.97:                               ;   in Loop: Header=BB44_4 Depth=1
	v_add_nc_u64_e32 v[4:5], s[50:51], v[0:1]
	flat_load_b64 v[6:7], v[4:5]
.LBB44_98:                              ;   in Loop: Header=BB44_4 Depth=1
	s_wait_xcnt 0x0
	s_or_b32 exec_lo, exec_lo, s36
	v_mov_b32_e32 v3, 0
	s_wait_loadcnt_dscnt 0x0
	ds_store_b64 v106, v[6:7] offset:4224
	s_and_saveexec_b32 s36, s6
	s_cbranch_execz .LBB44_100
; %bb.99:                               ;   in Loop: Header=BB44_4 Depth=1
	v_add_nc_u64_e32 v[2:3], s[52:53], v[0:1]
	flat_load_b64 v[2:3], v[2:3]
.LBB44_100:                             ;   in Loop: Header=BB44_4 Depth=1
	s_wait_xcnt 0x0
	s_or_b32 exec_lo, exec_lo, s36
	v_add_nc_u64_e32 v[0:1], v[0:1], v[34:35]
	s_wait_loadcnt_dscnt 0x0
	ds_store_b64 v106, v[2:3] offset:6336
	v_lshl_add_u64 v[0:1], s[62:63], 3, v[0:1]
	s_delay_alu instid0(VALU_DEP_1) | instskip(NEXT) | instid1(VALU_DEP_1)
	v_add_nc_u64_e32 v[0:1], 0x108, v[0:1]
	v_dual_cndmask_b32 v19, v1, v19, s16 :: v_dual_cndmask_b32 v18, v0, v18, s16
.LBB44_101:                             ;   in Loop: Header=BB44_4 Depth=1
	s_wait_dscnt 0x0
	s_barrier_signal -1
	s_barrier_wait -1
	ds_load_b64 v[8:9], v106
	ds_load_b64 v[10:11], v109
	ds_load_2addr_b64 v[20:23], v105 offset0:8 offset1:16
	ds_load_b64 v[12:13], v106 offset:2112
	ds_load_b64 v[24:25], v106 offset:4224
	;; [unrolled: 1-line block ×4, first 2 shown]
	s_wait_xcnt 0x0
	ds_load_2addr_b64 v[4:7], v97 offset1:1
	ds_load_2addr_b64 v[0:3], v97 offset0:2 offset1:3
	s_wait_dscnt 0x7
	v_pk_mul_f32 v[14:15], v[10:11], v[8:9] op_sel:[1,1] op_sel_hi:[0,1]
	s_wait_dscnt 0x5
	v_pk_mul_f32 v[30:31], v[20:21], v[12:13] op_sel:[1,1] op_sel_hi:[0,1]
	;; [unrolled: 2-line block ×3, first 2 shown]
	v_pk_fma_f32 v[52:53], v[10:11], v[8:9], v[14:15] op_sel_hi:[1,0,1]
	v_pk_fma_f32 v[8:9], v[10:11], v[8:9], v[14:15] neg_lo:[0,0,1] neg_hi:[0,0,1]
	v_pk_fma_f32 v[10:11], v[20:21], v[12:13], v[30:31] op_sel_hi:[1,0,1]
	v_pk_fma_f32 v[20:21], v[20:21], v[12:13], v[30:31] neg_lo:[0,0,1] neg_hi:[0,0,1]
	v_pk_fma_f32 v[30:31], v[22:23], v[24:25], v[54:55] op_sel_hi:[1,0,1]
	v_mov_b32_e32 v9, v53
	s_wait_dscnt 0x2
	v_pk_mul_f32 v[52:53], v[28:29], v[26:27] op_sel:[1,1] op_sel_hi:[0,1]
	v_mov_b32_e32 v21, v11
	v_pk_fma_f32 v[22:23], v[22:23], v[24:25], v[54:55] neg_lo:[0,0,1] neg_hi:[0,0,1]
	v_pk_add_f32 v[56:57], v[8:9], 0 op_sel_hi:[1,0]
	ds_load_b128 v[12:15], v95 offset:256
	ds_load_b128 v[8:11], v95 offset:272
	v_pk_fma_f32 v[24:25], v[28:29], v[26:27], v[52:53] op_sel_hi:[1,0,1]
	v_mov_b32_e32 v23, v31
	v_pk_fma_f32 v[26:27], v[28:29], v[26:27], v[52:53] neg_lo:[0,0,1] neg_hi:[0,0,1]
	v_pk_add_f32 v[20:21], v[56:57], v[20:21]
	s_wait_dscnt 0x0
	v_mov_b32_e32 v27, v25
	s_barrier_signal -1
	s_barrier_wait -1
	v_pk_add_f32 v[20:21], v[20:21], v[22:23]
	s_delay_alu instid0(VALU_DEP_1)
	v_pk_add_f32 v[20:21], v[20:21], v[26:27]
	ds_store_b64 v96, v[20:21]
	s_wait_dscnt 0x0
	s_barrier_signal -1
	s_barrier_wait -1
	s_and_saveexec_b32 s36, s21
	s_cbranch_execz .LBB44_103
; %bb.102:                              ;   in Loop: Header=BB44_4 Depth=1
	ds_load_2addr_b64 v[20:23], v93 offset1:1
	ds_load_2addr_b64 v[24:27], v93 offset0:2 offset1:3
	ds_load_2addr_b64 v[28:31], v93 offset0:4 offset1:5
	s_wait_dscnt 0x2
	v_pk_add_f32 v[20:21], v[50:51], v[20:21]
	s_delay_alu instid0(VALU_DEP_1) | instskip(SKIP_1) | instid1(VALU_DEP_1)
	v_pk_add_f32 v[20:21], v[20:21], v[22:23]
	s_wait_dscnt 0x1
	v_pk_add_f32 v[24:25], v[20:21], v[24:25]
	ds_load_2addr_b64 v[20:23], v93 offset0:6 offset1:7
	v_pk_add_f32 v[24:25], v[24:25], v[26:27]
	s_wait_dscnt 0x1
	s_delay_alu instid0(VALU_DEP_1) | instskip(NEXT) | instid1(VALU_DEP_1)
	v_pk_add_f32 v[24:25], v[24:25], v[28:29]
	v_pk_add_f32 v[24:25], v[24:25], v[30:31]
	s_wait_dscnt 0x0
	s_delay_alu instid0(VALU_DEP_1) | instskip(NEXT) | instid1(VALU_DEP_1)
	v_pk_add_f32 v[20:21], v[24:25], v[20:21]
	v_pk_add_f32 v[50:51], v[20:21], v[22:23]
.LBB44_103:                             ;   in Loop: Header=BB44_4 Depth=1
	s_or_b32 exec_lo, exec_lo, s36
	v_pk_mul_f32 v[20:21], v[4:5], v[12:13] op_sel:[1,1] op_sel_hi:[1,0]
	v_dual_mov_b32 v22, v7 :: v_dual_mov_b32 v24, v15
	v_mov_b32_e32 v25, v14
	v_pk_mul_f32 v[26:27], v[0:1], v[8:9] op_sel:[1,1] op_sel_hi:[1,0]
	s_delay_alu instid0(VALU_DEP_4) | instskip(SKIP_3) | instid1(VALU_DEP_4)
	v_pk_fma_f32 v[28:29], v[4:5], v[12:13], v[20:21] op_sel_hi:[0,1,1] neg_lo:[0,0,1] neg_hi:[0,0,1]
	v_mov_b32_e32 v28, v3
	v_pk_fma_f32 v[4:5], v[4:5], v[12:13], v[20:21]
	v_pk_mul_f32 v[22:23], v[22:23], v[24:25] op_sel_hi:[0,1]
	v_dual_mov_b32 v24, v11 :: v_dual_mov_b32 v5, v29
	v_pk_fma_f32 v[20:21], v[0:1], v[8:9], v[26:27] op_sel_hi:[0,1,1] neg_lo:[0,0,1] neg_hi:[0,0,1]
	v_pk_fma_f32 v[0:1], v[0:1], v[8:9], v[26:27]
	s_delay_alu instid0(VALU_DEP_4) | instskip(SKIP_3) | instid1(VALU_DEP_4)
	v_pk_fma_f32 v[12:13], v[6:7], v[14:15], v[22:23] op_sel_hi:[0,1,1] neg_lo:[0,0,1] neg_hi:[0,0,1]
	v_mov_b32_e32 v25, v10
	v_pk_fma_f32 v[6:7], v[6:7], v[14:15], v[22:23]
	v_pk_add_f32 v[4:5], v[4:5], 0 op_sel_hi:[1,0]
	v_mov_b32_e32 v7, v13
	s_delay_alu instid0(VALU_DEP_4) | instskip(SKIP_2) | instid1(VALU_DEP_2)
	v_pk_mul_f32 v[14:15], v[28:29], v[24:25] op_sel_hi:[0,1]
	s_barrier_signal -1
	s_barrier_wait -1
	v_pk_add_f32 v[4:5], v[4:5], v[6:7]
	s_delay_alu instid0(VALU_DEP_2) | instskip(SKIP_2) | instid1(VALU_DEP_3)
	v_pk_fma_f32 v[8:9], v[2:3], v[10:11], v[14:15] op_sel_hi:[0,1,1] neg_lo:[0,0,1] neg_hi:[0,0,1]
	v_mov_b32_e32 v1, v21
	v_pk_fma_f32 v[2:3], v[2:3], v[10:11], v[14:15]
	v_mov_b32_e32 v3, v9
	s_delay_alu instid0(VALU_DEP_3) | instskip(NEXT) | instid1(VALU_DEP_1)
	v_pk_add_f32 v[0:1], v[4:5], v[0:1]
	v_pk_add_f32 v[0:1], v[0:1], v[2:3]
	ds_store_b64 v96, v[0:1]
	s_wait_dscnt 0x0
	s_barrier_signal -1
	s_barrier_wait -1
	s_and_saveexec_b32 s36, s15
	s_cbranch_execz .LBB44_105
; %bb.104:                              ;   in Loop: Header=BB44_4 Depth=1
	ds_load_2addr_b64 v[0:3], v93 offset1:1
	ds_load_2addr_b64 v[4:7], v93 offset0:2 offset1:3
	ds_load_2addr_b64 v[8:11], v93 offset0:4 offset1:5
	s_wait_dscnt 0x2
	v_pk_add_f32 v[0:1], v[50:51], v[0:1]
	s_delay_alu instid0(VALU_DEP_1) | instskip(SKIP_1) | instid1(VALU_DEP_1)
	v_pk_add_f32 v[0:1], v[0:1], v[2:3]
	s_wait_dscnt 0x1
	v_pk_add_f32 v[4:5], v[0:1], v[4:5]
	ds_load_2addr_b64 v[0:3], v93 offset0:6 offset1:7
	v_pk_add_f32 v[4:5], v[4:5], v[6:7]
	s_wait_dscnt 0x1
	s_delay_alu instid0(VALU_DEP_1) | instskip(NEXT) | instid1(VALU_DEP_1)
	v_pk_add_f32 v[4:5], v[4:5], v[8:9]
	v_pk_add_f32 v[4:5], v[4:5], v[10:11]
	s_wait_dscnt 0x0
	s_delay_alu instid0(VALU_DEP_1) | instskip(NEXT) | instid1(VALU_DEP_1)
	v_pk_add_f32 v[0:1], v[4:5], v[0:1]
	v_pk_add_f32 v[50:51], v[0:1], v[2:3]
.LBB44_105:                             ;   in Loop: Header=BB44_4 Depth=1
	s_or_b32 exec_lo, exec_lo, s36
	s_mul_u64 s[98:99], s[42:43], s[34:35]
	s_and_not1_b32 vcc_lo, exec_lo, s102
	s_lshl_b64 s[98:99], s[98:99], 3
	s_delay_alu instid0(SALU_CYCLE_1)
	s_add_nc_u64 s[98:99], s[44:45], s[98:99]
	s_barrier_signal -1
	s_barrier_wait -1
	s_cbranch_vccnz .LBB44_112
; %bb.106:                              ;   in Loop: Header=BB44_4 Depth=1
	v_lshl_add_u64 v[0:1], s[60:61], 3, v[18:19]
	v_dual_mov_b32 v3, v35 :: v_dual_lshlrev_b32 v2, 3, v32
	s_mov_b64 vcc, 0xffffffffffffff00
	v_lshl_add_u64 v[52:53], s[58:59], 3, v[16:17]
	s_delay_alu instid0(VALU_DEP_3) | instskip(SKIP_2) | instid1(VALU_DEP_1)
	v_lshl_add_u64 v[0:1], v[44:45], 3, v[0:1]
	s_mov_b32 s36, 0
	s_mov_b32 s35, s33
	v_lshl_add_u64 v[0:1], v[46:47], 3, v[0:1]
	s_delay_alu instid0(VALU_DEP_1) | instskip(SKIP_1) | instid1(VALU_DEP_1)
	v_add_nc_u64_e32 v[2:3], v[0:1], v[2:3]
	v_lshl_add_u64 v[0:1], s[40:41], 3, v[0:1]
	v_add_nc_u64_e32 v[0:1], s[94:95], v[0:1]
	s_delay_alu instid0(VALU_DEP_3) | instskip(NEXT) | instid1(VALU_DEP_1)
	v_add_nc_u64_e32 v[2:3], vcc, v[2:3]
	v_dual_cndmask_b32 v55, v3, v1, s1 :: v_dual_cndmask_b32 v54, v2, v0, s1
	s_branch .LBB44_108
.LBB44_107:                             ;   in Loop: Header=BB44_108 Depth=2
	s_wait_xcnt 0x0
	s_or_b32 exec_lo, exec_lo, vcc_lo
	v_pk_mul_f32 v[112:113], v[62:63], v[4:5] op_sel:[1,1] op_sel_hi:[0,1]
	v_dual_mov_b32 v114, v7 :: v_dual_mov_b32 v118, v3
	v_pk_mul_f32 v[116:117], v[58:59], v[0:1] op_sel:[1,1] op_sel_hi:[0,1]
	v_pk_mul_f32 v[122:123], v[68:69], v[8:9] op_sel:[1,1] op_sel_hi:[0,1]
	s_delay_alu instid0(VALU_DEP_4) | instskip(NEXT) | instid1(VALU_DEP_4)
	v_pk_fma_f32 v[120:121], v[62:63], v[4:5], v[112:113] op_sel_hi:[1,0,1]
	v_pk_mul_f32 v[114:115], v[60:61], v[114:115] op_sel:[1,0] op_sel_hi:[0,0]
	v_pk_fma_f32 v[4:5], v[62:63], v[4:5], v[112:113] neg_lo:[0,0,1] neg_hi:[0,0,1]
	v_mov_b32_e32 v120, v11
	v_pk_mul_f32 v[112:113], v[56:57], v[118:119] op_sel:[1,0] op_sel_hi:[0,0]
	v_mov_b32_e32 v5, v121
	v_pk_fma_f32 v[62:63], v[60:61], v[6:7], v[114:115] op_sel_hi:[1,0,1]
	v_pk_fma_f32 v[6:7], v[60:61], v[6:7], v[114:115] neg_lo:[0,0,1] neg_hi:[0,0,1]
	v_pk_fma_f32 v[118:119], v[58:59], v[0:1], v[116:117] op_sel_hi:[1,0,1]
	v_pk_fma_f32 v[0:1], v[58:59], v[0:1], v[116:117] neg_lo:[0,0,1] neg_hi:[0,0,1]
	v_pk_add_f32 v[4:5], v[50:51], v[4:5]
	v_mov_b32_e32 v7, v63
	v_pk_fma_f32 v[58:59], v[56:57], v[2:3], v[112:113] op_sel_hi:[1,0,1]
	v_mov_b32_e32 v1, v119
	v_pk_fma_f32 v[2:3], v[56:57], v[2:3], v[112:113] neg_lo:[0,0,1] neg_hi:[0,0,1]
	v_pk_fma_f32 v[60:61], v[68:69], v[8:9], v[122:123] op_sel_hi:[1,0,1]
	v_pk_add_f32 v[4:5], v[4:5], v[6:7]
	v_pk_mul_f32 v[6:7], v[64:65], v[120:121] op_sel:[1,0] op_sel_hi:[0,0]
	v_mov_b32_e32 v3, v59
	v_pk_mul_f32 v[50:51], v[70:71], v[12:13] op_sel:[1,1] op_sel_hi:[0,1]
	v_pk_fma_f32 v[8:9], v[68:69], v[8:9], v[122:123] neg_lo:[0,0,1] neg_hi:[0,0,1]
	v_pk_add_f32 v[0:1], v[4:5], v[0:1]
	v_mov_b32_e32 v4, v15
	v_pk_fma_f32 v[56:57], v[64:65], v[10:11], v[6:7] op_sel_hi:[1,0,1]
	v_mov_b32_e32 v9, v61
	v_pk_fma_f32 v[6:7], v[64:65], v[10:11], v[6:7] neg_lo:[0,0,1] neg_hi:[0,0,1]
	v_pk_add_f32 v[0:1], v[0:1], v[2:3]
	v_pk_fma_f32 v[2:3], v[70:71], v[12:13], v[50:51] op_sel_hi:[1,0,1]
	v_pk_mul_f32 v[4:5], v[66:67], v[4:5] op_sel:[1,0] op_sel_hi:[0,0]
	v_mov_b32_e32 v7, v57
	v_pk_fma_f32 v[10:11], v[70:71], v[12:13], v[50:51] neg_lo:[0,0,1] neg_hi:[0,0,1]
	v_pk_add_f32 v[0:1], v[0:1], v[8:9]
	v_mov_b32_e32 v11, v3
	v_pk_fma_f32 v[2:3], v[66:67], v[14:15], v[4:5] op_sel_hi:[1,0,1]
	v_pk_mul_f32 v[8:9], v[78:79], v[16:17] op_sel:[1,1] op_sel_hi:[0,1]
	v_mov_b32_e32 v2, v19
	v_pk_add_f32 v[0:1], v[0:1], v[6:7]
	v_pk_fma_f32 v[4:5], v[66:67], v[14:15], v[4:5] neg_lo:[0,0,1] neg_hi:[0,0,1]
	v_mov_b32_e32 v5, v3
	v_pk_fma_f32 v[6:7], v[78:79], v[16:17], v[8:9] op_sel_hi:[1,0,1]
	v_pk_mul_f32 v[2:3], v[76:77], v[2:3] op_sel:[1,0] op_sel_hi:[0,0]
	v_pk_add_f32 v[0:1], v[0:1], v[10:11]
	v_pk_fma_f32 v[8:9], v[78:79], v[16:17], v[8:9] neg_lo:[0,0,1] neg_hi:[0,0,1]
	v_mov_b32_e32 v6, v23
	v_pk_mul_f32 v[10:11], v[74:75], v[20:21] op_sel:[1,1] op_sel_hi:[0,1]
	v_add_nc_u64_e32 v[54:55], s[66:67], v[54:55]
	v_pk_add_f32 v[0:1], v[0:1], v[4:5]
	v_pk_fma_f32 v[4:5], v[76:77], v[18:19], v[2:3] op_sel_hi:[1,0,1]
	v_mov_b32_e32 v9, v7
	v_pk_fma_f32 v[2:3], v[76:77], v[18:19], v[2:3] neg_lo:[0,0,1] neg_hi:[0,0,1]
	v_pk_mul_f32 v[6:7], v[72:73], v[6:7] op_sel:[1,0] op_sel_hi:[0,0]
	s_add_co_i32 s35, s35, -1
	v_mov_b32_e32 v3, v5
	v_pk_add_f32 v[0:1], v[0:1], v[8:9]
	v_pk_fma_f32 v[4:5], v[74:75], v[20:21], v[10:11] op_sel_hi:[1,0,1]
	v_pk_fma_f32 v[10:11], v[74:75], v[20:21], v[10:11] neg_lo:[0,0,1] neg_hi:[0,0,1]
	v_pk_fma_f32 v[8:9], v[72:73], v[22:23], v[6:7] op_sel_hi:[1,0,1]
	v_dual_mov_b32 v4, v27 :: v_dual_mov_b32 v8, v31
	v_pk_add_f32 v[0:1], v[0:1], v[2:3]
	v_mov_b32_e32 v11, v5
	v_pk_fma_f32 v[2:3], v[72:73], v[22:23], v[6:7] neg_lo:[0,0,1] neg_hi:[0,0,1]
	v_pk_mul_f32 v[6:7], v[86:87], v[24:25] op_sel:[1,1] op_sel_hi:[0,1]
	v_mov_b32_e32 v3, v9
	v_pk_mul_f32 v[4:5], v[82:83], v[4:5] op_sel:[1,0] op_sel_hi:[0,0]
	v_pk_add_f32 v[0:1], v[0:1], v[10:11]
	v_pk_mul_f32 v[8:9], v[80:81], v[8:9] op_sel:[1,0] op_sel_hi:[0,0]
	v_pk_fma_f32 v[10:11], v[86:87], v[24:25], v[6:7] op_sel_hi:[1,0,1]
	v_pk_fma_f32 v[6:7], v[86:87], v[24:25], v[6:7] neg_lo:[0,0,1] neg_hi:[0,0,1]
	v_pk_fma_f32 v[12:13], v[82:83], v[26:27], v[4:5] op_sel_hi:[1,0,1]
	v_pk_add_f32 v[0:1], v[0:1], v[2:3]
	v_pk_mul_f32 v[2:3], v[84:85], v[28:29] op_sel:[1,1] op_sel_hi:[0,1]
	v_mov_b32_e32 v7, v11
	v_pk_fma_f32 v[4:5], v[82:83], v[26:27], v[4:5] neg_lo:[0,0,1] neg_hi:[0,0,1]
	v_mov_b32_e32 v5, v13
	s_add_co_i32 s36, s36, 64
	v_pk_fma_f32 v[10:11], v[84:85], v[28:29], v[2:3] op_sel_hi:[1,0,1]
	v_pk_add_f32 v[0:1], v[0:1], v[6:7]
	v_pk_fma_f32 v[2:3], v[84:85], v[28:29], v[2:3] neg_lo:[0,0,1] neg_hi:[0,0,1]
	v_pk_fma_f32 v[6:7], v[80:81], v[30:31], v[8:9] op_sel_hi:[1,0,1]
	s_cmp_eq_u32 s35, 0
	v_mov_b32_e32 v3, v11
	v_pk_add_f32 v[0:1], v[0:1], v[4:5]
	v_pk_fma_f32 v[4:5], v[80:81], v[30:31], v[8:9] neg_lo:[0,0,1] neg_hi:[0,0,1]
	v_mov_b32_e32 v5, v7
	s_wait_storecnt 0x0
	s_barrier_signal -1
	v_pk_add_f32 v[0:1], v[0:1], v[2:3]
	s_barrier_wait -1
	s_delay_alu instid0(VALU_DEP_1)
	v_pk_add_f32 v[50:51], v[0:1], v[4:5]
	s_cbranch_scc1 .LBB44_112
.LBB44_108:                             ;   Parent Loop BB44_4 Depth=1
                                        ; =>  This Inner Loop Header: Depth=2
	s_and_saveexec_b32 vcc_lo, s0
	s_cbranch_execz .LBB44_110
; %bb.109:                              ;   in Loop: Header=BB44_108 Depth=2
	s_mul_u64 s[18:19], s[38:39], s[36:37]
	s_delay_alu instid0(SALU_CYCLE_1)
	v_lshl_add_u64 v[0:1], s[18:19], 3, v[52:53]
	flat_load_b64 v[0:1], v[0:1]
	s_wait_loadcnt_dscnt 0x0
	ds_store_b64 v98, v[0:1]
.LBB44_110:                             ;   in Loop: Header=BB44_108 Depth=2
	s_wait_xcnt 0x0
	s_or_b32 exec_lo, exec_lo, vcc_lo
	v_add_nc_u64_e32 v[0:1], s[64:65], v[54:55]
	v_add_nc_u64_e32 v[2:3], s[68:69], v[54:55]
	;; [unrolled: 1-line block ×3, first 2 shown]
	s_wait_dscnt 0x0
	s_barrier_signal -1
	s_barrier_wait -1
	s_clause 0x3
	flat_load_b64 v[62:63], v[54:55]
	flat_load_b64 v[60:61], v[0:1]
	;; [unrolled: 1-line block ×4, first 2 shown]
	ds_load_b64 v[8:9], v88
	s_wait_xcnt 0x0
	ds_load_b128 v[4:7], v99
	v_add_nc_u64_e32 v[12:13], s[50:51], v[54:55]
	v_add_nc_u64_e32 v[20:21], s[72:73], v[54:55]
	v_add_nc_u64_e32 v[22:23], s[74:75], v[54:55]
	ds_load_b128 v[0:3], v99 offset:16
	v_add_nc_u64_e32 v[28:29], s[76:77], v[54:55]
	v_add_nc_u64_e32 v[30:31], s[78:79], v[54:55]
	v_add_nc_u64_e32 v[84:85], s[80:81], v[54:55]
	v_add_nc_u64_e32 v[136:137], s[82:83], v[54:55]
	s_wait_loadcnt_dscnt 0x202
	v_dual_mul_f32 v14, v61, v9 :: v_dual_mul_f32 v15, v61, v8
	v_dual_mul_f32 v10, v63, v9 :: v_dual_mul_f32 v11, v63, v8
	s_wait_loadcnt 0x1
	v_dual_mul_f32 v16, v59, v9 :: v_dual_mul_f32 v17, v59, v8
	s_wait_loadcnt 0x0
	v_dual_mul_f32 v18, v57, v9 :: v_dual_mul_f32 v19, v57, v8
	v_dual_fmac_f32 v10, v62, v8 :: v_dual_fma_f32 v11, v62, v9, -v11
	v_dual_fmac_f32 v14, v60, v8 :: v_dual_fma_f32 v15, v60, v9, -v15
	;; [unrolled: 1-line block ×3, first 2 shown]
	s_delay_alu instid0(VALU_DEP_4)
	v_dual_fmac_f32 v18, v56, v8 :: v_dual_fma_f32 v19, v56, v9, -v19
	v_add_nc_u64_e32 v[8:9], s[92:93], v[54:55]
	ds_store_2addr_b64 v100, v[10:11], v[14:15] offset1:67
	ds_store_2addr_b64 v100, v[16:17], v[18:19] offset0:134 offset1:201
	s_wait_dscnt 0x0
	s_barrier_signal -1
	s_barrier_wait -1
	ds_load_2addr_b64 v[112:115], v101 offset1:1
	ds_load_2addr_b64 v[116:119], v101 offset0:2 offset1:3
	s_wait_dscnt 0x0
	s_barrier_signal -1
	s_barrier_wait -1
	s_clause 0x3
	flat_load_b64 v[68:69], v[12:13]
	flat_load_b64 v[64:65], v[8:9]
	;; [unrolled: 1-line block ×4, first 2 shown]
	s_wait_xcnt 0x3
	ds_load_b64 v[12:13], v88
	s_wait_xcnt 0x2
	ds_load_b128 v[8:11], v99 offset:128
	v_add_nc_u64_e32 v[16:17], s[90:91], v[54:55]
	v_add_nc_u64_e32 v[18:19], s[88:89], v[54:55]
	v_pk_add_f32 v[112:113], v[112:113], 0 op_sel_hi:[1,0]
	s_delay_alu instid0(VALU_DEP_1) | instskip(NEXT) | instid1(VALU_DEP_1)
	v_pk_add_f32 v[112:113], v[112:113], v[114:115]
	v_pk_add_f32 v[112:113], v[112:113], v[116:117]
	s_delay_alu instid0(VALU_DEP_1)
	v_pk_add_f32 v[112:113], v[112:113], v[118:119]
	s_wait_loadcnt_dscnt 0x301
	s_wait_xcnt 0x1
	v_dual_mul_f32 v20, v69, v13 :: v_dual_mul_f32 v14, v69, v12
	s_wait_loadcnt 0x2
	s_wait_xcnt 0x0
	v_dual_mul_f32 v22, v65, v13 :: v_dual_mul_f32 v15, v65, v12
	s_wait_loadcnt 0x1
	v_dual_mul_f32 v24, v71, v13 :: v_dual_mul_f32 v25, v71, v12
	s_wait_loadcnt 0x0
	v_dual_mul_f32 v26, v67, v13 :: v_dual_mul_f32 v27, v67, v12
	v_dual_fmac_f32 v20, v68, v12 :: v_dual_fma_f32 v21, v68, v13, -v14
	v_dual_fmac_f32 v22, v64, v12 :: v_dual_fma_f32 v23, v64, v13, -v15
	;; [unrolled: 1-line block ×3, first 2 shown]
	s_delay_alu instid0(VALU_DEP_4)
	v_dual_fmac_f32 v26, v66, v12 :: v_dual_fma_f32 v27, v66, v13, -v27
	ds_load_b128 v[12:15], v99 offset:144
	ds_store_2addr_b64 v100, v[20:21], v[22:23] offset1:67
	ds_store_2addr_b64 v100, v[24:25], v[26:27] offset0:134 offset1:201
	s_wait_dscnt 0x0
	s_barrier_signal -1
	s_barrier_wait -1
	ds_load_2addr_b64 v[120:123], v101 offset1:1
	ds_load_2addr_b64 v[124:127], v101 offset0:2 offset1:3
	s_wait_dscnt 0x0
	s_barrier_signal -1
	s_barrier_wait -1
	s_clause 0x3
	flat_load_b64 v[78:79], v[16:17]
	flat_load_b64 v[76:77], v[18:19]
	;; [unrolled: 1-line block ×4, first 2 shown]
	ds_load_b64 v[20:21], v88
	s_wait_xcnt 0x2
	ds_load_b128 v[16:19], v99 offset:256
	v_add_nc_u64_e32 v[24:25], s[86:87], v[54:55]
	v_add_nc_u64_e32 v[26:27], s[84:85], v[54:55]
	v_pk_add_f32 v[120:121], v[120:121], 0 op_sel_hi:[1,0]
	s_delay_alu instid0(VALU_DEP_1) | instskip(NEXT) | instid1(VALU_DEP_1)
	v_pk_add_f32 v[114:115], v[120:121], v[122:123]
	v_pk_add_f32 v[114:115], v[114:115], v[124:125]
	s_delay_alu instid0(VALU_DEP_1)
	v_pk_add_f32 v[114:115], v[114:115], v[126:127]
	s_wait_loadcnt_dscnt 0x301
	s_wait_xcnt 0x1
	v_dual_mul_f32 v28, v79, v21 :: v_dual_mul_f32 v22, v79, v20
	s_wait_loadcnt 0x2
	s_wait_xcnt 0x0
	v_dual_mul_f32 v30, v77, v21 :: v_dual_mul_f32 v23, v77, v20
	s_wait_loadcnt 0x1
	v_dual_mul_f32 v80, v75, v21 :: v_dual_mul_f32 v81, v75, v20
	s_wait_loadcnt 0x0
	v_dual_mul_f32 v82, v73, v21 :: v_dual_mul_f32 v83, v73, v20
	v_dual_fmac_f32 v28, v78, v20 :: v_dual_fma_f32 v29, v78, v21, -v22
	v_dual_fmac_f32 v30, v76, v20 :: v_dual_fma_f32 v31, v76, v21, -v23
	;; [unrolled: 1-line block ×3, first 2 shown]
	s_delay_alu instid0(VALU_DEP_4)
	v_dual_fmac_f32 v82, v72, v20 :: v_dual_fma_f32 v83, v72, v21, -v83
	ds_load_b128 v[20:23], v99 offset:272
	ds_store_2addr_b64 v100, v[28:29], v[30:31] offset1:67
	ds_store_2addr_b64 v100, v[80:81], v[82:83] offset0:134 offset1:201
	s_wait_dscnt 0x0
	s_barrier_signal -1
	s_barrier_wait -1
	ds_load_2addr_b64 v[128:131], v101 offset1:1
	ds_load_2addr_b64 v[132:135], v101 offset0:2 offset1:3
	s_wait_dscnt 0x0
	s_barrier_signal -1
	s_barrier_wait -1
	s_clause 0x3
	flat_load_b64 v[86:87], v[24:25]
	flat_load_b64 v[82:83], v[26:27]
	;; [unrolled: 1-line block ×4, first 2 shown]
	ds_load_b64 v[28:29], v88
	s_wait_xcnt 0x2
	ds_load_b128 v[24:27], v99 offset:384
	v_pk_add_f32 v[128:129], v[128:129], 0 op_sel_hi:[1,0]
	s_delay_alu instid0(VALU_DEP_1) | instskip(NEXT) | instid1(VALU_DEP_1)
	v_pk_add_f32 v[120:121], v[128:129], v[130:131]
	v_pk_add_f32 v[116:117], v[120:121], v[132:133]
	s_delay_alu instid0(VALU_DEP_1)
	v_pk_add_f32 v[116:117], v[116:117], v[134:135]
	s_wait_loadcnt_dscnt 0x301
	s_wait_xcnt 0x0
	v_dual_mul_f32 v30, v87, v28 :: v_dual_mul_f32 v136, v87, v29
	s_wait_loadcnt 0x2
	v_dual_mul_f32 v138, v83, v29 :: v_dual_mul_f32 v31, v83, v28
	s_wait_loadcnt 0x1
	;; [unrolled: 2-line block ×3, first 2 shown]
	v_dual_mul_f32 v142, v81, v29 :: v_dual_mul_f32 v143, v81, v28
	v_dual_fma_f32 v137, v86, v29, -v30 :: v_dual_fmac_f32 v136, v86, v28
	v_dual_fmac_f32 v138, v82, v28 :: v_dual_fma_f32 v139, v82, v29, -v31
	v_dual_fma_f32 v141, v84, v29, -v111 :: v_dual_fmac_f32 v140, v84, v28
	s_delay_alu instid0(VALU_DEP_4)
	v_dual_fmac_f32 v142, v80, v28 :: v_dual_fma_f32 v143, v80, v29, -v143
	ds_load_b128 v[28:31], v99 offset:400
	ds_store_2addr_b64 v100, v[136:137], v[138:139] offset1:67
	ds_store_2addr_b64 v100, v[140:141], v[142:143] offset0:134 offset1:201
	s_wait_dscnt 0x0
	s_barrier_signal -1
	s_barrier_wait -1
	ds_load_2addr_b64 v[136:139], v101 offset1:1
	ds_load_2addr_b64 v[140:143], v101 offset0:2 offset1:3
	s_wait_dscnt 0x0
	s_barrier_signal -1
	s_barrier_wait -1
	v_pk_add_f32 v[136:137], v[136:137], 0 op_sel_hi:[1,0]
	s_delay_alu instid0(VALU_DEP_1) | instskip(NEXT) | instid1(VALU_DEP_1)
	v_pk_add_f32 v[122:123], v[136:137], v[138:139]
	v_pk_add_f32 v[120:121], v[122:123], v[140:141]
	s_delay_alu instid0(VALU_DEP_1)
	v_pk_add_f32 v[118:119], v[120:121], v[142:143]
	ds_store_2addr_b64 v110, v[112:113], v[114:115] offset1:16
	ds_store_2addr_b64 v110, v[116:117], v[118:119] offset0:32 offset1:48
	s_wait_dscnt 0x0
	s_barrier_signal -1
	s_barrier_wait -1
	s_and_saveexec_b32 vcc_lo, s22
	s_cbranch_execz .LBB44_107
; %bb.111:                              ;   in Loop: Header=BB44_108 Depth=2
	ds_load_b64 v[124:125], v102
	ds_load_2addr_b64 v[112:115], v102 offset0:1 offset1:2
	ds_load_2addr_b64 v[116:119], v102 offset0:3 offset1:4
	;; [unrolled: 1-line block ×3, first 2 shown]
	s_wait_dscnt 0x2
	v_dual_add_f32 v111, v112, v124 :: v_dual_add_f32 v112, v113, v125
	s_delay_alu instid0(VALU_DEP_1) | instskip(SKIP_3) | instid1(VALU_DEP_1)
	v_dual_add_f32 v111, v114, v111 :: v_dual_add_f32 v124, v115, v112
	ds_load_2addr_b64 v[112:115], v102 offset0:7 offset1:8
	s_wait_dscnt 0x2
	v_dual_add_f32 v111, v111, v116 :: v_dual_add_f32 v116, v124, v117
	v_dual_add_f32 v124, v111, v118 :: v_dual_add_f32 v125, v116, v119
	ds_load_2addr_b64 v[116:119], v102 offset0:9 offset1:10
	v_add_nc_u32_e32 v111, s36, v32
	s_wait_dscnt 0x2
	v_pk_add_f32 v[120:121], v[124:125], v[120:121]
	s_delay_alu instid0(VALU_DEP_1) | instskip(SKIP_3) | instid1(VALU_DEP_1)
	v_pk_add_f32 v[124:125], v[120:121], v[122:123]
	ds_load_2addr_b64 v[120:123], v102 offset0:11 offset1:12
	s_wait_dscnt 0x2
	v_pk_add_f32 v[112:113], v[124:125], v[112:113]
	v_pk_add_f32 v[112:113], v[112:113], v[114:115]
	s_wait_dscnt 0x1
	s_delay_alu instid0(VALU_DEP_1)
	v_pk_add_f32 v[116:117], v[112:113], v[116:117]
	ds_load_2addr_b64 v[112:115], v102 offset0:13 offset1:14
	v_pk_add_f32 v[116:117], v[116:117], v[118:119]
	ds_load_b64 v[118:119], v103
	s_wait_dscnt 0x2
	v_pk_add_f32 v[116:117], v[116:117], v[120:121]
	s_delay_alu instid0(VALU_DEP_1) | instskip(SKIP_1) | instid1(VALU_DEP_1)
	v_pk_add_f32 v[116:117], v[116:117], v[122:123]
	s_wait_dscnt 0x1
	v_pk_add_f32 v[112:113], v[116:117], v[112:113]
	s_delay_alu instid0(VALU_DEP_1) | instskip(SKIP_1) | instid1(VALU_DEP_1)
	v_pk_add_f32 v[112:113], v[112:113], v[114:115]
	s_wait_dscnt 0x0
	v_pk_add_f32 v[112:113], v[112:113], v[118:119]
	global_store_b64 v111, v[112:113], s[98:99] scale_offset
	s_branch .LBB44_107
.LBB44_112:                             ;   in Loop: Header=BB44_4 Depth=1
	ds_store_b64 v104, v[50:51]
	s_wait_dscnt 0x0
	s_barrier_signal -1
	s_barrier_wait -1
	s_and_saveexec_b32 s35, s103
	s_cbranch_execz .LBB44_2
; %bb.113:                              ;   in Loop: Header=BB44_4 Depth=1
	ds_load_2addr_b64 v[0:3], v33 offset1:67
	ds_load_2addr_b64 v[4:7], v33 offset0:134 offset1:201
	s_wait_dscnt 0x1
	v_pk_add_f32 v[0:1], v[2:3], v[0:1]
	v_lshl_add_u64 v[2:3], v[38:39], 3, s[98:99]
	s_wait_dscnt 0x0
	s_delay_alu instid0(VALU_DEP_2) | instskip(NEXT) | instid1(VALU_DEP_1)
	v_pk_add_f32 v[0:1], v[4:5], v[0:1]
	v_pk_add_f32 v[0:1], v[0:1], v[6:7]
	global_store_b64 v[2:3], v[0:1], off
	s_branch .LBB44_2
.LBB44_114:
	s_sendmsg sendmsg(MSG_DEALLOC_VGPRS)
	s_endpgm
	.section	.rodata,"a",@progbits
	.p2align	6, 0x0
	.amdhsa_kernel _ZL26rocblas_hemvn_kernel_lowerILb1ELi64ELi4ELi33ELi32ELi16El19rocblas_complex_numIfEPKPKS1_PS1_EviT6_lT7_lT5_lS8_lS9_lS7_lT8_i
		.amdhsa_group_segment_fixed_size 9600
		.amdhsa_private_segment_fixed_size 0
		.amdhsa_kernarg_size 376
		.amdhsa_user_sgpr_count 2
		.amdhsa_user_sgpr_dispatch_ptr 0
		.amdhsa_user_sgpr_queue_ptr 0
		.amdhsa_user_sgpr_kernarg_segment_ptr 1
		.amdhsa_user_sgpr_dispatch_id 0
		.amdhsa_user_sgpr_kernarg_preload_length 0
		.amdhsa_user_sgpr_kernarg_preload_offset 0
		.amdhsa_user_sgpr_private_segment_size 0
		.amdhsa_wavefront_size32 1
		.amdhsa_uses_dynamic_stack 0
		.amdhsa_enable_private_segment 0
		.amdhsa_system_sgpr_workgroup_id_x 1
		.amdhsa_system_sgpr_workgroup_id_y 0
		.amdhsa_system_sgpr_workgroup_id_z 1
		.amdhsa_system_sgpr_workgroup_info 0
		.amdhsa_system_vgpr_workitem_id 1
		.amdhsa_next_free_vgpr 145
		.amdhsa_next_free_sgpr 105
		.amdhsa_named_barrier_count 0
		.amdhsa_reserve_vcc 1
		.amdhsa_float_round_mode_32 0
		.amdhsa_float_round_mode_16_64 0
		.amdhsa_float_denorm_mode_32 3
		.amdhsa_float_denorm_mode_16_64 3
		.amdhsa_fp16_overflow 0
		.amdhsa_memory_ordered 1
		.amdhsa_forward_progress 1
		.amdhsa_inst_pref_size 60
		.amdhsa_round_robin_scheduling 0
		.amdhsa_exception_fp_ieee_invalid_op 0
		.amdhsa_exception_fp_denorm_src 0
		.amdhsa_exception_fp_ieee_div_zero 0
		.amdhsa_exception_fp_ieee_overflow 0
		.amdhsa_exception_fp_ieee_underflow 0
		.amdhsa_exception_fp_ieee_inexact 0
		.amdhsa_exception_int_div_zero 0
	.end_amdhsa_kernel
	.section	.text._ZL26rocblas_hemvn_kernel_lowerILb1ELi64ELi4ELi33ELi32ELi16El19rocblas_complex_numIfEPKPKS1_PS1_EviT6_lT7_lT5_lS8_lS9_lS7_lT8_i,"axG",@progbits,_ZL26rocblas_hemvn_kernel_lowerILb1ELi64ELi4ELi33ELi32ELi16El19rocblas_complex_numIfEPKPKS1_PS1_EviT6_lT7_lT5_lS8_lS9_lS7_lT8_i,comdat
.Lfunc_end44:
	.size	_ZL26rocblas_hemvn_kernel_lowerILb1ELi64ELi4ELi33ELi32ELi16El19rocblas_complex_numIfEPKPKS1_PS1_EviT6_lT7_lT5_lS8_lS9_lS7_lT8_i, .Lfunc_end44-_ZL26rocblas_hemvn_kernel_lowerILb1ELi64ELi4ELi33ELi32ELi16El19rocblas_complex_numIfEPKPKS1_PS1_EviT6_lT7_lT5_lS8_lS9_lS7_lT8_i
                                        ; -- End function
	.set _ZL26rocblas_hemvn_kernel_lowerILb1ELi64ELi4ELi33ELi32ELi16El19rocblas_complex_numIfEPKPKS1_PS1_EviT6_lT7_lT5_lS8_lS9_lS7_lT8_i.num_vgpr, 145
	.set _ZL26rocblas_hemvn_kernel_lowerILb1ELi64ELi4ELi33ELi32ELi16El19rocblas_complex_numIfEPKPKS1_PS1_EviT6_lT7_lT5_lS8_lS9_lS7_lT8_i.num_agpr, 0
	.set _ZL26rocblas_hemvn_kernel_lowerILb1ELi64ELi4ELi33ELi32ELi16El19rocblas_complex_numIfEPKPKS1_PS1_EviT6_lT7_lT5_lS8_lS9_lS7_lT8_i.numbered_sgpr, 105
	.set _ZL26rocblas_hemvn_kernel_lowerILb1ELi64ELi4ELi33ELi32ELi16El19rocblas_complex_numIfEPKPKS1_PS1_EviT6_lT7_lT5_lS8_lS9_lS7_lT8_i.num_named_barrier, 0
	.set _ZL26rocblas_hemvn_kernel_lowerILb1ELi64ELi4ELi33ELi32ELi16El19rocblas_complex_numIfEPKPKS1_PS1_EviT6_lT7_lT5_lS8_lS9_lS7_lT8_i.private_seg_size, 0
	.set _ZL26rocblas_hemvn_kernel_lowerILb1ELi64ELi4ELi33ELi32ELi16El19rocblas_complex_numIfEPKPKS1_PS1_EviT6_lT7_lT5_lS8_lS9_lS7_lT8_i.uses_vcc, 1
	.set _ZL26rocblas_hemvn_kernel_lowerILb1ELi64ELi4ELi33ELi32ELi16El19rocblas_complex_numIfEPKPKS1_PS1_EviT6_lT7_lT5_lS8_lS9_lS7_lT8_i.uses_flat_scratch, 1
	.set _ZL26rocblas_hemvn_kernel_lowerILb1ELi64ELi4ELi33ELi32ELi16El19rocblas_complex_numIfEPKPKS1_PS1_EviT6_lT7_lT5_lS8_lS9_lS7_lT8_i.has_dyn_sized_stack, 0
	.set _ZL26rocblas_hemvn_kernel_lowerILb1ELi64ELi4ELi33ELi32ELi16El19rocblas_complex_numIfEPKPKS1_PS1_EviT6_lT7_lT5_lS8_lS9_lS7_lT8_i.has_recursion, 0
	.set _ZL26rocblas_hemvn_kernel_lowerILb1ELi64ELi4ELi33ELi32ELi16El19rocblas_complex_numIfEPKPKS1_PS1_EviT6_lT7_lT5_lS8_lS9_lS7_lT8_i.has_indirect_call, 0
	.section	.AMDGPU.csdata,"",@progbits
; Kernel info:
; codeLenInByte = 7676
; TotalNumSgprs: 107
; NumVgprs: 145
; ScratchSize: 0
; MemoryBound: 1
; FloatMode: 240
; IeeeMode: 1
; LDSByteSize: 9600 bytes/workgroup (compile time only)
; SGPRBlocks: 0
; VGPRBlocks: 9
; NumSGPRsForWavesPerEU: 107
; NumVGPRsForWavesPerEU: 145
; NamedBarCnt: 0
; Occupancy: 6
; WaveLimiterHint : 1
; COMPUTE_PGM_RSRC2:SCRATCH_EN: 0
; COMPUTE_PGM_RSRC2:USER_SGPR: 2
; COMPUTE_PGM_RSRC2:TRAP_HANDLER: 0
; COMPUTE_PGM_RSRC2:TGID_X_EN: 1
; COMPUTE_PGM_RSRC2:TGID_Y_EN: 0
; COMPUTE_PGM_RSRC2:TGID_Z_EN: 1
; COMPUTE_PGM_RSRC2:TIDIG_COMP_CNT: 1
	.section	.text._ZL36rocblas_hemvn_kernel_lower_block_sumILi64El19rocblas_complex_numIfEPKPS1_S1_EviT1_lS5_lT2_lT0_lPT3_i,"axG",@progbits,_ZL36rocblas_hemvn_kernel_lower_block_sumILi64El19rocblas_complex_numIfEPKPS1_S1_EviT1_lS5_lT2_lT0_lPT3_i,comdat
	.globl	_ZL36rocblas_hemvn_kernel_lower_block_sumILi64El19rocblas_complex_numIfEPKPS1_S1_EviT1_lS5_lT2_lT0_lPT3_i ; -- Begin function _ZL36rocblas_hemvn_kernel_lower_block_sumILi64El19rocblas_complex_numIfEPKPS1_S1_EviT1_lS5_lT2_lT0_lPT3_i
	.p2align	8
	.type	_ZL36rocblas_hemvn_kernel_lower_block_sumILi64El19rocblas_complex_numIfEPKPS1_S1_EviT1_lS5_lT2_lT0_lPT3_i,@function
_ZL36rocblas_hemvn_kernel_lower_block_sumILi64El19rocblas_complex_numIfEPKPS1_S1_EviT1_lS5_lT2_lT0_lPT3_i: ; @_ZL36rocblas_hemvn_kernel_lower_block_sumILi64El19rocblas_complex_numIfEPKPS1_S1_EviT1_lS5_lT2_lT0_lPT3_i
; %bb.0:
	s_load_b32 s24, s[0:1], 0x50
	s_bfe_u32 s2, ttmp6, 0x40014
	s_lshr_b32 s3, ttmp7, 16
	s_add_co_i32 s2, s2, 1
	s_bfe_u32 s4, ttmp6, 0x40008
	s_mul_i32 s2, s3, s2
	s_getreg_b32 s12, hwreg(HW_REG_IB_STS2, 6, 4)
	s_add_co_i32 s4, s4, s2
	s_cmp_eq_u32 s12, 0
	s_cselect_b32 s2, s3, s4
	s_mov_b32 s3, 0
	s_wait_kmcnt 0x0
	s_cmp_ge_u32 s2, s24
	s_cbranch_scc1 .LBB45_21
; %bb.1:
	s_clause 0x3
	s_load_b64 s[8:9], s[0:1], 0x4
	s_load_b64 s[10:11], s[0:1], 0x18
	s_load_b32 s18, s[0:1], 0x0
	s_load_b64 s[20:21], s[0:1], 0x48
	s_wait_kmcnt 0x0
	s_or_b32 s4, s8, s9
	s_delay_alu instid0(SALU_CYCLE_1) | instskip(NEXT) | instid1(SALU_CYCLE_1)
	s_bitset0_b32 s4, 31
	s_cmp_eq_u32 s4, 0
	s_cselect_b32 s25, -1, 0
	s_cmp_lg_u32 s4, 0
	s_load_b128 s[4:7], s[0:1], 0x30
	s_cselect_b32 s17, -1, 0
	s_cmp_neq_f32 s10, 1.0
	s_cselect_b32 s14, -1, 0
	s_cmp_neq_f32 s11, 0
	s_cselect_b32 s15, -1, 0
	s_bfe_u32 s13, ttmp6, 0x4000c
	s_and_b32 s16, ttmp6, 15
	s_add_co_i32 s13, s13, 1
	s_delay_alu instid0(SALU_CYCLE_1) | instskip(NEXT) | instid1(SALU_CYCLE_1)
	s_mul_i32 s13, ttmp9, s13
	s_add_co_i32 s16, s16, s13
	s_cmp_eq_u32 s12, 0
	s_add_nc_u64 s[12:13], s[0:1], 0x58
	s_cselect_b32 s26, ttmp9, s16
	s_cmp_neq_f32 s10, 0
	v_lshl_or_b32 v2, s26, 6, v0
	s_mov_b32 s16, s11
	s_delay_alu instid0(VALU_DEP_1) | instskip(SKIP_1) | instid1(VALU_DEP_1)
	v_ashrrev_i32_e32 v3, 31, v2
	s_wait_kmcnt 0x0
	v_mul_u64_e32 v[0:1], s[6:7], v[2:3]
	s_load_b64 s[6:7], s[0:1], 0x28
	v_mad_u32 v4, s18, s26, v2
	s_wait_xcnt 0x0
	s_cselect_b32 s1, -1, 0
	v_cmp_gt_i32_e64 s0, s18, v2
	s_or_b32 s1, s1, s15
	s_ashr_i32 s19, s18, 31
	v_cndmask_b32_e64 v10, 0, 1, s1
	s_or_b32 s22, s14, s15
	s_xor_b32 s1, s1, -1
	s_mov_b32 s14, s9
	s_mov_b32 s15, s8
	s_or_b32 s27, s22, s17
	v_ashrrev_i32_e32 v5, 31, v4
	s_mov_b32 s17, s10
	s_lshl_b64 s[18:19], s[18:19], 3
	s_lshl_b64 s[4:5], s[4:5], 3
	s_delay_alu instid0(VALU_DEP_1)
	v_lshl_add_u64 v[2:3], v[4:5], 3, s[20:21]
	s_branch .LBB45_5
.LBB45_2:                               ;   in Loop: Header=BB45_5 Depth=1
	flat_store_b64 v[6:7], v[8:9]
.LBB45_3:                               ;   in Loop: Header=BB45_5 Depth=1
	s_wait_xcnt 0x0
	s_or_b32 exec_lo, exec_lo, s28
.LBB45_4:                               ;   in Loop: Header=BB45_5 Depth=1
	s_add_co_i32 s2, s2, 0x10000
	s_delay_alu instid0(SALU_CYCLE_1)
	s_cmp_lt_u32 s2, s24
	s_cbranch_scc0 .LBB45_21
.LBB45_5:                               ; =>This Loop Header: Depth=1
                                        ;     Child Loop BB45_16 Depth 2
	s_and_not1_b32 vcc_lo, exec_lo, s27
	s_cbranch_vccnz .LBB45_4
; %bb.6:                                ;   in Loop: Header=BB45_5 Depth=1
	s_lshl_b64 s[20:21], s[2:3], 3
	s_and_not1_b32 vcc_lo, exec_lo, s25
	s_wait_kmcnt 0x0
	s_add_nc_u64 s[20:21], s[6:7], s[20:21]
	s_mov_b32 s22, -1
	s_load_b64 s[20:21], s[20:21], 0x0
	s_wait_kmcnt 0x0
	s_wait_xcnt 0x0
	s_add_nc_u64 s[20:21], s[20:21], s[4:5]
	s_cbranch_vccnz .LBB45_12
; %bb.7:                                ;   in Loop: Header=BB45_5 Depth=1
	s_and_saveexec_b32 s22, s0
	s_cbranch_execz .LBB45_11
; %bb.8:                                ;   in Loop: Header=BB45_5 Depth=1
	v_cmp_ne_u32_e32 vcc_lo, 1, v10
	v_dual_mov_b32 v4, 0 :: v_dual_mov_b32 v5, 0
	s_cbranch_vccnz .LBB45_10
; %bb.9:                                ;   in Loop: Header=BB45_5 Depth=1
	v_lshl_add_u64 v[4:5], v[0:1], 3, s[20:21]
	v_mov_b64_e32 v[6:7], s[16:17]
	v_mov_b64_e32 v[8:9], s[10:11]
	flat_load_b64 v[4:5], v[4:5]
	s_wait_loadcnt_dscnt 0x0
	v_pk_mul_f32 v[6:7], v[4:5], v[6:7] op_sel:[1,0]
	s_delay_alu instid0(VALU_DEP_1) | instskip(SKIP_2) | instid1(VALU_DEP_2)
	v_pk_fma_f32 v[12:13], v[4:5], v[8:9], v[6:7] op_sel_hi:[0,1,1]
	s_wait_xcnt 0x0
	v_pk_fma_f32 v[4:5], v[4:5], v[8:9], v[6:7] neg_lo:[0,0,1] neg_hi:[0,0,1]
	v_mov_b32_e32 v5, v13
.LBB45_10:                              ;   in Loop: Header=BB45_5 Depth=1
	v_lshl_add_u64 v[6:7], v[0:1], 3, s[20:21]
	flat_store_b64 v[6:7], v[4:5]
.LBB45_11:                              ;   in Loop: Header=BB45_5 Depth=1
	s_wait_xcnt 0x0
	s_or_b32 exec_lo, exec_lo, s22
	s_mov_b32 s22, 0
.LBB45_12:                              ;   in Loop: Header=BB45_5 Depth=1
	s_delay_alu instid0(SALU_CYCLE_1)
	s_and_not1_b32 vcc_lo, exec_lo, s22
	s_cbranch_vccnz .LBB45_4
; %bb.13:                               ;   in Loop: Header=BB45_5 Depth=1
	s_and_saveexec_b32 s28, s0
	s_cbranch_execz .LBB45_3
; %bb.14:                               ;   in Loop: Header=BB45_5 Depth=1
	s_load_b32 s22, s[12:13], 0x0
	v_mov_b32_e32 v5, 0
	s_delay_alu instid0(VALU_DEP_1)
	v_mov_b32_e32 v4, v5
	s_wait_kmcnt 0x0
	s_cmp_ge_i32 s26, s22
	s_cbranch_scc1 .LBB45_17
; %bb.15:                               ;   in Loop: Header=BB45_5 Depth=1
	s_mov_b32 s23, s3
	v_mov_b32_e32 v4, 0
	s_mul_u64 s[30:31], s[18:19], s[22:23]
	s_mov_b32 s23, s26
	v_mad_nc_u64_u32 v[6:7], s30, s2, v[2:3]
	s_delay_alu instid0(VALU_DEP_2) | instskip(NEXT) | instid1(VALU_DEP_2)
	v_mov_b32_e32 v5, v4
	v_mad_u32 v7, s31, s2, v7
.LBB45_16:                              ;   Parent Loop BB45_5 Depth=1
                                        ; =>  This Inner Loop Header: Depth=2
	global_load_b64 v[8:9], v[6:7], off
	s_wait_xcnt 0x0
	v_add_nc_u64_e32 v[6:7], s[18:19], v[6:7]
	s_add_co_i32 s23, s23, 1
	s_delay_alu instid0(SALU_CYCLE_1)
	s_cmp_ge_i32 s23, s22
	s_wait_loadcnt 0x0
	v_pk_add_f32 v[4:5], v[4:5], v[8:9]
	s_cbranch_scc0 .LBB45_16
.LBB45_17:                              ;   in Loop: Header=BB45_5 Depth=1
	s_and_b32 vcc_lo, exec_lo, s1
	s_mov_b32 s22, -1
                                        ; implicit-def: $vgpr9
	s_cbranch_vccz .LBB45_19
; %bb.18:                               ;   in Loop: Header=BB45_5 Depth=1
	v_mov_b64_e32 v[6:7], s[14:15]
	v_mov_b64_e32 v[8:9], s[8:9]
	s_mov_b32 s22, 0
	s_delay_alu instid0(VALU_DEP_2) | instskip(NEXT) | instid1(VALU_DEP_2)
	v_pk_mul_f32 v[6:7], v[4:5], v[6:7] op_sel:[1,0]
	v_pk_mul_f32 v[12:13], v[4:5], v[8:9] op_sel_hi:[0,1]
	s_delay_alu instid0(VALU_DEP_2) | instskip(NEXT) | instid1(VALU_DEP_2)
	v_pk_fma_f32 v[8:9], v[4:5], v[8:9], v[6:7] op_sel_hi:[0,1,1]
	v_sub_f32_e32 v8, v12, v6
.LBB45_19:                              ;   in Loop: Header=BB45_5 Depth=1
	v_lshl_add_u64 v[6:7], v[0:1], 3, s[20:21]
	s_and_not1_b32 vcc_lo, exec_lo, s22
	s_cbranch_vccnz .LBB45_2
; %bb.20:                               ;   in Loop: Header=BB45_5 Depth=1
	flat_load_b64 v[8:9], v[6:7]
	v_mov_b64_e32 v[12:13], s[16:17]
	v_mov_b64_e32 v[14:15], s[14:15]
	;; [unrolled: 1-line block ×4, first 2 shown]
	s_delay_alu instid0(VALU_DEP_3) | instskip(NEXT) | instid1(VALU_DEP_1)
	v_pk_mul_f32 v[14:15], v[4:5], v[14:15] op_sel:[1,0]
	v_pk_fma_f32 v[22:23], v[4:5], v[18:19], v[14:15] op_sel_hi:[0,1,1]
	v_pk_fma_f32 v[4:5], v[4:5], v[18:19], v[14:15] neg_lo:[0,0,1] neg_hi:[0,0,1]
	s_delay_alu instid0(VALU_DEP_2) | instskip(SKIP_2) | instid1(VALU_DEP_1)
	v_mov_b32_e32 v5, v23
	s_wait_loadcnt_dscnt 0x0
	v_pk_mul_f32 v[12:13], v[8:9], v[12:13] op_sel:[1,0]
	v_pk_fma_f32 v[20:21], v[8:9], v[16:17], v[12:13] op_sel_hi:[0,1,1]
	v_pk_fma_f32 v[8:9], v[8:9], v[16:17], v[12:13] neg_lo:[0,0,1] neg_hi:[0,0,1]
	s_delay_alu instid0(VALU_DEP_2) | instskip(NEXT) | instid1(VALU_DEP_1)
	v_mov_b32_e32 v9, v21
	v_pk_add_f32 v[8:9], v[4:5], v[8:9]
	s_branch .LBB45_2
.LBB45_21:
	s_endpgm
	.section	.rodata,"a",@progbits
	.p2align	6, 0x0
	.amdhsa_kernel _ZL36rocblas_hemvn_kernel_lower_block_sumILi64El19rocblas_complex_numIfEPKPS1_S1_EviT1_lS5_lT2_lT0_lPT3_i
		.amdhsa_group_segment_fixed_size 0
		.amdhsa_private_segment_fixed_size 0
		.amdhsa_kernarg_size 344
		.amdhsa_user_sgpr_count 2
		.amdhsa_user_sgpr_dispatch_ptr 0
		.amdhsa_user_sgpr_queue_ptr 0
		.amdhsa_user_sgpr_kernarg_segment_ptr 1
		.amdhsa_user_sgpr_dispatch_id 0
		.amdhsa_user_sgpr_kernarg_preload_length 0
		.amdhsa_user_sgpr_kernarg_preload_offset 0
		.amdhsa_user_sgpr_private_segment_size 0
		.amdhsa_wavefront_size32 1
		.amdhsa_uses_dynamic_stack 0
		.amdhsa_enable_private_segment 0
		.amdhsa_system_sgpr_workgroup_id_x 1
		.amdhsa_system_sgpr_workgroup_id_y 0
		.amdhsa_system_sgpr_workgroup_id_z 1
		.amdhsa_system_sgpr_workgroup_info 0
		.amdhsa_system_vgpr_workitem_id 0
		.amdhsa_next_free_vgpr 24
		.amdhsa_next_free_sgpr 32
		.amdhsa_named_barrier_count 0
		.amdhsa_reserve_vcc 1
		.amdhsa_float_round_mode_32 0
		.amdhsa_float_round_mode_16_64 0
		.amdhsa_float_denorm_mode_32 3
		.amdhsa_float_denorm_mode_16_64 3
		.amdhsa_fp16_overflow 0
		.amdhsa_memory_ordered 1
		.amdhsa_forward_progress 1
		.amdhsa_inst_pref_size 7
		.amdhsa_round_robin_scheduling 0
		.amdhsa_exception_fp_ieee_invalid_op 0
		.amdhsa_exception_fp_denorm_src 0
		.amdhsa_exception_fp_ieee_div_zero 0
		.amdhsa_exception_fp_ieee_overflow 0
		.amdhsa_exception_fp_ieee_underflow 0
		.amdhsa_exception_fp_ieee_inexact 0
		.amdhsa_exception_int_div_zero 0
	.end_amdhsa_kernel
	.section	.text._ZL36rocblas_hemvn_kernel_lower_block_sumILi64El19rocblas_complex_numIfEPKPS1_S1_EviT1_lS5_lT2_lT0_lPT3_i,"axG",@progbits,_ZL36rocblas_hemvn_kernel_lower_block_sumILi64El19rocblas_complex_numIfEPKPS1_S1_EviT1_lS5_lT2_lT0_lPT3_i,comdat
.Lfunc_end45:
	.size	_ZL36rocblas_hemvn_kernel_lower_block_sumILi64El19rocblas_complex_numIfEPKPS1_S1_EviT1_lS5_lT2_lT0_lPT3_i, .Lfunc_end45-_ZL36rocblas_hemvn_kernel_lower_block_sumILi64El19rocblas_complex_numIfEPKPS1_S1_EviT1_lS5_lT2_lT0_lPT3_i
                                        ; -- End function
	.set _ZL36rocblas_hemvn_kernel_lower_block_sumILi64El19rocblas_complex_numIfEPKPS1_S1_EviT1_lS5_lT2_lT0_lPT3_i.num_vgpr, 24
	.set _ZL36rocblas_hemvn_kernel_lower_block_sumILi64El19rocblas_complex_numIfEPKPS1_S1_EviT1_lS5_lT2_lT0_lPT3_i.num_agpr, 0
	.set _ZL36rocblas_hemvn_kernel_lower_block_sumILi64El19rocblas_complex_numIfEPKPS1_S1_EviT1_lS5_lT2_lT0_lPT3_i.numbered_sgpr, 32
	.set _ZL36rocblas_hemvn_kernel_lower_block_sumILi64El19rocblas_complex_numIfEPKPS1_S1_EviT1_lS5_lT2_lT0_lPT3_i.num_named_barrier, 0
	.set _ZL36rocblas_hemvn_kernel_lower_block_sumILi64El19rocblas_complex_numIfEPKPS1_S1_EviT1_lS5_lT2_lT0_lPT3_i.private_seg_size, 0
	.set _ZL36rocblas_hemvn_kernel_lower_block_sumILi64El19rocblas_complex_numIfEPKPS1_S1_EviT1_lS5_lT2_lT0_lPT3_i.uses_vcc, 1
	.set _ZL36rocblas_hemvn_kernel_lower_block_sumILi64El19rocblas_complex_numIfEPKPS1_S1_EviT1_lS5_lT2_lT0_lPT3_i.uses_flat_scratch, 0
	.set _ZL36rocblas_hemvn_kernel_lower_block_sumILi64El19rocblas_complex_numIfEPKPS1_S1_EviT1_lS5_lT2_lT0_lPT3_i.has_dyn_sized_stack, 0
	.set _ZL36rocblas_hemvn_kernel_lower_block_sumILi64El19rocblas_complex_numIfEPKPS1_S1_EviT1_lS5_lT2_lT0_lPT3_i.has_recursion, 0
	.set _ZL36rocblas_hemvn_kernel_lower_block_sumILi64El19rocblas_complex_numIfEPKPS1_S1_EviT1_lS5_lT2_lT0_lPT3_i.has_indirect_call, 0
	.section	.AMDGPU.csdata,"",@progbits
; Kernel info:
; codeLenInByte = 884
; TotalNumSgprs: 34
; NumVgprs: 24
; ScratchSize: 0
; MemoryBound: 0
; FloatMode: 240
; IeeeMode: 1
; LDSByteSize: 0 bytes/workgroup (compile time only)
; SGPRBlocks: 0
; VGPRBlocks: 1
; NumSGPRsForWavesPerEU: 34
; NumVGPRsForWavesPerEU: 24
; NamedBarCnt: 0
; Occupancy: 16
; WaveLimiterHint : 1
; COMPUTE_PGM_RSRC2:SCRATCH_EN: 0
; COMPUTE_PGM_RSRC2:USER_SGPR: 2
; COMPUTE_PGM_RSRC2:TRAP_HANDLER: 0
; COMPUTE_PGM_RSRC2:TGID_X_EN: 1
; COMPUTE_PGM_RSRC2:TGID_Y_EN: 0
; COMPUTE_PGM_RSRC2:TGID_Z_EN: 1
; COMPUTE_PGM_RSRC2:TIDIG_COMP_CNT: 0
	.section	.text._ZL26rocblas_hemvn_kernel_lowerILb1ELi64ELi4ELi33ELi32ELi16Ei19rocblas_complex_numIfEPKPKS1_PS1_EviT6_lT7_lT5_lS8_lS9_lS7_lT8_i,"axG",@progbits,_ZL26rocblas_hemvn_kernel_lowerILb1ELi64ELi4ELi33ELi32ELi16Ei19rocblas_complex_numIfEPKPKS1_PS1_EviT6_lT7_lT5_lS8_lS9_lS7_lT8_i,comdat
	.globl	_ZL26rocblas_hemvn_kernel_lowerILb1ELi64ELi4ELi33ELi32ELi16Ei19rocblas_complex_numIfEPKPKS1_PS1_EviT6_lT7_lT5_lS8_lS9_lS7_lT8_i ; -- Begin function _ZL26rocblas_hemvn_kernel_lowerILb1ELi64ELi4ELi33ELi32ELi16Ei19rocblas_complex_numIfEPKPKS1_PS1_EviT6_lT7_lT5_lS8_lS9_lS7_lT8_i
	.p2align	8
	.type	_ZL26rocblas_hemvn_kernel_lowerILb1ELi64ELi4ELi33ELi32ELi16Ei19rocblas_complex_numIfEPKPKS1_PS1_EviT6_lT7_lT5_lS8_lS9_lS7_lT8_i,@function
_ZL26rocblas_hemvn_kernel_lowerILb1ELi64ELi4ELi33ELi32ELi16Ei19rocblas_complex_numIfEPKPKS1_PS1_EviT6_lT7_lT5_lS8_lS9_lS7_lT8_i: ; @_ZL26rocblas_hemvn_kernel_lowerILb1ELi64ELi4ELi33ELi32ELi16Ei19rocblas_complex_numIfEPKPKS1_PS1_EviT6_lT7_lT5_lS8_lS9_lS7_lT8_i
; %bb.0:
	s_clause 0x1
	s_load_b64 s[2:3], s[0:1], 0x84
	s_load_b32 s23, s[0:1], 0x70
	s_bfe_u32 s4, ttmp6, 0x40014
	s_lshr_b32 s5, ttmp7, 16
	s_add_co_i32 s4, s4, 1
	s_bfe_u32 s6, ttmp6, 0x40008
	s_mul_i32 s7, s5, s4
	s_getreg_b32 s4, hwreg(HW_REG_IB_STS2, 6, 4)
	s_add_co_i32 s6, s6, s7
	s_mov_b32 s35, 0
	s_wait_kmcnt 0x0
	s_lshr_b32 s7, s2, 16
	s_and_b32 s2, s2, 0xffff
	s_and_b32 s3, s3, 0xffff
	s_mul_i32 s2, s7, s2
	s_cmp_eq_u32 s4, 0
	s_mul_i32 s2, s2, s3
	s_cselect_b32 s34, s5, s6
	s_cmp_lg_u32 s2, 0x100
	s_cselect_b32 s2, -1, 0
	s_cmp_ge_u32 s34, s23
	s_cselect_b32 s3, -1, 0
	s_delay_alu instid0(SALU_CYCLE_1) | instskip(NEXT) | instid1(SALU_CYCLE_1)
	s_or_b32 s2, s2, s3
	s_and_b32 vcc_lo, exec_lo, s2
	s_cbranch_vccnz .LBB46_114
; %bb.1:
	s_clause 0x5
	s_load_b32 s2, s[0:1], 0x0
	s_load_b32 s90, s[0:1], 0x28
	s_load_b64 s[6:7], s[0:1], 0x4
	s_load_b128 s[24:27], s[0:1], 0x18
	s_load_b64 s[8:9], s[0:1], 0x68
	s_load_b64 s[10:11], s[0:1], 0x58
	s_bfe_u32 s3, ttmp6, 0x4000c
	s_and_b32 s5, ttmp6, 15
	s_add_co_i32 s3, s3, 1
	s_add_nc_u64 s[12:13], s[0:1], 0x78
	s_mul_i32 s3, ttmp9, s3
	s_clause 0x1
	s_load_b128 s[28:31], s[0:1], 0x38
	s_load_b32 s17, s[0:1], 0x48
	s_add_co_i32 s5, s5, s3
	v_and_b32_e32 v32, 0x3ff, v0
	v_bfe_u32 v1, v0, 10, 10
	v_mov_b32_e32 v35, 0
                                        ; implicit-def: $vgpr140 : SGPR spill to VGPR lane
	v_mov_b64_e32 v[50:51], 0
	s_mov_b64 s[94:95], 0xfffffffffffffef8
	s_delay_alu instid0(VALU_DEP_3)
	v_lshl_add_u32 v2, v1, 6, v32
	v_and_b32_e32 v34, 31, v0
	s_wait_kmcnt 0x0
	s_ashr_i32 s3, s2, 31
	s_ashr_i32 s91, s90, 31
	s_cmp_eq_u32 s4, 0
	s_load_b32 s4, s[12:13], 0x0
	s_cselect_b32 s33, ttmp9, s5
	s_or_b32 s0, s6, s7
	v_lshrrev_b32_e32 v3, 5, v2
	s_bitset0_b32 s0, 31
	v_lshlrev_b32_e32 v4, 3, v34
	s_cmp_eq_u32 s0, 0
	v_and_b32_e32 v11, 0x7fe0, v2
	s_cselect_b32 s102, -1, 0
	s_cmp_lg_u32 s0, 0
	v_dual_add_nc_u32 v8, 24, v3 :: v_dual_lshlrev_b32 v9, 2, v3
	s_cselect_b32 s18, -1, 0
	s_cmp_neq_f32 s10, 1.0
	v_lshl_or_b32 v10, v34, 8, v4
	v_dual_add_nc_u32 v6, 8, v3 :: v_dual_add_nc_u32 v7, 16, v3
	s_cselect_b32 s19, -1, 0
	s_cmp_neq_f32 s11, 0
	s_delay_alu instid0(VALU_DEP_2)
	v_dual_add_nc_u32 v93, v10, v11 :: v_dual_bitop2_b32 v12, 1, v9 bitop3:0x54
	v_mul_u32_u24_e32 v14, 33, v34
	s_cselect_b32 s58, -1, 0
	s_lshr_b32 s1, s3, 26
	s_wait_kmcnt 0x0
	s_add_co_i32 s6, s4, -1
	s_add_co_i32 s1, s2, s1
	s_lshl_b32 s92, s33, 6
	s_and_not1_b32 s1, s1, 63
	v_dual_lshlrev_b32 v96, 3, v14 :: v_dual_bitop2_b32 v10, 2, v9 bitop3:0x54
	s_sub_co_i32 s1, s2, s1
	s_cmp_eq_u32 s33, s6
	s_mul_i32 s6, s2, s33
	s_cselect_b32 s36, s1, 0
	v_cmp_ge_u32_e64 s11, v10, v34
	s_cmp_eq_u32 s36, 0
	v_cmp_eq_u32_e64 s12, v10, v34
	s_cselect_b32 s103, -1, 0
	s_cmp_lg_u32 s36, 0
	v_lshlrev_b32_e32 v10, 3, v3
	s_cselect_b32 s1, -1, 0
	s_sub_co_i32 s20, s36, 32
	s_ashr_i32 s7, s6, 31
	v_cmp_gt_i32_e64 s21, s20, v3
	s_lshl_b64 s[6:7], s[6:7], 3
	s_mov_b32 s5, s35
	s_add_nc_u64 s[40:41], s[8:9], s[6:7]
	v_cmp_ge_u32_e64 s7, v9, v34
	v_cmp_eq_u32_e64 s8, v9, v34
	v_or_b32_e32 v9, 3, v9
	v_writelane_b32 v140, s21, 0
	v_cmp_gt_i32_e64 s21, s20, v6
	v_dual_lshlrev_b32 v90, 3, v32 :: v_dual_add_nc_u32 v36, s92, v32
	s_mul_u64 s[38:39], s[4:5], s[2:3]
	v_cmp_gt_i32_e64 s4, s36, v6
	v_mul_lo_u32 v6, v1, s90
	v_dual_add_nc_u32 v97, 24, v93 :: v_dual_add_nc_u32 v99, v96, v10
	v_writelane_b32 v140, s21, 1
	v_cmp_gt_i32_e64 s21, s20, v7
	v_mul_lo_u32 v38, s17, v36
	v_mad_u32 v40, s90, v3, v34
	v_mul_u32_u24_e32 v5, 0x108, v3
	v_cmp_gt_i32_e64 s3, s36, v3
	v_cmp_gt_i32_e64 s5, s36, v7
	v_mul_u32_u24_e32 v13, 0x420, v3
	v_writelane_b32 v140, s21, 2
	v_cmp_eq_u32_e64 s21, 1, v3
	v_mul_i32_i24_e32 v7, 0xffffffe8, v3
	v_mad_u32_u24 v100, v3, 24, v99
	v_lshrrev_b32_e32 v3, 4, v2
	v_cmp_gt_i32_e64 s6, s36, v8
	v_cmp_ge_u32_e64 s13, v9, v34
	v_cmp_eq_u32_e64 s14, v9, v34
	v_cmp_gt_i32_e64 s20, s20, v8
	v_lshl_add_u32 v44, v6, 2, v32
	v_or_b32_e32 v9, 32, v34
	v_and_b32_e32 v6, 15, v0
	v_dual_lshlrev_b32 v8, 5, v3 :: v_dual_bitop2_b32 v0, 48, v0 bitop3:0x40
	v_cmp_le_i32_e32 vcc_lo, s36, v32
	v_dual_ashrrev_i32 v39, 31, v38 :: v_dual_ashrrev_i32 v41, 31, v40
	v_dual_mov_b32 v33, v35 :: v_dual_add_nc_u32 v98, 0x2380, v11
	v_cmp_ge_u32_e64 s9, v12, v34
	v_cmp_eq_u32_e64 s10, v12, v34
	v_mul_u32_u24_e32 v12, 0x108, v12
	v_ashrrev_i32_e32 v45, 31, v44
	v_cmp_gt_i32_e64 s16, s36, v9
	v_dual_lshlrev_b32 v0, 3, v0 :: v_dual_add_nc_u32 v108, v4, v5
	v_or_b32_e32 v9, 0x78, v90
	v_mad_u32_u24 v103, 0x218, v6, v8
	v_mul_i32_i24_e32 v3, 0xffffffe8, v3
	s_and_b32 s1, s1, vcc_lo
	s_mul_i32 s42, s90, s92
	s_lshl_b32 s44, s90, 3
	s_lshl_b32 s46, s90, 4
	s_mul_i32 s48, s90, 24
	s_lshl_b32 s50, s90, 5
	s_mul_i32 s54, s17, s92
	v_cmp_eq_u32_e64 s0, 0, v1
	s_ashr_i32 s93, s92, 31
	s_ashr_i32 s43, s42, 31
	;; [unrolled: 1-line block ×5, first 2 shown]
	v_sub_nc_u64_e32 v[42:43], 0, v[34:35]
	s_ashr_i32 s37, s36, 31
	s_ashr_i32 s51, s50, 31
	s_xor_b32 s59, s1, -1
	s_ashr_i32 s55, s54, 31
	v_sub_nc_u64_e32 v[46:47], 0, v[40:41]
	v_sub_nc_u64_e32 v[48:49], 0, v[32:33]
	s_cmp_gt_i32 s33, 0
	v_add_nc_u32_e32 v91, 0x2380, v90
	v_cmp_gt_i32_e64 s2, s36, v34
	v_mad_u32_u24 v92, 0x108, v34, v4
	v_dual_add_nc_u32 v94, 8, v93 :: v_dual_add_nc_u32 v95, 16, v93
	v_cmp_gt_u32_e64 s15, 32, v2
	v_add_nc_u32_e32 v33, 0x2180, v90
	v_lshl_add_u32 v101, v1, 5, 0x2180
	v_mad_u32_u24 v102, 0x860, v1, v90
	v_cmp_gt_u32_e64 s22, 64, v2
	v_mad_u32_u24 v104, 0x218, v6, v0
	v_mad_u32_u24 v105, 0x218, v6, v9
	;; [unrolled: 1-line block ×3, first 2 shown]
	v_dual_ashrrev_i32 v37, 31, v36 :: v_dual_add_nc_u32 v109, v4, v13
	v_add_nc_u32_e32 v107, 0x2380, v10
	v_dual_add_nc_u32 v110, v4, v12 :: v_dual_add_nc_u32 v111, v98, v7
	v_dual_add_nc_u32 v112, v103, v3 :: v_dual_lshlrev_b32 v34, 3, v34
	s_cselect_b32 s104, -1, 0
	s_or_b32 s19, s19, s58
	s_sub_nc_u64 s[52:53], 0, s[50:51]
	s_sub_nc_u64 s[54:55], 0, s[54:55]
	;; [unrolled: 1-line block ×3, first 2 shown]
	s_lshl_b32 vcc_hi, s17, 6
	s_and_b32 s17, s0, s59
	s_lshl_b64 s[58:59], s[90:91], 6
	s_lshl_b64 s[60:61], s[90:91], 3
	;; [unrolled: 1-line block ×4, first 2 shown]
	s_mul_u64 s[66:67], s[90:91], 24
	s_mul_u64 s[68:69], s[90:91], 0x90
	;; [unrolled: 1-line block ×10, first 2 shown]
	s_lshl_b64 s[86:87], s[90:91], 8
	s_mul_u64 s[88:89], s[90:91], 0x88
	s_lshl_b64 s[90:91], s[90:91], 7
	s_or_b32 s18, s19, s18
	s_lshl_b64 s[92:93], s[92:93], 3
	s_sub_nc_u64 s[96:97], 0, s[36:37]
	s_lshl_b64 s[30:31], s[30:31], 3
	s_lshl_b64 s[26:27], s[26:27], 3
	s_branch .LBB46_4
.LBB46_2:                               ;   in Loop: Header=BB46_4 Depth=1
	s_wait_xcnt 0x0
	s_or_b32 exec_lo, exec_lo, s100
.LBB46_3:                               ;   in Loop: Header=BB46_4 Depth=1
	s_add_co_i32 s34, s34, 0x10000
	s_delay_alu instid0(SALU_CYCLE_1)
	s_cmp_lt_u32 s34, s23
	s_cbranch_scc0 .LBB46_114
.LBB46_4:                               ; =>This Loop Header: Depth=1
                                        ;     Child Loop BB46_108 Depth 2
	s_and_not1_b32 vcc_lo, exec_lo, s18
	s_cbranch_vccnz .LBB46_3
; %bb.5:                                ;   in Loop: Header=BB46_4 Depth=1
	s_and_b32 vcc_lo, exec_lo, s102
	s_mov_b32 s19, -1
	s_cbranch_vccz .LBB46_7
; %bb.6:                                ;   in Loop: Header=BB46_4 Depth=1
	s_mov_b32 s19, 0
.LBB46_7:                               ;   in Loop: Header=BB46_4 Depth=1
	s_delay_alu instid0(SALU_CYCLE_1)
	s_and_not1_b32 vcc_lo, exec_lo, s19
	s_cbranch_vccnz .LBB46_3
; %bb.8:                                ;   in Loop: Header=BB46_4 Depth=1
	v_mov_b32_e32 v0, s34
	s_clause 0x1
	global_load_b64 v[2:3], v0, s[28:29] scale_offset
	global_load_b64 v[0:1], v0, s[24:25] scale_offset
	s_wait_loadcnt 0x1
	v_add_nc_u64_e32 v[2:3], s[30:31], v[2:3]
	s_delay_alu instid0(VALU_DEP_1)
	v_lshl_add_u64 v[16:17], v[38:39], 3, v[2:3]
	s_wait_xcnt 0x0
	s_and_saveexec_b32 s98, s0
	s_cbranch_execz .LBB46_13
; %bb.9:                                ;   in Loop: Header=BB46_4 Depth=1
	s_and_saveexec_b32 s19, s1
	s_delay_alu instid0(SALU_CYCLE_1)
	s_xor_b32 s19, exec_lo, s19
; %bb.10:                               ;   in Loop: Header=BB46_4 Depth=1
	ds_store_b64 v91, v[50:51]
; %bb.11:                               ;   in Loop: Header=BB46_4 Depth=1
	s_and_not1_saveexec_b32 s19, s19
	s_cbranch_execz .LBB46_13
; %bb.12:                               ;   in Loop: Header=BB46_4 Depth=1
	flat_load_b64 v[2:3], v[16:17]
	s_wait_loadcnt_dscnt 0x0
	ds_store_b64 v91, v[2:3]
.LBB46_13:                              ;   in Loop: Header=BB46_4 Depth=1
	s_wait_xcnt 0x0
	s_or_b32 exec_lo, exec_lo, s98
	s_wait_loadcnt 0x0
	v_add_nc_u64_e32 v[0:1], s[26:27], v[0:1]
	s_and_not1_b32 vcc_lo, exec_lo, s103
	s_mov_b32 s98, -1
	s_delay_alu instid0(VALU_DEP_1) | instskip(NEXT) | instid1(VALU_DEP_1)
	v_add_nc_u64_e32 v[0:1], s[92:93], v[0:1]
	v_lshl_add_u64 v[0:1], v[40:41], 3, v[0:1]
	s_delay_alu instid0(VALU_DEP_1)
	v_lshl_add_u64 v[0:1], s[42:43], 3, v[0:1]
	s_cbranch_vccnz .LBB46_15
; %bb.14:                               ;   in Loop: Header=BB46_4 Depth=1
	s_delay_alu instid0(VALU_DEP_1) | instskip(SKIP_1) | instid1(VALU_DEP_1)
	v_lshl_add_u64 v[2:3], s[44:45], 3, v[0:1]
	s_mov_b32 s98, 0
	v_add_nc_u64_e32 v[4:5], s[58:59], v[2:3]
	s_delay_alu instid0(VALU_DEP_1)
	v_add_nc_u64_e32 v[6:7], s[58:59], v[4:5]
	s_clause 0x3
	flat_load_b64 v[8:9], v[0:1]
	flat_load_b64 v[2:3], v[2:3]
	;; [unrolled: 1-line block ×4, first 2 shown]
	s_wait_loadcnt_dscnt 0x303
	ds_store_b64 v108, v[8:9]
	s_wait_loadcnt_dscnt 0x203
	ds_store_b64 v108, v[2:3] offset:2112
	s_wait_loadcnt_dscnt 0x103
	ds_store_b64 v108, v[4:5] offset:4224
	;; [unrolled: 2-line block ×3, first 2 shown]
.LBB46_15:                              ;   in Loop: Header=BB46_4 Depth=1
	s_and_not1_b32 vcc_lo, exec_lo, s98
	s_cbranch_vccnz .LBB46_25
; %bb.16:                               ;   in Loop: Header=BB46_4 Depth=1
	s_wait_xcnt 0x2
	v_lshl_add_u64 v[2:3], v[42:43], 3, v[0:1]
	s_wait_xcnt 0x0
	v_dual_mov_b32 v6, 0 :: v_dual_mov_b32 v4, 0
	v_mov_b32_e32 v5, 0
	s_delay_alu instid0(VALU_DEP_3) | instskip(NEXT) | instid1(VALU_DEP_1)
	v_lshl_add_u64 v[2:3], s[36:37], 3, v[2:3]
	v_add_nc_u64_e32 v[2:3], -8, v[2:3]
	s_delay_alu instid0(VALU_DEP_1)
	v_dual_cndmask_b32 v3, v3, v1, s2 :: v_dual_cndmask_b32 v2, v2, v0, s2
	s_and_saveexec_b32 s98, s3
	s_cbranch_execz .LBB46_18
; %bb.17:                               ;   in Loop: Header=BB46_4 Depth=1
	flat_load_b64 v[4:5], v[2:3]
.LBB46_18:                              ;   in Loop: Header=BB46_4 Depth=1
	s_wait_xcnt 0x0
	s_or_b32 exec_lo, exec_lo, s98
	v_mov_b32_e32 v7, 0
	s_wait_loadcnt_dscnt 0x0
	ds_store_b64 v108, v[4:5]
	s_and_saveexec_b32 s98, s4
	s_cbranch_execz .LBB46_20
; %bb.19:                               ;   in Loop: Header=BB46_4 Depth=1
	v_lshl_add_u64 v[4:5], s[44:45], 3, v[2:3]
	flat_load_b64 v[6:7], v[4:5]
.LBB46_20:                              ;   in Loop: Header=BB46_4 Depth=1
	s_wait_xcnt 0x0
	s_or_b32 exec_lo, exec_lo, s98
	v_dual_mov_b32 v4, 0 :: v_dual_mov_b32 v8, 0
	v_mov_b32_e32 v9, 0
	s_wait_loadcnt_dscnt 0x0
	ds_store_b64 v108, v[6:7] offset:2112
	s_and_saveexec_b32 s98, s5
	s_cbranch_execz .LBB46_22
; %bb.21:                               ;   in Loop: Header=BB46_4 Depth=1
	v_lshl_add_u64 v[6:7], s[46:47], 3, v[2:3]
	flat_load_b64 v[8:9], v[6:7]
.LBB46_22:                              ;   in Loop: Header=BB46_4 Depth=1
	s_wait_xcnt 0x0
	s_or_b32 exec_lo, exec_lo, s98
	v_mov_b32_e32 v5, 0
	s_wait_loadcnt_dscnt 0x0
	ds_store_b64 v108, v[8:9] offset:4224
	s_and_saveexec_b32 s98, s6
	s_cbranch_execz .LBB46_24
; %bb.23:                               ;   in Loop: Header=BB46_4 Depth=1
	v_lshl_add_u64 v[4:5], s[48:49], 3, v[2:3]
	flat_load_b64 v[4:5], v[4:5]
.LBB46_24:                              ;   in Loop: Header=BB46_4 Depth=1
	s_wait_xcnt 0x0
	s_or_b32 exec_lo, exec_lo, s98
	v_add_nc_u64_e32 v[2:3], v[2:3], v[34:35]
	s_wait_loadcnt_dscnt 0x0
	ds_store_b64 v108, v[4:5] offset:6336
	v_lshl_add_u64 v[2:3], s[96:97], 3, v[2:3]
	s_delay_alu instid0(VALU_DEP_1) | instskip(NEXT) | instid1(VALU_DEP_1)
	v_add_nc_u64_e32 v[2:3], 8, v[2:3]
	v_dual_cndmask_b32 v1, v3, v1, s2 :: v_dual_cndmask_b32 v0, v2, v0, s2
.LBB46_25:                              ;   in Loop: Header=BB46_4 Depth=1
	s_mov_b32 s98, 0
	s_wait_dscnt 0x0
	s_barrier_signal -1
	s_barrier_wait -1
	s_wait_xcnt 0x0
	s_and_saveexec_b32 s19, s7
	s_delay_alu instid0(SALU_CYCLE_1)
	s_xor_b32 s19, exec_lo, s19
; %bb.26:                               ;   in Loop: Header=BB46_4 Depth=1
	s_and_b32 s98, s8, exec_lo
; %bb.27:                               ;   in Loop: Header=BB46_4 Depth=1
	s_or_saveexec_b32 s99, s19
	v_dual_mov_b32 v2, 0 :: v_dual_mov_b32 v3, v92
	s_xor_b32 exec_lo, exec_lo, s99
	s_cbranch_execz .LBB46_29
; %bb.28:                               ;   in Loop: Header=BB46_4 Depth=1
	ds_load_b64 v[4:5], v109
	v_mov_b32_e32 v3, v93
	s_or_b32 s98, s98, exec_lo
	s_wait_dscnt 0x0
	v_xor_b32_e32 v2, 0x80000000, v5
	ds_store_b32 v93, v4
.LBB46_29:                              ;   in Loop: Header=BB46_4 Depth=1
	s_or_b32 exec_lo, exec_lo, s99
	s_and_saveexec_b32 s19, s98
; %bb.30:                               ;   in Loop: Header=BB46_4 Depth=1
	ds_store_b32 v3, v2 offset:4
; %bb.31:                               ;   in Loop: Header=BB46_4 Depth=1
	s_or_b32 exec_lo, exec_lo, s19
	s_mov_b32 s98, 0
	s_and_saveexec_b32 s19, s9
	s_delay_alu instid0(SALU_CYCLE_1)
	s_xor_b32 s19, exec_lo, s19
; %bb.32:                               ;   in Loop: Header=BB46_4 Depth=1
	s_and_b32 s98, s10, exec_lo
; %bb.33:                               ;   in Loop: Header=BB46_4 Depth=1
	s_or_saveexec_b32 s99, s19
	v_dual_mov_b32 v2, 0 :: v_dual_mov_b32 v3, v92
	s_xor_b32 exec_lo, exec_lo, s99
	s_cbranch_execz .LBB46_35
; %bb.34:                               ;   in Loop: Header=BB46_4 Depth=1
	ds_load_b64 v[4:5], v110
	v_mov_b32_e32 v3, v94
	s_or_b32 s98, s98, exec_lo
	s_wait_dscnt 0x0
	v_xor_b32_e32 v2, 0x80000000, v5
	ds_store_b32 v94, v4
.LBB46_35:                              ;   in Loop: Header=BB46_4 Depth=1
	s_or_b32 exec_lo, exec_lo, s99
	s_and_saveexec_b32 s19, s98
; %bb.36:                               ;   in Loop: Header=BB46_4 Depth=1
	ds_store_b32 v3, v2 offset:4
; %bb.37:                               ;   in Loop: Header=BB46_4 Depth=1
	s_or_b32 exec_lo, exec_lo, s19
	s_mov_b32 s98, 0
	s_and_saveexec_b32 s19, s11
	s_delay_alu instid0(SALU_CYCLE_1)
	s_xor_b32 s19, exec_lo, s19
; %bb.38:                               ;   in Loop: Header=BB46_4 Depth=1
	s_and_b32 s98, s12, exec_lo
; %bb.39:                               ;   in Loop: Header=BB46_4 Depth=1
	s_or_saveexec_b32 s99, s19
	v_dual_mov_b32 v2, 0 :: v_dual_mov_b32 v3, v92
	s_xor_b32 exec_lo, exec_lo, s99
	s_cbranch_execz .LBB46_41
; %bb.40:                               ;   in Loop: Header=BB46_4 Depth=1
	ds_load_b64 v[4:5], v110 offset:264
	v_mov_b32_e32 v3, v95
	s_or_b32 s98, s98, exec_lo
	s_wait_dscnt 0x0
	v_xor_b32_e32 v2, 0x80000000, v5
	ds_store_b32 v95, v4
.LBB46_41:                              ;   in Loop: Header=BB46_4 Depth=1
	s_or_b32 exec_lo, exec_lo, s99
	s_and_saveexec_b32 s19, s98
; %bb.42:                               ;   in Loop: Header=BB46_4 Depth=1
	ds_store_b32 v3, v2 offset:4
; %bb.43:                               ;   in Loop: Header=BB46_4 Depth=1
	s_or_b32 exec_lo, exec_lo, s19
	s_mov_b32 s98, 0
	s_and_saveexec_b32 s19, s13
	s_delay_alu instid0(SALU_CYCLE_1)
	s_xor_b32 s19, exec_lo, s19
; %bb.44:                               ;   in Loop: Header=BB46_4 Depth=1
	s_and_b32 s98, s14, exec_lo
; %bb.45:                               ;   in Loop: Header=BB46_4 Depth=1
	s_or_saveexec_b32 s99, s19
	v_dual_mov_b32 v2, 0 :: v_dual_mov_b32 v3, v92
	s_xor_b32 exec_lo, exec_lo, s99
	s_cbranch_execz .LBB46_47
; %bb.46:                               ;   in Loop: Header=BB46_4 Depth=1
	ds_load_b64 v[4:5], v110 offset:528
	v_mov_b32_e32 v3, v97
	s_or_b32 s98, s98, exec_lo
	s_wait_dscnt 0x0
	v_xor_b32_e32 v2, 0x80000000, v5
	ds_store_b32 v97, v4
.LBB46_47:                              ;   in Loop: Header=BB46_4 Depth=1
	s_or_b32 exec_lo, exec_lo, s99
	s_and_saveexec_b32 s19, s98
; %bb.48:                               ;   in Loop: Header=BB46_4 Depth=1
	ds_store_b32 v3, v2 offset:4
; %bb.49:                               ;   in Loop: Header=BB46_4 Depth=1
	s_or_b32 exec_lo, exec_lo, s19
	s_wait_dscnt 0x0
	s_barrier_signal -1
	s_barrier_wait -1
	ds_load_b64 v[14:15], v109
	ds_load_b128 v[2:5], v98
	ds_load_2addr_b64 v[6:9], v110 offset1:33
	ds_load_b128 v[10:13], v98 offset:16
	ds_load_b64 v[18:19], v110 offset:528
	v_mov_b64_e32 v[52:53], 0
	s_wait_dscnt 0x0
	s_barrier_signal -1
	s_barrier_wait -1
	v_pk_mul_f32 v[20:21], v[2:3], v[14:15] op_sel:[1,1] op_sel_hi:[0,1]
	v_dual_mov_b32 v22, v5 :: v_dual_mov_b32 v23, v4
	v_pk_mul_f32 v[24:25], v[10:11], v[8:9] op_sel:[1,1] op_sel_hi:[0,1]
	v_dual_mov_b32 v28, v13 :: v_dual_mov_b32 v29, v12
	s_delay_alu instid0(VALU_DEP_4) | instskip(NEXT) | instid1(VALU_DEP_4)
	v_pk_fma_f32 v[26:27], v[2:3], v[14:15], v[20:21] op_sel_hi:[1,0,1]
	v_pk_mul_f32 v[22:23], v[22:23], v[6:7] op_sel:[0,1]
	v_pk_fma_f32 v[2:3], v[2:3], v[14:15], v[20:21] neg_lo:[0,0,1] neg_hi:[0,0,1]
	v_pk_fma_f32 v[20:21], v[10:11], v[8:9], v[24:25] op_sel_hi:[1,0,1]
	s_delay_alu instid0(VALU_DEP_3)
	v_pk_fma_f32 v[14:15], v[4:5], v[6:7], v[22:23] op_sel_hi:[1,0,1]
	v_mov_b32_e32 v3, v27
	v_pk_fma_f32 v[4:5], v[4:5], v[6:7], v[22:23] neg_lo:[0,0,1] neg_hi:[0,0,1]
	v_pk_mul_f32 v[26:27], v[28:29], v[18:19] op_sel:[0,1]
	v_pk_fma_f32 v[6:7], v[10:11], v[8:9], v[24:25] neg_lo:[0,0,1] neg_hi:[0,0,1]
	v_mov_b32_e32 v5, v15
	v_pk_add_f32 v[2:3], v[2:3], 0 op_sel_hi:[1,0]
	s_delay_alu instid0(VALU_DEP_4) | instskip(SKIP_1) | instid1(VALU_DEP_3)
	v_pk_fma_f32 v[8:9], v[12:13], v[18:19], v[26:27] op_sel_hi:[1,0,1]
	v_mov_b32_e32 v7, v21
	v_pk_add_f32 v[2:3], v[2:3], v[4:5]
	v_pk_fma_f32 v[4:5], v[12:13], v[18:19], v[26:27] neg_lo:[0,0,1] neg_hi:[0,0,1]
	s_delay_alu instid0(VALU_DEP_4) | instskip(NEXT) | instid1(VALU_DEP_3)
	v_mov_b32_e32 v5, v9
	v_pk_add_f32 v[2:3], v[2:3], v[6:7]
	s_delay_alu instid0(VALU_DEP_1)
	v_pk_add_f32 v[2:3], v[2:3], v[4:5]
	ds_store_b64 v99, v[2:3]
	s_wait_dscnt 0x0
	s_barrier_signal -1
	s_barrier_wait -1
	s_and_saveexec_b32 s98, s15
	s_cbranch_execz .LBB46_51
; %bb.50:                               ;   in Loop: Header=BB46_4 Depth=1
	ds_load_2addr_b64 v[2:5], v96 offset1:7
	ds_load_2addr_b64 v[6:9], v96 offset0:1 offset1:2
	ds_load_2addr_b64 v[10:13], v96 offset0:3 offset1:4
	;; [unrolled: 1-line block ×3, first 2 shown]
	s_wait_dscnt 0x2
	v_dual_add_f32 v2, v6, v2 :: v_dual_add_f32 v3, v7, v3
	s_delay_alu instid0(VALU_DEP_1) | instskip(SKIP_1) | instid1(VALU_DEP_1)
	v_dual_add_f32 v2, v8, v2 :: v_dual_add_f32 v3, v9, v3
	s_wait_dscnt 0x1
	v_dual_add_f32 v2, v2, v10 :: v_dual_add_f32 v3, v3, v11
	s_delay_alu instid0(VALU_DEP_1) | instskip(SKIP_1) | instid1(VALU_DEP_1)
	v_dual_add_f32 v2, v2, v12 :: v_dual_add_f32 v3, v3, v13
	s_wait_dscnt 0x0
	v_dual_add_f32 v2, v2, v18 :: v_dual_add_f32 v3, v3, v19
	s_delay_alu instid0(VALU_DEP_1) | instskip(NEXT) | instid1(VALU_DEP_1)
	v_dual_add_f32 v2, v2, v20 :: v_dual_add_f32 v3, v3, v21
	v_pk_add_f32 v[52:53], v[2:3], v[4:5]
.LBB46_51:                              ;   in Loop: Header=BB46_4 Depth=1
	s_or_b32 exec_lo, exec_lo, s98
	v_lshl_add_u64 v[2:3], s[50:51], 3, v[0:1]
	s_and_not1_b32 vcc_lo, exec_lo, s103
	s_mov_b32 s98, -1
	s_barrier_signal -1
	s_barrier_wait -1
	s_cbranch_vccnz .LBB46_53
; %bb.52:                               ;   in Loop: Header=BB46_4 Depth=1
	v_lshl_add_u64 v[0:1], s[44:45], 3, v[2:3]
	s_mov_b32 s98, 0
	s_delay_alu instid0(VALU_DEP_1) | instskip(NEXT) | instid1(VALU_DEP_1)
	v_add_nc_u64_e32 v[4:5], s[58:59], v[0:1]
	v_add_nc_u64_e32 v[6:7], s[58:59], v[4:5]
	s_clause 0x3
	flat_load_b64 v[8:9], v[2:3] offset:256
	flat_load_b64 v[0:1], v[0:1] offset:256
	;; [unrolled: 1-line block ×4, first 2 shown]
	s_wait_loadcnt_dscnt 0x303
	ds_store_b64 v108, v[8:9]
	s_wait_loadcnt_dscnt 0x203
	ds_store_b64 v108, v[0:1] offset:2112
	s_wait_loadcnt_dscnt 0x103
	ds_store_b64 v108, v[4:5] offset:4224
	;; [unrolled: 2-line block ×3, first 2 shown]
.LBB46_53:                              ;   in Loop: Header=BB46_4 Depth=1
	s_wait_xcnt 0x2
	v_add_nc_u64_e32 v[0:1], 0x100, v[2:3]
	s_and_not1_b32 vcc_lo, exec_lo, s98
	s_cbranch_vccnz .LBB46_63
; %bb.54:                               ;   in Loop: Header=BB46_4 Depth=1
	v_lshl_add_u64 v[2:3], v[42:43], 3, v[2:3]
	s_wait_xcnt 0x0
	v_dual_mov_b32 v6, 0 :: v_dual_mov_b32 v4, 0
	v_mov_b32_e32 v5, 0
	s_delay_alu instid0(VALU_DEP_3) | instskip(NEXT) | instid1(VALU_DEP_1)
	v_lshl_add_u64 v[2:3], s[36:37], 3, v[2:3]
	v_add_nc_u64_e32 v[2:3], -8, v[2:3]
	s_delay_alu instid0(VALU_DEP_1) | instskip(SKIP_3) | instid1(SALU_CYCLE_1)
	v_dual_cndmask_b32 v3, v3, v1, s16 :: v_dual_cndmask_b32 v2, v2, v0, s16
	s_mov_b32 s98, exec_lo
	v_readlane_b32 s19, v140, 0
	s_and_b32 s19, s98, s19
	s_mov_b32 exec_lo, s19
	s_cbranch_execz .LBB46_56
; %bb.55:                               ;   in Loop: Header=BB46_4 Depth=1
	flat_load_b64 v[4:5], v[2:3]
.LBB46_56:                              ;   in Loop: Header=BB46_4 Depth=1
	s_wait_xcnt 0x0
	s_or_b32 exec_lo, exec_lo, s98
	v_mov_b32_e32 v7, 0
	s_wait_loadcnt_dscnt 0x0
	ds_store_b64 v108, v[4:5]
	s_mov_b32 s98, exec_lo
	v_readlane_b32 s19, v140, 1
	s_and_b32 s19, s98, s19
	s_delay_alu instid0(SALU_CYCLE_1)
	s_mov_b32 exec_lo, s19
	s_cbranch_execz .LBB46_58
; %bb.57:                               ;   in Loop: Header=BB46_4 Depth=1
	v_lshl_add_u64 v[4:5], s[44:45], 3, v[2:3]
	flat_load_b64 v[6:7], v[4:5]
.LBB46_58:                              ;   in Loop: Header=BB46_4 Depth=1
	s_wait_xcnt 0x0
	s_or_b32 exec_lo, exec_lo, s98
	v_dual_mov_b32 v4, 0 :: v_dual_mov_b32 v8, 0
	v_mov_b32_e32 v9, 0
	s_wait_loadcnt_dscnt 0x0
	ds_store_b64 v108, v[6:7] offset:2112
	s_mov_b32 s98, exec_lo
	v_readlane_b32 s19, v140, 2
	s_and_b32 s19, s98, s19
	s_delay_alu instid0(SALU_CYCLE_1)
	s_mov_b32 exec_lo, s19
	s_cbranch_execz .LBB46_60
; %bb.59:                               ;   in Loop: Header=BB46_4 Depth=1
	v_lshl_add_u64 v[6:7], s[46:47], 3, v[2:3]
	flat_load_b64 v[8:9], v[6:7]
.LBB46_60:                              ;   in Loop: Header=BB46_4 Depth=1
	s_wait_xcnt 0x0
	s_or_b32 exec_lo, exec_lo, s98
	v_mov_b32_e32 v5, 0
	s_wait_loadcnt_dscnt 0x0
	ds_store_b64 v108, v[8:9] offset:4224
	s_and_saveexec_b32 s98, s20
	s_cbranch_execz .LBB46_62
; %bb.61:                               ;   in Loop: Header=BB46_4 Depth=1
	v_lshl_add_u64 v[4:5], s[48:49], 3, v[2:3]
	flat_load_b64 v[4:5], v[4:5]
.LBB46_62:                              ;   in Loop: Header=BB46_4 Depth=1
	s_wait_xcnt 0x0
	s_or_b32 exec_lo, exec_lo, s98
	v_add_nc_u64_e32 v[2:3], v[2:3], v[34:35]
	s_wait_loadcnt_dscnt 0x0
	ds_store_b64 v108, v[4:5] offset:6336
	v_lshl_add_u64 v[2:3], s[96:97], 3, v[2:3]
	s_delay_alu instid0(VALU_DEP_1) | instskip(NEXT) | instid1(VALU_DEP_1)
	v_add_nc_u64_e32 v[2:3], 0x108, v[2:3]
	v_dual_cndmask_b32 v1, v3, v1, s16 :: v_dual_cndmask_b32 v0, v2, v0, s16
.LBB46_63:                              ;   in Loop: Header=BB46_4 Depth=1
	s_mov_b32 s98, 0
	s_wait_dscnt 0x0
	s_barrier_signal -1
	s_barrier_wait -1
	s_wait_xcnt 0x0
	s_and_saveexec_b32 s19, s7
	s_delay_alu instid0(SALU_CYCLE_1)
	s_xor_b32 s19, exec_lo, s19
; %bb.64:                               ;   in Loop: Header=BB46_4 Depth=1
	s_and_b32 s98, s8, exec_lo
; %bb.65:                               ;   in Loop: Header=BB46_4 Depth=1
	s_or_saveexec_b32 s99, s19
	v_dual_mov_b32 v2, 0 :: v_dual_mov_b32 v3, v92
	s_xor_b32 exec_lo, exec_lo, s99
	s_cbranch_execz .LBB46_67
; %bb.66:                               ;   in Loop: Header=BB46_4 Depth=1
	ds_load_b64 v[4:5], v109
	v_mov_b32_e32 v3, v93
	s_or_b32 s98, s98, exec_lo
	s_wait_dscnt 0x0
	v_xor_b32_e32 v2, 0x80000000, v5
	ds_store_b32 v93, v4
.LBB46_67:                              ;   in Loop: Header=BB46_4 Depth=1
	s_or_b32 exec_lo, exec_lo, s99
	s_and_saveexec_b32 s19, s98
; %bb.68:                               ;   in Loop: Header=BB46_4 Depth=1
	ds_store_b32 v3, v2 offset:4
; %bb.69:                               ;   in Loop: Header=BB46_4 Depth=1
	s_or_b32 exec_lo, exec_lo, s19
	s_mov_b32 s98, 0
	s_and_saveexec_b32 s19, s9
	s_delay_alu instid0(SALU_CYCLE_1)
	s_xor_b32 s19, exec_lo, s19
; %bb.70:                               ;   in Loop: Header=BB46_4 Depth=1
	s_and_b32 s98, s10, exec_lo
; %bb.71:                               ;   in Loop: Header=BB46_4 Depth=1
	s_or_saveexec_b32 s99, s19
	v_dual_mov_b32 v2, 0 :: v_dual_mov_b32 v3, v92
	s_xor_b32 exec_lo, exec_lo, s99
	s_cbranch_execz .LBB46_73
; %bb.72:                               ;   in Loop: Header=BB46_4 Depth=1
	ds_load_b64 v[4:5], v110
	v_mov_b32_e32 v3, v94
	s_or_b32 s98, s98, exec_lo
	s_wait_dscnt 0x0
	v_xor_b32_e32 v2, 0x80000000, v5
	ds_store_b32 v94, v4
.LBB46_73:                              ;   in Loop: Header=BB46_4 Depth=1
	s_or_b32 exec_lo, exec_lo, s99
	s_and_saveexec_b32 s19, s98
; %bb.74:                               ;   in Loop: Header=BB46_4 Depth=1
	ds_store_b32 v3, v2 offset:4
; %bb.75:                               ;   in Loop: Header=BB46_4 Depth=1
	s_or_b32 exec_lo, exec_lo, s19
	s_mov_b32 s98, 0
	s_and_saveexec_b32 s19, s11
	s_delay_alu instid0(SALU_CYCLE_1)
	s_xor_b32 s19, exec_lo, s19
; %bb.76:                               ;   in Loop: Header=BB46_4 Depth=1
	s_and_b32 s98, s12, exec_lo
; %bb.77:                               ;   in Loop: Header=BB46_4 Depth=1
	s_or_saveexec_b32 s99, s19
	v_dual_mov_b32 v2, 0 :: v_dual_mov_b32 v3, v92
	s_xor_b32 exec_lo, exec_lo, s99
	s_cbranch_execz .LBB46_79
; %bb.78:                               ;   in Loop: Header=BB46_4 Depth=1
	ds_load_b64 v[4:5], v110 offset:264
	v_mov_b32_e32 v3, v95
	s_or_b32 s98, s98, exec_lo
	s_wait_dscnt 0x0
	v_xor_b32_e32 v2, 0x80000000, v5
	ds_store_b32 v95, v4
.LBB46_79:                              ;   in Loop: Header=BB46_4 Depth=1
	s_or_b32 exec_lo, exec_lo, s99
	s_and_saveexec_b32 s19, s98
; %bb.80:                               ;   in Loop: Header=BB46_4 Depth=1
	ds_store_b32 v3, v2 offset:4
; %bb.81:                               ;   in Loop: Header=BB46_4 Depth=1
	s_or_b32 exec_lo, exec_lo, s19
	s_mov_b32 s98, 0
	s_and_saveexec_b32 s19, s13
	s_delay_alu instid0(SALU_CYCLE_1)
	s_xor_b32 s19, exec_lo, s19
; %bb.82:                               ;   in Loop: Header=BB46_4 Depth=1
	s_and_b32 s98, s14, exec_lo
; %bb.83:                               ;   in Loop: Header=BB46_4 Depth=1
	s_or_saveexec_b32 s99, s19
	v_dual_mov_b32 v2, 0 :: v_dual_mov_b32 v3, v92
	s_xor_b32 exec_lo, exec_lo, s99
	s_cbranch_execz .LBB46_85
; %bb.84:                               ;   in Loop: Header=BB46_4 Depth=1
	ds_load_b64 v[4:5], v110 offset:528
	v_mov_b32_e32 v3, v97
	s_or_b32 s98, s98, exec_lo
	s_wait_dscnt 0x0
	v_xor_b32_e32 v2, 0x80000000, v5
	ds_store_b32 v97, v4
.LBB46_85:                              ;   in Loop: Header=BB46_4 Depth=1
	s_or_b32 exec_lo, exec_lo, s99
	s_and_saveexec_b32 s19, s98
; %bb.86:                               ;   in Loop: Header=BB46_4 Depth=1
	ds_store_b32 v3, v2 offset:4
; %bb.87:                               ;   in Loop: Header=BB46_4 Depth=1
	s_or_b32 exec_lo, exec_lo, s19
	s_wait_dscnt 0x0
	s_barrier_signal -1
	s_barrier_wait -1
	ds_load_b64 v[14:15], v109
	ds_load_b128 v[2:5], v98 offset:256
	ds_load_2addr_b64 v[6:9], v110 offset1:33
	ds_load_b128 v[10:13], v98 offset:272
	ds_load_b64 v[18:19], v110 offset:528
	s_wait_dscnt 0x0
	s_barrier_signal -1
	s_barrier_wait -1
	v_pk_mul_f32 v[20:21], v[2:3], v[14:15] op_sel:[1,1] op_sel_hi:[0,1]
	v_dual_mov_b32 v22, v5 :: v_dual_mov_b32 v23, v4
	v_pk_mul_f32 v[24:25], v[10:11], v[8:9] op_sel:[1,1] op_sel_hi:[0,1]
	v_dual_mov_b32 v28, v13 :: v_dual_mov_b32 v29, v12
	s_delay_alu instid0(VALU_DEP_4) | instskip(NEXT) | instid1(VALU_DEP_4)
	v_pk_fma_f32 v[26:27], v[2:3], v[14:15], v[20:21] op_sel_hi:[1,0,1]
	v_pk_mul_f32 v[22:23], v[22:23], v[6:7] op_sel:[0,1]
	v_pk_fma_f32 v[2:3], v[2:3], v[14:15], v[20:21] neg_lo:[0,0,1] neg_hi:[0,0,1]
	v_pk_fma_f32 v[20:21], v[10:11], v[8:9], v[24:25] op_sel_hi:[1,0,1]
	s_delay_alu instid0(VALU_DEP_3)
	v_pk_fma_f32 v[14:15], v[4:5], v[6:7], v[22:23] op_sel_hi:[1,0,1]
	v_mov_b32_e32 v3, v27
	v_pk_fma_f32 v[4:5], v[4:5], v[6:7], v[22:23] neg_lo:[0,0,1] neg_hi:[0,0,1]
	v_pk_mul_f32 v[26:27], v[28:29], v[18:19] op_sel:[0,1]
	v_pk_fma_f32 v[6:7], v[10:11], v[8:9], v[24:25] neg_lo:[0,0,1] neg_hi:[0,0,1]
	v_mov_b32_e32 v5, v15
	v_pk_add_f32 v[2:3], v[2:3], 0 op_sel_hi:[1,0]
	s_delay_alu instid0(VALU_DEP_4) | instskip(SKIP_1) | instid1(VALU_DEP_3)
	v_pk_fma_f32 v[8:9], v[12:13], v[18:19], v[26:27] op_sel_hi:[1,0,1]
	v_mov_b32_e32 v7, v21
	v_pk_add_f32 v[2:3], v[2:3], v[4:5]
	v_pk_fma_f32 v[4:5], v[12:13], v[18:19], v[26:27] neg_lo:[0,0,1] neg_hi:[0,0,1]
	s_delay_alu instid0(VALU_DEP_4) | instskip(NEXT) | instid1(VALU_DEP_3)
	v_mov_b32_e32 v5, v9
	v_pk_add_f32 v[2:3], v[2:3], v[6:7]
	s_delay_alu instid0(VALU_DEP_1)
	v_pk_add_f32 v[2:3], v[2:3], v[4:5]
	ds_store_b64 v99, v[2:3]
	s_wait_dscnt 0x0
	s_barrier_signal -1
	s_barrier_wait -1
	s_and_saveexec_b32 s98, s21
	s_cbranch_execz .LBB46_89
; %bb.88:                               ;   in Loop: Header=BB46_4 Depth=1
	ds_load_2addr_b64 v[2:5], v96 offset1:7
	ds_load_2addr_b64 v[6:9], v96 offset0:1 offset1:2
	ds_load_2addr_b64 v[10:13], v96 offset0:3 offset1:4
	;; [unrolled: 1-line block ×3, first 2 shown]
	s_wait_dscnt 0x2
	v_dual_add_f32 v2, v6, v2 :: v_dual_add_f32 v3, v7, v3
	s_delay_alu instid0(VALU_DEP_1) | instskip(SKIP_1) | instid1(VALU_DEP_1)
	v_dual_add_f32 v2, v8, v2 :: v_dual_add_f32 v3, v9, v3
	s_wait_dscnt 0x1
	v_dual_add_f32 v2, v2, v10 :: v_dual_add_f32 v3, v3, v11
	s_delay_alu instid0(VALU_DEP_1) | instskip(SKIP_1) | instid1(VALU_DEP_1)
	v_dual_add_f32 v2, v2, v12 :: v_dual_add_f32 v3, v3, v13
	s_wait_dscnt 0x0
	v_dual_add_f32 v2, v2, v18 :: v_dual_add_f32 v3, v3, v19
	s_delay_alu instid0(VALU_DEP_1) | instskip(NEXT) | instid1(VALU_DEP_1)
	v_pk_add_f32 v[2:3], v[2:3], v[20:21]
	v_pk_add_f32 v[52:53], v[2:3], v[4:5]
.LBB46_89:                              ;   in Loop: Header=BB46_4 Depth=1
	s_or_b32 exec_lo, exec_lo, s98
	v_lshl_add_u64 v[18:19], s[52:53], 3, v[0:1]
	s_and_not1_b32 vcc_lo, exec_lo, s103
	s_mov_b32 s98, -1
	s_barrier_signal -1
	s_barrier_wait -1
	s_cbranch_vccnz .LBB46_91
; %bb.90:                               ;   in Loop: Header=BB46_4 Depth=1
	v_lshl_add_u64 v[0:1], s[44:45], 3, v[18:19]
	s_mov_b32 s98, 0
	s_delay_alu instid0(VALU_DEP_1) | instskip(NEXT) | instid1(VALU_DEP_1)
	v_add_nc_u64_e32 v[2:3], s[58:59], v[0:1]
	v_add_nc_u64_e32 v[4:5], s[58:59], v[2:3]
	s_clause 0x3
	flat_load_b64 v[6:7], v[18:19]
	flat_load_b64 v[0:1], v[0:1]
	;; [unrolled: 1-line block ×4, first 2 shown]
	s_wait_loadcnt_dscnt 0x303
	ds_store_b64 v108, v[6:7]
	s_wait_loadcnt_dscnt 0x203
	ds_store_b64 v108, v[0:1] offset:2112
	s_wait_loadcnt_dscnt 0x103
	ds_store_b64 v108, v[2:3] offset:4224
	;; [unrolled: 2-line block ×3, first 2 shown]
.LBB46_91:                              ;   in Loop: Header=BB46_4 Depth=1
	s_and_not1_b32 vcc_lo, exec_lo, s98
	s_cbranch_vccnz .LBB46_101
; %bb.92:                               ;   in Loop: Header=BB46_4 Depth=1
	s_wait_xcnt 0x2
	v_lshl_add_u64 v[0:1], v[42:43], 3, v[18:19]
	s_wait_xcnt 0x0
	v_dual_mov_b32 v4, 0 :: v_dual_mov_b32 v2, 0
	v_mov_b32_e32 v3, 0
	s_delay_alu instid0(VALU_DEP_3) | instskip(NEXT) | instid1(VALU_DEP_1)
	v_lshl_add_u64 v[0:1], s[36:37], 3, v[0:1]
	v_add_nc_u64_e32 v[0:1], s[94:95], v[0:1]
	s_delay_alu instid0(VALU_DEP_1)
	v_dual_cndmask_b32 v1, v1, v19, s16 :: v_dual_cndmask_b32 v0, v0, v18, s16
	s_and_saveexec_b32 s98, s3
	s_cbranch_execz .LBB46_94
; %bb.93:                               ;   in Loop: Header=BB46_4 Depth=1
	flat_load_b64 v[2:3], v[0:1]
.LBB46_94:                              ;   in Loop: Header=BB46_4 Depth=1
	s_wait_xcnt 0x0
	s_or_b32 exec_lo, exec_lo, s98
	v_mov_b32_e32 v5, 0
	s_wait_loadcnt_dscnt 0x0
	ds_store_b64 v108, v[2:3]
	s_and_saveexec_b32 s98, s4
	s_cbranch_execz .LBB46_96
; %bb.95:                               ;   in Loop: Header=BB46_4 Depth=1
	v_lshl_add_u64 v[2:3], s[44:45], 3, v[0:1]
	flat_load_b64 v[4:5], v[2:3]
.LBB46_96:                              ;   in Loop: Header=BB46_4 Depth=1
	s_wait_xcnt 0x0
	s_or_b32 exec_lo, exec_lo, s98
	v_dual_mov_b32 v2, 0 :: v_dual_mov_b32 v6, 0
	v_mov_b32_e32 v7, 0
	s_wait_loadcnt_dscnt 0x0
	ds_store_b64 v108, v[4:5] offset:2112
	s_and_saveexec_b32 s98, s5
	s_cbranch_execz .LBB46_98
; %bb.97:                               ;   in Loop: Header=BB46_4 Depth=1
	v_lshl_add_u64 v[4:5], s[46:47], 3, v[0:1]
	flat_load_b64 v[6:7], v[4:5]
.LBB46_98:                              ;   in Loop: Header=BB46_4 Depth=1
	s_wait_xcnt 0x0
	s_or_b32 exec_lo, exec_lo, s98
	v_mov_b32_e32 v3, 0
	s_wait_loadcnt_dscnt 0x0
	ds_store_b64 v108, v[6:7] offset:4224
	s_and_saveexec_b32 s98, s6
	s_cbranch_execz .LBB46_100
; %bb.99:                               ;   in Loop: Header=BB46_4 Depth=1
	v_lshl_add_u64 v[2:3], s[48:49], 3, v[0:1]
	flat_load_b64 v[2:3], v[2:3]
.LBB46_100:                             ;   in Loop: Header=BB46_4 Depth=1
	s_wait_xcnt 0x0
	s_or_b32 exec_lo, exec_lo, s98
	v_add_nc_u64_e32 v[0:1], v[0:1], v[34:35]
	s_wait_loadcnt_dscnt 0x0
	ds_store_b64 v108, v[2:3] offset:6336
	v_lshl_add_u64 v[0:1], s[96:97], 3, v[0:1]
	s_delay_alu instid0(VALU_DEP_1) | instskip(NEXT) | instid1(VALU_DEP_1)
	v_add_nc_u64_e32 v[0:1], 0x108, v[0:1]
	v_dual_cndmask_b32 v19, v1, v19, s16 :: v_dual_cndmask_b32 v18, v0, v18, s16
.LBB46_101:                             ;   in Loop: Header=BB46_4 Depth=1
	s_wait_dscnt 0x0
	s_barrier_signal -1
	s_barrier_wait -1
	ds_load_b64 v[8:9], v108
	ds_load_b64 v[10:11], v111
	ds_load_2addr_b64 v[20:23], v107 offset0:8 offset1:16
	ds_load_b64 v[12:13], v108 offset:2112
	ds_load_b64 v[24:25], v108 offset:4224
	;; [unrolled: 1-line block ×4, first 2 shown]
	s_wait_xcnt 0x0
	ds_load_2addr_b64 v[4:7], v100 offset1:1
	ds_load_2addr_b64 v[0:3], v100 offset0:2 offset1:3
	s_wait_dscnt 0x7
	v_pk_mul_f32 v[14:15], v[10:11], v[8:9] op_sel:[1,1] op_sel_hi:[0,1]
	s_wait_dscnt 0x5
	v_pk_mul_f32 v[30:31], v[20:21], v[12:13] op_sel:[1,1] op_sel_hi:[0,1]
	s_wait_dscnt 0x4
	v_pk_mul_f32 v[56:57], v[22:23], v[24:25] op_sel:[1,1] op_sel_hi:[0,1]
	v_pk_fma_f32 v[54:55], v[10:11], v[8:9], v[14:15] op_sel_hi:[1,0,1]
	v_pk_fma_f32 v[8:9], v[10:11], v[8:9], v[14:15] neg_lo:[0,0,1] neg_hi:[0,0,1]
	v_pk_fma_f32 v[10:11], v[20:21], v[12:13], v[30:31] op_sel_hi:[1,0,1]
	v_pk_fma_f32 v[20:21], v[20:21], v[12:13], v[30:31] neg_lo:[0,0,1] neg_hi:[0,0,1]
	v_pk_fma_f32 v[30:31], v[22:23], v[24:25], v[56:57] op_sel_hi:[1,0,1]
	v_mov_b32_e32 v9, v55
	s_wait_dscnt 0x2
	v_pk_mul_f32 v[54:55], v[28:29], v[26:27] op_sel:[1,1] op_sel_hi:[0,1]
	v_mov_b32_e32 v21, v11
	v_pk_fma_f32 v[22:23], v[22:23], v[24:25], v[56:57] neg_lo:[0,0,1] neg_hi:[0,0,1]
	v_pk_add_f32 v[58:59], v[8:9], 0 op_sel_hi:[1,0]
	ds_load_b128 v[12:15], v98 offset:256
	ds_load_b128 v[8:11], v98 offset:272
	v_pk_fma_f32 v[24:25], v[28:29], v[26:27], v[54:55] op_sel_hi:[1,0,1]
	v_mov_b32_e32 v23, v31
	v_pk_fma_f32 v[26:27], v[28:29], v[26:27], v[54:55] neg_lo:[0,0,1] neg_hi:[0,0,1]
	v_pk_add_f32 v[20:21], v[58:59], v[20:21]
	s_wait_dscnt 0x0
	v_mov_b32_e32 v27, v25
	s_barrier_signal -1
	s_barrier_wait -1
	v_pk_add_f32 v[20:21], v[20:21], v[22:23]
	s_delay_alu instid0(VALU_DEP_1)
	v_pk_add_f32 v[20:21], v[20:21], v[26:27]
	ds_store_b64 v99, v[20:21]
	s_wait_dscnt 0x0
	s_barrier_signal -1
	s_barrier_wait -1
	s_and_saveexec_b32 s98, s21
	s_cbranch_execz .LBB46_103
; %bb.102:                              ;   in Loop: Header=BB46_4 Depth=1
	ds_load_2addr_b64 v[20:23], v96 offset1:1
	ds_load_2addr_b64 v[24:27], v96 offset0:2 offset1:3
	ds_load_2addr_b64 v[28:31], v96 offset0:4 offset1:5
	s_wait_dscnt 0x2
	v_pk_add_f32 v[20:21], v[52:53], v[20:21]
	s_delay_alu instid0(VALU_DEP_1) | instskip(SKIP_1) | instid1(VALU_DEP_1)
	v_pk_add_f32 v[20:21], v[20:21], v[22:23]
	s_wait_dscnt 0x1
	v_pk_add_f32 v[24:25], v[20:21], v[24:25]
	ds_load_2addr_b64 v[20:23], v96 offset0:6 offset1:7
	v_pk_add_f32 v[24:25], v[24:25], v[26:27]
	s_wait_dscnt 0x1
	s_delay_alu instid0(VALU_DEP_1) | instskip(NEXT) | instid1(VALU_DEP_1)
	v_pk_add_f32 v[24:25], v[24:25], v[28:29]
	v_pk_add_f32 v[24:25], v[24:25], v[30:31]
	s_wait_dscnt 0x0
	s_delay_alu instid0(VALU_DEP_1) | instskip(NEXT) | instid1(VALU_DEP_1)
	v_pk_add_f32 v[20:21], v[24:25], v[20:21]
	v_pk_add_f32 v[52:53], v[20:21], v[22:23]
.LBB46_103:                             ;   in Loop: Header=BB46_4 Depth=1
	s_or_b32 exec_lo, exec_lo, s98
	v_pk_mul_f32 v[20:21], v[4:5], v[12:13] op_sel:[1,1] op_sel_hi:[1,0]
	v_dual_mov_b32 v22, v7 :: v_dual_mov_b32 v24, v15
	v_mov_b32_e32 v25, v14
	v_pk_mul_f32 v[26:27], v[0:1], v[8:9] op_sel:[1,1] op_sel_hi:[1,0]
	s_delay_alu instid0(VALU_DEP_4) | instskip(SKIP_3) | instid1(VALU_DEP_4)
	v_pk_fma_f32 v[28:29], v[4:5], v[12:13], v[20:21] op_sel_hi:[0,1,1] neg_lo:[0,0,1] neg_hi:[0,0,1]
	v_mov_b32_e32 v28, v3
	v_pk_fma_f32 v[4:5], v[4:5], v[12:13], v[20:21]
	v_pk_mul_f32 v[22:23], v[22:23], v[24:25] op_sel_hi:[0,1]
	v_dual_mov_b32 v24, v11 :: v_dual_mov_b32 v5, v29
	v_pk_fma_f32 v[20:21], v[0:1], v[8:9], v[26:27] op_sel_hi:[0,1,1] neg_lo:[0,0,1] neg_hi:[0,0,1]
	v_pk_fma_f32 v[0:1], v[0:1], v[8:9], v[26:27]
	s_delay_alu instid0(VALU_DEP_4) | instskip(SKIP_3) | instid1(VALU_DEP_4)
	v_pk_fma_f32 v[12:13], v[6:7], v[14:15], v[22:23] op_sel_hi:[0,1,1] neg_lo:[0,0,1] neg_hi:[0,0,1]
	v_mov_b32_e32 v25, v10
	v_pk_fma_f32 v[6:7], v[6:7], v[14:15], v[22:23]
	v_pk_add_f32 v[4:5], v[4:5], 0 op_sel_hi:[1,0]
	v_mov_b32_e32 v7, v13
	s_delay_alu instid0(VALU_DEP_4) | instskip(SKIP_2) | instid1(VALU_DEP_2)
	v_pk_mul_f32 v[14:15], v[28:29], v[24:25] op_sel_hi:[0,1]
	s_barrier_signal -1
	s_barrier_wait -1
	v_pk_add_f32 v[4:5], v[4:5], v[6:7]
	s_delay_alu instid0(VALU_DEP_2) | instskip(SKIP_2) | instid1(VALU_DEP_3)
	v_pk_fma_f32 v[8:9], v[2:3], v[10:11], v[14:15] op_sel_hi:[0,1,1] neg_lo:[0,0,1] neg_hi:[0,0,1]
	v_mov_b32_e32 v1, v21
	v_pk_fma_f32 v[2:3], v[2:3], v[10:11], v[14:15]
	v_mov_b32_e32 v3, v9
	s_delay_alu instid0(VALU_DEP_3) | instskip(NEXT) | instid1(VALU_DEP_1)
	v_pk_add_f32 v[0:1], v[4:5], v[0:1]
	v_pk_add_f32 v[0:1], v[0:1], v[2:3]
	ds_store_b64 v99, v[0:1]
	s_wait_dscnt 0x0
	s_barrier_signal -1
	s_barrier_wait -1
	s_and_saveexec_b32 s98, s15
	s_cbranch_execz .LBB46_105
; %bb.104:                              ;   in Loop: Header=BB46_4 Depth=1
	ds_load_2addr_b64 v[0:3], v96 offset1:1
	ds_load_2addr_b64 v[4:7], v96 offset0:2 offset1:3
	ds_load_2addr_b64 v[8:11], v96 offset0:4 offset1:5
	s_wait_dscnt 0x2
	v_pk_add_f32 v[0:1], v[52:53], v[0:1]
	s_delay_alu instid0(VALU_DEP_1) | instskip(SKIP_1) | instid1(VALU_DEP_1)
	v_pk_add_f32 v[0:1], v[0:1], v[2:3]
	s_wait_dscnt 0x1
	v_pk_add_f32 v[4:5], v[0:1], v[4:5]
	ds_load_2addr_b64 v[0:3], v96 offset0:6 offset1:7
	v_pk_add_f32 v[4:5], v[4:5], v[6:7]
	s_wait_dscnt 0x1
	s_delay_alu instid0(VALU_DEP_1) | instskip(NEXT) | instid1(VALU_DEP_1)
	v_pk_add_f32 v[4:5], v[4:5], v[8:9]
	v_pk_add_f32 v[4:5], v[4:5], v[10:11]
	s_wait_dscnt 0x0
	s_delay_alu instid0(VALU_DEP_1) | instskip(NEXT) | instid1(VALU_DEP_1)
	v_pk_add_f32 v[0:1], v[4:5], v[0:1]
	v_pk_add_f32 v[52:53], v[0:1], v[2:3]
.LBB46_105:                             ;   in Loop: Header=BB46_4 Depth=1
	s_or_b32 exec_lo, exec_lo, s98
	s_mul_u64 s[98:99], s[38:39], s[34:35]
	s_and_not1_b32 vcc_lo, exec_lo, s104
	s_lshl_b64 s[98:99], s[98:99], 3
	s_delay_alu instid0(SALU_CYCLE_1)
	s_add_nc_u64 s[98:99], s[40:41], s[98:99]
	s_barrier_signal -1
	s_barrier_wait -1
	s_cbranch_vccnz .LBB46_112
; %bb.106:                              ;   in Loop: Header=BB46_4 Depth=1
	v_lshl_add_u64 v[0:1], s[56:57], 3, v[18:19]
	s_mov_b64 s[100:101], 0xffffffffffffff00
	v_lshl_add_u64 v[54:55], s[54:55], 3, v[16:17]
	v_mov_b32_e32 v113, v32
	s_mov_b32 vcc_lo, s33
	v_lshl_add_u64 v[0:1], v[46:47], 3, v[0:1]
	s_delay_alu instid0(VALU_DEP_1) | instskip(NEXT) | instid1(VALU_DEP_1)
	v_lshl_add_u64 v[0:1], v[44:45], 3, v[0:1]
	v_lshl_add_u64 v[2:3], v[48:49], 3, v[0:1]
	v_add_nc_u64_e32 v[0:1], s[100:101], v[0:1]
	s_mov_b32 s100, 0
	s_delay_alu instid0(VALU_DEP_2) | instskip(NEXT) | instid1(VALU_DEP_1)
	v_lshl_add_u64 v[2:3], s[36:37], 3, v[2:3]
	v_add_nc_u64_e32 v[2:3], s[94:95], v[2:3]
	s_delay_alu instid0(VALU_DEP_1)
	v_dual_cndmask_b32 v57, v1, v3, s1 :: v_dual_cndmask_b32 v56, v0, v2, s1
	s_branch .LBB46_108
.LBB46_107:                             ;   in Loop: Header=BB46_108 Depth=2
	s_wait_xcnt 0x0
	s_or_b32 exec_lo, exec_lo, s101
	v_pk_mul_f32 v[114:115], v[64:65], v[4:5] op_sel:[1,1] op_sel_hi:[0,1]
	v_dual_mov_b32 v116, v7 :: v_dual_mov_b32 v120, v3
	v_pk_mul_f32 v[118:119], v[60:61], v[0:1] op_sel:[1,1] op_sel_hi:[0,1]
	v_pk_mul_f32 v[124:125], v[70:71], v[12:13] op_sel:[1,1] op_sel_hi:[0,1]
	s_delay_alu instid0(VALU_DEP_4) | instskip(NEXT) | instid1(VALU_DEP_4)
	v_pk_fma_f32 v[122:123], v[64:65], v[4:5], v[114:115] op_sel_hi:[1,0,1]
	v_pk_mul_f32 v[116:117], v[62:63], v[116:117] op_sel:[1,0] op_sel_hi:[0,0]
	v_pk_fma_f32 v[4:5], v[64:65], v[4:5], v[114:115] neg_lo:[0,0,1] neg_hi:[0,0,1]
	v_mov_b32_e32 v122, v15
	v_pk_mul_f32 v[114:115], v[58:59], v[120:121] op_sel:[1,0] op_sel_hi:[0,0]
	v_mov_b32_e32 v5, v123
	v_pk_fma_f32 v[64:65], v[62:63], v[6:7], v[116:117] op_sel_hi:[1,0,1]
	v_pk_fma_f32 v[6:7], v[62:63], v[6:7], v[116:117] neg_lo:[0,0,1] neg_hi:[0,0,1]
	v_pk_fma_f32 v[120:121], v[60:61], v[0:1], v[118:119] op_sel_hi:[1,0,1]
	v_pk_fma_f32 v[0:1], v[60:61], v[0:1], v[118:119] neg_lo:[0,0,1] neg_hi:[0,0,1]
	v_pk_add_f32 v[4:5], v[52:53], v[4:5]
	v_mov_b32_e32 v7, v65
	v_pk_fma_f32 v[60:61], v[58:59], v[2:3], v[114:115] op_sel_hi:[1,0,1]
	v_mov_b32_e32 v1, v121
	v_pk_fma_f32 v[2:3], v[58:59], v[2:3], v[114:115] neg_lo:[0,0,1] neg_hi:[0,0,1]
	v_pk_fma_f32 v[62:63], v[70:71], v[12:13], v[124:125] op_sel_hi:[1,0,1]
	v_pk_add_f32 v[4:5], v[4:5], v[6:7]
	v_pk_mul_f32 v[6:7], v[66:67], v[122:123] op_sel:[1,0] op_sel_hi:[0,0]
	v_mov_b32_e32 v3, v61
	v_pk_mul_f32 v[52:53], v[72:73], v[8:9] op_sel:[1,1] op_sel_hi:[0,1]
	v_pk_fma_f32 v[12:13], v[70:71], v[12:13], v[124:125] neg_lo:[0,0,1] neg_hi:[0,0,1]
	v_pk_add_f32 v[0:1], v[4:5], v[0:1]
	v_mov_b32_e32 v4, v11
	v_pk_fma_f32 v[58:59], v[66:67], v[14:15], v[6:7] op_sel_hi:[1,0,1]
	v_mov_b32_e32 v13, v63
	v_pk_fma_f32 v[6:7], v[66:67], v[14:15], v[6:7] neg_lo:[0,0,1] neg_hi:[0,0,1]
	v_pk_add_f32 v[0:1], v[0:1], v[2:3]
	v_pk_fma_f32 v[2:3], v[72:73], v[8:9], v[52:53] op_sel_hi:[1,0,1]
	v_pk_mul_f32 v[4:5], v[68:69], v[4:5] op_sel:[1,0] op_sel_hi:[0,0]
	v_mov_b32_e32 v7, v59
	v_pk_fma_f32 v[8:9], v[72:73], v[8:9], v[52:53] neg_lo:[0,0,1] neg_hi:[0,0,1]
	v_pk_add_f32 v[0:1], v[0:1], v[12:13]
	v_mov_b32_e32 v9, v3
	v_pk_fma_f32 v[2:3], v[68:69], v[10:11], v[4:5] op_sel_hi:[1,0,1]
	v_pk_mul_f32 v[12:13], v[80:81], v[16:17] op_sel:[1,1] op_sel_hi:[0,1]
	v_mov_b32_e32 v2, v19
	v_pk_add_f32 v[0:1], v[0:1], v[6:7]
	v_pk_fma_f32 v[4:5], v[68:69], v[10:11], v[4:5] neg_lo:[0,0,1] neg_hi:[0,0,1]
	v_mov_b32_e32 v5, v3
	v_pk_fma_f32 v[6:7], v[80:81], v[16:17], v[12:13] op_sel_hi:[1,0,1]
	v_pk_mul_f32 v[2:3], v[78:79], v[2:3] op_sel:[1,0] op_sel_hi:[0,0]
	v_pk_add_f32 v[0:1], v[0:1], v[8:9]
	v_pk_fma_f32 v[8:9], v[80:81], v[16:17], v[12:13] neg_lo:[0,0,1] neg_hi:[0,0,1]
	v_mov_b32_e32 v6, v23
	v_pk_mul_f32 v[10:11], v[76:77], v[20:21] op_sel:[1,1] op_sel_hi:[0,1]
	v_add_nc_u64_e32 v[56:57], s[62:63], v[56:57]
	v_pk_add_f32 v[0:1], v[0:1], v[4:5]
	v_pk_fma_f32 v[4:5], v[78:79], v[18:19], v[2:3] op_sel_hi:[1,0,1]
	v_mov_b32_e32 v9, v7
	v_pk_fma_f32 v[2:3], v[78:79], v[18:19], v[2:3] neg_lo:[0,0,1] neg_hi:[0,0,1]
	v_pk_mul_f32 v[6:7], v[74:75], v[6:7] op_sel:[1,0] op_sel_hi:[0,0]
	s_delay_alu instid0(VALU_DEP_4) | instskip(NEXT) | instid1(VALU_DEP_4)
	v_dual_add_nc_u32 v113, 64, v113 :: v_dual_mov_b32 v3, v5
	v_pk_add_f32 v[0:1], v[0:1], v[8:9]
	v_pk_fma_f32 v[4:5], v[76:77], v[20:21], v[10:11] op_sel_hi:[1,0,1]
	v_pk_fma_f32 v[10:11], v[76:77], v[20:21], v[10:11] neg_lo:[0,0,1] neg_hi:[0,0,1]
	v_pk_fma_f32 v[8:9], v[74:75], v[22:23], v[6:7] op_sel_hi:[1,0,1]
	v_dual_mov_b32 v4, v27 :: v_dual_mov_b32 v8, v31
	v_pk_add_f32 v[0:1], v[0:1], v[2:3]
	v_mov_b32_e32 v11, v5
	v_pk_fma_f32 v[2:3], v[74:75], v[22:23], v[6:7] neg_lo:[0,0,1] neg_hi:[0,0,1]
	v_pk_mul_f32 v[6:7], v[88:89], v[24:25] op_sel:[1,1] op_sel_hi:[0,1]
	v_mov_b32_e32 v3, v9
	v_pk_mul_f32 v[4:5], v[86:87], v[4:5] op_sel:[1,0] op_sel_hi:[0,0]
	v_pk_add_f32 v[0:1], v[0:1], v[10:11]
	v_pk_mul_f32 v[8:9], v[82:83], v[8:9] op_sel:[1,0] op_sel_hi:[0,0]
	v_pk_fma_f32 v[10:11], v[88:89], v[24:25], v[6:7] op_sel_hi:[1,0,1]
	v_pk_fma_f32 v[6:7], v[88:89], v[24:25], v[6:7] neg_lo:[0,0,1] neg_hi:[0,0,1]
	v_pk_fma_f32 v[12:13], v[86:87], v[26:27], v[4:5] op_sel_hi:[1,0,1]
	v_pk_add_f32 v[0:1], v[0:1], v[2:3]
	v_pk_mul_f32 v[2:3], v[84:85], v[28:29] op_sel:[1,1] op_sel_hi:[0,1]
	v_mov_b32_e32 v7, v11
	v_pk_fma_f32 v[4:5], v[86:87], v[26:27], v[4:5] neg_lo:[0,0,1] neg_hi:[0,0,1]
	v_mov_b32_e32 v5, v13
	s_add_co_i32 vcc_lo, vcc_lo, -1
	v_pk_fma_f32 v[10:11], v[84:85], v[28:29], v[2:3] op_sel_hi:[1,0,1]
	v_pk_add_f32 v[0:1], v[0:1], v[6:7]
	v_pk_fma_f32 v[2:3], v[84:85], v[28:29], v[2:3] neg_lo:[0,0,1] neg_hi:[0,0,1]
	v_pk_fma_f32 v[6:7], v[82:83], v[30:31], v[8:9] op_sel_hi:[1,0,1]
	s_add_co_i32 s100, s100, vcc_hi
	v_mov_b32_e32 v3, v11
	v_pk_add_f32 v[0:1], v[0:1], v[4:5]
	v_pk_fma_f32 v[4:5], v[82:83], v[30:31], v[8:9] neg_lo:[0,0,1] neg_hi:[0,0,1]
	v_mov_b32_e32 v5, v7
	s_cmp_eq_u32 vcc_lo, 0
	s_wait_storecnt 0x0
	v_pk_add_f32 v[0:1], v[0:1], v[2:3]
	s_barrier_signal -1
	s_barrier_wait -1
	s_delay_alu instid0(VALU_DEP_1)
	v_pk_add_f32 v[52:53], v[0:1], v[4:5]
	s_cbranch_scc1 .LBB46_112
.LBB46_108:                             ;   Parent Loop BB46_4 Depth=1
                                        ; =>  This Inner Loop Header: Depth=2
	s_and_saveexec_b32 s19, s0
	s_cbranch_execz .LBB46_110
; %bb.109:                              ;   in Loop: Header=BB46_108 Depth=2
	s_ashr_i32 s101, s100, 31
	s_delay_alu instid0(SALU_CYCLE_1)
	v_lshl_add_u64 v[0:1], s[100:101], 3, v[54:55]
	flat_load_b64 v[0:1], v[0:1]
	s_wait_loadcnt_dscnt 0x0
	ds_store_b64 v33, v[0:1]
.LBB46_110:                             ;   in Loop: Header=BB46_108 Depth=2
	s_wait_xcnt 0x0
	s_or_b32 exec_lo, exec_lo, s19
	v_add_nc_u64_e32 v[0:1], s[60:61], v[56:57]
	v_add_nc_u64_e32 v[2:3], s[64:65], v[56:57]
	;; [unrolled: 1-line block ×3, first 2 shown]
	s_wait_dscnt 0x0
	s_barrier_signal -1
	s_barrier_wait -1
	s_clause 0x3
	flat_load_b64 v[64:65], v[56:57]
	flat_load_b64 v[62:63], v[0:1]
	;; [unrolled: 1-line block ×4, first 2 shown]
	ds_load_b64 v[8:9], v91
	s_wait_xcnt 0x0
	ds_load_b128 v[4:7], v101
	v_add_nc_u64_e32 v[12:13], s[90:91], v[56:57]
	v_add_nc_u64_e32 v[20:21], s[68:69], v[56:57]
	;; [unrolled: 1-line block ×3, first 2 shown]
	ds_load_b128 v[0:3], v101 offset:16
	v_add_nc_u64_e32 v[74:75], s[72:73], v[56:57]
	v_add_nc_u64_e32 v[82:83], s[74:75], v[56:57]
	;; [unrolled: 1-line block ×4, first 2 shown]
	s_wait_loadcnt_dscnt 0x202
	v_dual_mul_f32 v14, v63, v9 :: v_dual_mul_f32 v15, v63, v8
	v_dual_mul_f32 v10, v65, v9 :: v_dual_mul_f32 v11, v65, v8
	s_wait_loadcnt 0x1
	v_dual_mul_f32 v16, v61, v9 :: v_dual_mul_f32 v17, v61, v8
	s_wait_loadcnt 0x0
	v_dual_mul_f32 v18, v59, v9 :: v_dual_mul_f32 v19, v59, v8
	v_dual_fmac_f32 v10, v64, v8 :: v_dual_fma_f32 v11, v64, v9, -v11
	v_dual_fmac_f32 v14, v62, v8 :: v_dual_fma_f32 v15, v62, v9, -v15
	v_dual_fmac_f32 v16, v60, v8 :: v_dual_fma_f32 v17, v60, v9, -v17
	s_delay_alu instid0(VALU_DEP_4)
	v_dual_fmac_f32 v18, v58, v8 :: v_dual_fma_f32 v19, v58, v9, -v19
	v_add_nc_u64_e32 v[8:9], s[88:89], v[56:57]
	ds_store_2addr_b64 v102, v[10:11], v[14:15] offset1:67
	ds_store_2addr_b64 v102, v[16:17], v[18:19] offset0:134 offset1:201
	s_wait_dscnt 0x0
	s_barrier_signal -1
	s_barrier_wait -1
	ds_load_2addr_b64 v[24:27], v103 offset1:1
	ds_load_2addr_b64 v[114:117], v103 offset0:2 offset1:3
	s_wait_dscnt 0x0
	s_barrier_signal -1
	s_barrier_wait -1
	s_clause 0x3
	flat_load_b64 v[70:71], v[12:13]
	flat_load_b64 v[66:67], v[8:9]
	;; [unrolled: 1-line block ×4, first 2 shown]
	s_wait_xcnt 0x2
	ds_load_b64 v[8:9], v91
	ds_load_b128 v[12:15], v101 offset:128
	v_add_nc_u64_e32 v[16:17], s[86:87], v[56:57]
	v_add_nc_u64_e32 v[18:19], s[84:85], v[56:57]
	v_pk_add_f32 v[24:25], v[24:25], 0 op_sel_hi:[1,0]
	s_delay_alu instid0(VALU_DEP_1) | instskip(NEXT) | instid1(VALU_DEP_1)
	v_pk_add_f32 v[134:135], v[24:25], v[26:27]
	v_pk_add_f32 v[114:115], v[134:135], v[114:115]
	s_delay_alu instid0(VALU_DEP_1)
	v_pk_add_f32 v[114:115], v[114:115], v[116:117]
	s_wait_loadcnt_dscnt 0x301
	s_wait_xcnt 0x1
	v_dual_mul_f32 v20, v71, v9 :: v_dual_mul_f32 v10, v71, v8
	s_wait_loadcnt 0x2
	s_wait_xcnt 0x0
	v_dual_mul_f32 v22, v67, v9 :: v_dual_mul_f32 v11, v67, v8
	s_wait_loadcnt 0x1
	v_dual_mul_f32 v28, v73, v9 :: v_dual_mul_f32 v29, v73, v8
	s_wait_loadcnt 0x0
	v_dual_mul_f32 v30, v69, v9 :: v_dual_mul_f32 v31, v69, v8
	v_dual_fmac_f32 v20, v70, v8 :: v_dual_fma_f32 v21, v70, v9, -v10
	v_dual_fmac_f32 v22, v66, v8 :: v_dual_fma_f32 v23, v66, v9, -v11
	v_dual_fmac_f32 v28, v72, v8 :: v_dual_fma_f32 v29, v72, v9, -v29
	s_delay_alu instid0(VALU_DEP_4)
	v_dual_fmac_f32 v30, v68, v8 :: v_dual_fma_f32 v31, v68, v9, -v31
	ds_load_b128 v[8:11], v101 offset:144
	ds_store_2addr_b64 v102, v[20:21], v[22:23] offset1:67
	ds_store_2addr_b64 v102, v[28:29], v[30:31] offset0:134 offset1:201
	s_wait_dscnt 0x0
	s_barrier_signal -1
	s_barrier_wait -1
	ds_load_2addr_b64 v[28:31], v103 offset1:1
	ds_load_2addr_b64 v[118:121], v103 offset0:2 offset1:3
	s_wait_dscnt 0x0
	s_barrier_signal -1
	s_barrier_wait -1
	s_clause 0x3
	flat_load_b64 v[80:81], v[16:17]
	flat_load_b64 v[78:79], v[18:19]
	;; [unrolled: 1-line block ×4, first 2 shown]
	ds_load_b64 v[20:21], v91
	ds_load_b128 v[16:19], v101 offset:256
	v_pk_add_f32 v[24:25], v[28:29], 0 op_sel_hi:[1,0]
	s_delay_alu instid0(VALU_DEP_1) | instskip(NEXT) | instid1(VALU_DEP_1)
	v_pk_add_f32 v[136:137], v[24:25], v[30:31]
	v_pk_add_f32 v[116:117], v[136:137], v[118:119]
	s_delay_alu instid0(VALU_DEP_1)
	v_pk_add_f32 v[116:117], v[116:117], v[120:121]
	s_wait_loadcnt_dscnt 0x301
	s_wait_xcnt 0x0
	v_dual_mul_f32 v82, v81, v21 :: v_dual_mul_f32 v22, v81, v20
	s_wait_loadcnt 0x2
	v_dual_mul_f32 v84, v79, v21 :: v_dual_mul_f32 v23, v79, v20
	s_wait_loadcnt 0x1
	;; [unrolled: 2-line block ×3, first 2 shown]
	v_dual_mul_f32 v88, v75, v21 :: v_dual_mul_f32 v89, v75, v20
	v_dual_fmac_f32 v82, v80, v20 :: v_dual_fmac_f32 v84, v78, v20
	v_dual_fma_f32 v83, v80, v21, -v22 :: v_dual_fma_f32 v85, v78, v21, -v23
	v_dual_fmac_f32 v86, v76, v20 :: v_dual_fma_f32 v87, v76, v21, -v87
	s_delay_alu instid0(VALU_DEP_4)
	v_dual_fmac_f32 v88, v74, v20 :: v_dual_fma_f32 v89, v74, v21, -v89
	ds_load_b128 v[20:23], v101 offset:272
	ds_store_2addr_b64 v102, v[82:83], v[84:85] offset1:67
	ds_store_2addr_b64 v102, v[86:87], v[88:89] offset0:134 offset1:201
	s_wait_dscnt 0x0
	s_barrier_signal -1
	s_barrier_wait -1
	ds_load_2addr_b64 v[122:125], v103 offset1:1
	ds_load_2addr_b64 v[126:129], v103 offset0:2 offset1:3
	s_wait_dscnt 0x0
	s_barrier_signal -1
	s_barrier_wait -1
	s_clause 0x1
	flat_load_b64 v[88:89], v[130:131]
	flat_load_b64 v[86:87], v[132:133]
	v_add_nc_u64_e32 v[82:83], s[76:77], v[56:57]
	s_wait_xcnt 0x1
	v_add_nc_u64_e32 v[130:131], s[78:79], v[56:57]
	s_clause 0x1
	flat_load_b64 v[84:85], v[82:83]
	flat_load_b64 v[82:83], v[130:131]
	s_wait_xcnt 0x0
	ds_load_b64 v[130:131], v91
	ds_load_b128 v[24:27], v101 offset:384
	v_pk_add_f32 v[28:29], v[122:123], 0 op_sel_hi:[1,0]
	s_delay_alu instid0(VALU_DEP_1) | instskip(NEXT) | instid1(VALU_DEP_1)
	v_pk_add_f32 v[138:139], v[28:29], v[124:125]
	v_pk_add_f32 v[118:119], v[138:139], v[126:127]
	s_delay_alu instid0(VALU_DEP_1) | instskip(SKIP_3) | instid1(VALU_DEP_1)
	v_pk_add_f32 v[118:119], v[118:119], v[128:129]
	s_wait_loadcnt_dscnt 0x301
	v_dual_mul_f32 v31, v89, v130 :: v_dual_mul_f32 v28, v89, v131
	s_wait_loadcnt 0x2
	v_dual_mul_f32 v30, v87, v131 :: v_dual_fma_f32 v29, v88, v131, -v31
	s_delay_alu instid0(VALU_DEP_2) | instskip(SKIP_1) | instid1(VALU_DEP_2)
	v_dual_mul_f32 v31, v87, v130 :: v_dual_fmac_f32 v28, v88, v130
	s_wait_loadcnt 0x1
	v_dual_fmac_f32 v30, v86, v130 :: v_dual_mul_f32 v122, v85, v130
	s_delay_alu instid0(VALU_DEP_2) | instskip(SKIP_4) | instid1(VALU_DEP_2)
	v_fma_f32 v31, v86, v131, -v31
	ds_store_2addr_b64 v102, v[28:29], v[30:31] offset1:67
	s_wait_loadcnt 0x0
	v_dual_mul_f32 v28, v85, v131 :: v_dual_mul_f32 v30, v83, v131
	v_dual_fma_f32 v29, v84, v131, -v122 :: v_dual_mul_f32 v31, v83, v130
	v_dual_fmac_f32 v28, v84, v130 :: v_dual_fmac_f32 v30, v82, v130
	s_delay_alu instid0(VALU_DEP_2)
	v_fma_f32 v31, v82, v131, -v31
	ds_store_2addr_b64 v102, v[28:29], v[30:31] offset0:134 offset1:201
	ds_load_b128 v[28:31], v101 offset:400
	s_wait_dscnt 0x0
	s_barrier_signal -1
	s_barrier_wait -1
	ds_load_2addr_b64 v[122:125], v103 offset1:1
	ds_load_2addr_b64 v[130:133], v103 offset0:2 offset1:3
	s_wait_dscnt 0x0
	s_barrier_signal -1
	s_barrier_wait -1
	v_pk_add_f32 v[122:123], v[122:123], 0 op_sel_hi:[1,0]
	s_delay_alu instid0(VALU_DEP_1) | instskip(NEXT) | instid1(VALU_DEP_1)
	v_pk_add_f32 v[122:123], v[122:123], v[124:125]
	v_pk_add_f32 v[122:123], v[122:123], v[130:131]
	s_delay_alu instid0(VALU_DEP_1)
	v_pk_add_f32 v[120:121], v[122:123], v[132:133]
	ds_store_2addr_b64 v112, v[114:115], v[116:117] offset1:16
	ds_store_2addr_b64 v112, v[118:119], v[120:121] offset0:32 offset1:48
	s_wait_dscnt 0x0
	s_barrier_signal -1
	s_barrier_wait -1
	s_and_saveexec_b32 s101, s22
	s_cbranch_execz .LBB46_107
; %bb.111:                              ;   in Loop: Header=BB46_108 Depth=2
	ds_load_b64 v[126:127], v104
	ds_load_2addr_b64 v[114:117], v104 offset0:1 offset1:2
	ds_load_2addr_b64 v[118:121], v104 offset0:3 offset1:4
	;; [unrolled: 1-line block ×3, first 2 shown]
	s_wait_dscnt 0x2
	v_dual_add_f32 v114, v114, v126 :: v_dual_add_f32 v115, v115, v127
	s_delay_alu instid0(VALU_DEP_1) | instskip(SKIP_3) | instid1(VALU_DEP_1)
	v_dual_add_f32 v126, v116, v114 :: v_dual_add_f32 v127, v117, v115
	ds_load_2addr_b64 v[114:117], v104 offset0:7 offset1:8
	s_wait_dscnt 0x2
	v_dual_add_f32 v118, v126, v118 :: v_dual_add_f32 v119, v127, v119
	v_dual_add_f32 v126, v118, v120 :: v_dual_add_f32 v127, v119, v121
	ds_load_2addr_b64 v[118:121], v104 offset0:9 offset1:10
	s_wait_dscnt 0x2
	v_pk_add_f32 v[122:123], v[126:127], v[122:123]
	s_delay_alu instid0(VALU_DEP_1) | instskip(SKIP_3) | instid1(VALU_DEP_1)
	v_pk_add_f32 v[126:127], v[122:123], v[124:125]
	ds_load_2addr_b64 v[122:125], v104 offset0:11 offset1:12
	s_wait_dscnt 0x2
	v_pk_add_f32 v[114:115], v[126:127], v[114:115]
	v_pk_add_f32 v[114:115], v[114:115], v[116:117]
	s_wait_dscnt 0x1
	s_delay_alu instid0(VALU_DEP_1)
	v_pk_add_f32 v[118:119], v[114:115], v[118:119]
	ds_load_2addr_b64 v[114:117], v104 offset0:13 offset1:14
	v_pk_add_f32 v[118:119], v[118:119], v[120:121]
	ds_load_b64 v[120:121], v105
	s_wait_dscnt 0x2
	v_pk_add_f32 v[118:119], v[118:119], v[122:123]
	s_delay_alu instid0(VALU_DEP_1) | instskip(SKIP_1) | instid1(VALU_DEP_1)
	v_pk_add_f32 v[118:119], v[118:119], v[124:125]
	s_wait_dscnt 0x1
	v_pk_add_f32 v[114:115], v[118:119], v[114:115]
	s_delay_alu instid0(VALU_DEP_1) | instskip(SKIP_1) | instid1(VALU_DEP_1)
	v_pk_add_f32 v[114:115], v[114:115], v[116:117]
	s_wait_dscnt 0x0
	v_pk_add_f32 v[114:115], v[114:115], v[120:121]
	global_store_b64 v113, v[114:115], s[98:99] scale_offset
	s_branch .LBB46_107
.LBB46_112:                             ;   in Loop: Header=BB46_4 Depth=1
	ds_store_b64 v106, v[52:53]
	s_wait_dscnt 0x0
	s_barrier_signal -1
	s_barrier_wait -1
	s_and_saveexec_b32 s100, s17
	s_cbranch_execz .LBB46_2
; %bb.113:                              ;   in Loop: Header=BB46_4 Depth=1
	ds_load_2addr_b64 v[0:3], v90 offset1:67
	ds_load_2addr_b64 v[4:7], v90 offset0:134 offset1:201
	s_wait_dscnt 0x1
	v_pk_add_f32 v[0:1], v[2:3], v[0:1]
	v_lshl_add_u64 v[2:3], v[36:37], 3, s[98:99]
	s_wait_dscnt 0x0
	s_delay_alu instid0(VALU_DEP_2) | instskip(NEXT) | instid1(VALU_DEP_1)
	v_pk_add_f32 v[0:1], v[4:5], v[0:1]
	v_pk_add_f32 v[0:1], v[0:1], v[6:7]
	global_store_b64 v[2:3], v[0:1], off
	s_branch .LBB46_2
.LBB46_114:
	s_sendmsg sendmsg(MSG_DEALLOC_VGPRS)
	s_endpgm
	.section	.rodata,"a",@progbits
	.p2align	6, 0x0
	.amdhsa_kernel _ZL26rocblas_hemvn_kernel_lowerILb1ELi64ELi4ELi33ELi32ELi16Ei19rocblas_complex_numIfEPKPKS1_PS1_EviT6_lT7_lT5_lS8_lS9_lS7_lT8_i
		.amdhsa_group_segment_fixed_size 9600
		.amdhsa_private_segment_fixed_size 0
		.amdhsa_kernarg_size 376
		.amdhsa_user_sgpr_count 2
		.amdhsa_user_sgpr_dispatch_ptr 0
		.amdhsa_user_sgpr_queue_ptr 0
		.amdhsa_user_sgpr_kernarg_segment_ptr 1
		.amdhsa_user_sgpr_dispatch_id 0
		.amdhsa_user_sgpr_kernarg_preload_length 0
		.amdhsa_user_sgpr_kernarg_preload_offset 0
		.amdhsa_user_sgpr_private_segment_size 0
		.amdhsa_wavefront_size32 1
		.amdhsa_uses_dynamic_stack 0
		.amdhsa_enable_private_segment 0
		.amdhsa_system_sgpr_workgroup_id_x 1
		.amdhsa_system_sgpr_workgroup_id_y 0
		.amdhsa_system_sgpr_workgroup_id_z 1
		.amdhsa_system_sgpr_workgroup_info 0
		.amdhsa_system_vgpr_workitem_id 1
		.amdhsa_next_free_vgpr 141
		.amdhsa_next_free_sgpr 105
		.amdhsa_named_barrier_count 0
		.amdhsa_reserve_vcc 1
		.amdhsa_float_round_mode_32 0
		.amdhsa_float_round_mode_16_64 0
		.amdhsa_float_denorm_mode_32 3
		.amdhsa_float_denorm_mode_16_64 3
		.amdhsa_fp16_overflow 0
		.amdhsa_memory_ordered 1
		.amdhsa_forward_progress 1
		.amdhsa_inst_pref_size 62
		.amdhsa_round_robin_scheduling 0
		.amdhsa_exception_fp_ieee_invalid_op 0
		.amdhsa_exception_fp_denorm_src 0
		.amdhsa_exception_fp_ieee_div_zero 0
		.amdhsa_exception_fp_ieee_overflow 0
		.amdhsa_exception_fp_ieee_underflow 0
		.amdhsa_exception_fp_ieee_inexact 0
		.amdhsa_exception_int_div_zero 0
	.end_amdhsa_kernel
	.section	.text._ZL26rocblas_hemvn_kernel_lowerILb1ELi64ELi4ELi33ELi32ELi16Ei19rocblas_complex_numIfEPKPKS1_PS1_EviT6_lT7_lT5_lS8_lS9_lS7_lT8_i,"axG",@progbits,_ZL26rocblas_hemvn_kernel_lowerILb1ELi64ELi4ELi33ELi32ELi16Ei19rocblas_complex_numIfEPKPKS1_PS1_EviT6_lT7_lT5_lS8_lS9_lS7_lT8_i,comdat
.Lfunc_end46:
	.size	_ZL26rocblas_hemvn_kernel_lowerILb1ELi64ELi4ELi33ELi32ELi16Ei19rocblas_complex_numIfEPKPKS1_PS1_EviT6_lT7_lT5_lS8_lS9_lS7_lT8_i, .Lfunc_end46-_ZL26rocblas_hemvn_kernel_lowerILb1ELi64ELi4ELi33ELi32ELi16Ei19rocblas_complex_numIfEPKPKS1_PS1_EviT6_lT7_lT5_lS8_lS9_lS7_lT8_i
                                        ; -- End function
	.set _ZL26rocblas_hemvn_kernel_lowerILb1ELi64ELi4ELi33ELi32ELi16Ei19rocblas_complex_numIfEPKPKS1_PS1_EviT6_lT7_lT5_lS8_lS9_lS7_lT8_i.num_vgpr, 141
	.set _ZL26rocblas_hemvn_kernel_lowerILb1ELi64ELi4ELi33ELi32ELi16Ei19rocblas_complex_numIfEPKPKS1_PS1_EviT6_lT7_lT5_lS8_lS9_lS7_lT8_i.num_agpr, 0
	.set _ZL26rocblas_hemvn_kernel_lowerILb1ELi64ELi4ELi33ELi32ELi16Ei19rocblas_complex_numIfEPKPKS1_PS1_EviT6_lT7_lT5_lS8_lS9_lS7_lT8_i.numbered_sgpr, 105
	.set _ZL26rocblas_hemvn_kernel_lowerILb1ELi64ELi4ELi33ELi32ELi16Ei19rocblas_complex_numIfEPKPKS1_PS1_EviT6_lT7_lT5_lS8_lS9_lS7_lT8_i.num_named_barrier, 0
	.set _ZL26rocblas_hemvn_kernel_lowerILb1ELi64ELi4ELi33ELi32ELi16Ei19rocblas_complex_numIfEPKPKS1_PS1_EviT6_lT7_lT5_lS8_lS9_lS7_lT8_i.private_seg_size, 0
	.set _ZL26rocblas_hemvn_kernel_lowerILb1ELi64ELi4ELi33ELi32ELi16Ei19rocblas_complex_numIfEPKPKS1_PS1_EviT6_lT7_lT5_lS8_lS9_lS7_lT8_i.uses_vcc, 1
	.set _ZL26rocblas_hemvn_kernel_lowerILb1ELi64ELi4ELi33ELi32ELi16Ei19rocblas_complex_numIfEPKPKS1_PS1_EviT6_lT7_lT5_lS8_lS9_lS7_lT8_i.uses_flat_scratch, 1
	.set _ZL26rocblas_hemvn_kernel_lowerILb1ELi64ELi4ELi33ELi32ELi16Ei19rocblas_complex_numIfEPKPKS1_PS1_EviT6_lT7_lT5_lS8_lS9_lS7_lT8_i.has_dyn_sized_stack, 0
	.set _ZL26rocblas_hemvn_kernel_lowerILb1ELi64ELi4ELi33ELi32ELi16Ei19rocblas_complex_numIfEPKPKS1_PS1_EviT6_lT7_lT5_lS8_lS9_lS7_lT8_i.has_recursion, 0
	.set _ZL26rocblas_hemvn_kernel_lowerILb1ELi64ELi4ELi33ELi32ELi16Ei19rocblas_complex_numIfEPKPKS1_PS1_EviT6_lT7_lT5_lS8_lS9_lS7_lT8_i.has_indirect_call, 0
	.section	.AMDGPU.csdata,"",@progbits
; Kernel info:
; codeLenInByte = 7840
; TotalNumSgprs: 107
; NumVgprs: 141
; ScratchSize: 0
; MemoryBound: 1
; FloatMode: 240
; IeeeMode: 1
; LDSByteSize: 9600 bytes/workgroup (compile time only)
; SGPRBlocks: 0
; VGPRBlocks: 8
; NumSGPRsForWavesPerEU: 107
; NumVGPRsForWavesPerEU: 141
; NamedBarCnt: 0
; Occupancy: 7
; WaveLimiterHint : 1
; COMPUTE_PGM_RSRC2:SCRATCH_EN: 0
; COMPUTE_PGM_RSRC2:USER_SGPR: 2
; COMPUTE_PGM_RSRC2:TRAP_HANDLER: 0
; COMPUTE_PGM_RSRC2:TGID_X_EN: 1
; COMPUTE_PGM_RSRC2:TGID_Y_EN: 0
; COMPUTE_PGM_RSRC2:TGID_Z_EN: 1
; COMPUTE_PGM_RSRC2:TIDIG_COMP_CNT: 1
	.section	.text._ZL36rocblas_hemvn_kernel_lower_block_sumILi64Ei19rocblas_complex_numIfEPKPS1_S1_EviT1_lS5_lT2_lT0_lPT3_i,"axG",@progbits,_ZL36rocblas_hemvn_kernel_lower_block_sumILi64Ei19rocblas_complex_numIfEPKPS1_S1_EviT1_lS5_lT2_lT0_lPT3_i,comdat
	.globl	_ZL36rocblas_hemvn_kernel_lower_block_sumILi64Ei19rocblas_complex_numIfEPKPS1_S1_EviT1_lS5_lT2_lT0_lPT3_i ; -- Begin function _ZL36rocblas_hemvn_kernel_lower_block_sumILi64Ei19rocblas_complex_numIfEPKPS1_S1_EviT1_lS5_lT2_lT0_lPT3_i
	.p2align	8
	.type	_ZL36rocblas_hemvn_kernel_lower_block_sumILi64Ei19rocblas_complex_numIfEPKPS1_S1_EviT1_lS5_lT2_lT0_lPT3_i,@function
_ZL36rocblas_hemvn_kernel_lower_block_sumILi64Ei19rocblas_complex_numIfEPKPS1_S1_EviT1_lS5_lT2_lT0_lPT3_i: ; @_ZL36rocblas_hemvn_kernel_lower_block_sumILi64Ei19rocblas_complex_numIfEPKPS1_S1_EviT1_lS5_lT2_lT0_lPT3_i
; %bb.0:
	s_load_b32 s24, s[0:1], 0x50
	s_bfe_u32 s2, ttmp6, 0x40014
	s_lshr_b32 s3, ttmp7, 16
	s_add_co_i32 s2, s2, 1
	s_bfe_u32 s5, ttmp6, 0x40008
	s_mul_i32 s2, s3, s2
	s_getreg_b32 s4, hwreg(HW_REG_IB_STS2, 6, 4)
	s_add_co_i32 s5, s5, s2
	s_cmp_eq_u32 s4, 0
	s_cselect_b32 s2, s3, s5
	s_mov_b32 s3, 0
	s_wait_kmcnt 0x0
	s_cmp_ge_u32 s2, s24
	s_cbranch_scc1 .LBB47_21
; %bb.1:
	s_clause 0x3
	s_load_b64 s[8:9], s[0:1], 0x4
	s_load_b64 s[10:11], s[0:1], 0x18
	s_load_b32 s18, s[0:1], 0x0
	s_load_b32 s23, s[0:1], 0x38
	s_add_nc_u64 s[12:13], s[0:1], 0x58
	s_wait_kmcnt 0x0
	s_or_b32 s5, s8, s9
	s_mov_b32 s14, s9
	s_bitset0_b32 s5, 31
	s_mov_b32 s15, s8
	s_cmp_eq_u32 s5, 0
	s_mov_b32 s16, s11
	s_cselect_b32 s25, -1, 0
	s_cmp_lg_u32 s5, 0
	s_cselect_b32 s17, -1, 0
	s_cmp_neq_f32 s10, 1.0
	s_cselect_b32 s19, -1, 0
	s_cmp_neq_f32 s11, 0
	s_cselect_b32 s22, -1, 0
	s_bfe_u32 s5, ttmp6, 0x4000c
	s_and_b32 s6, ttmp6, 15
	s_add_co_i32 s5, s5, 1
	s_delay_alu instid0(SALU_CYCLE_1) | instskip(NEXT) | instid1(SALU_CYCLE_1)
	s_mul_i32 s5, ttmp9, s5
	s_add_co_i32 s6, s6, s5
	s_cmp_eq_u32 s4, 0
	s_cselect_b32 s26, ttmp9, s6
	s_clause 0x1
	s_load_b64 s[20:21], s[0:1], 0x48
	s_load_b128 s[4:7], s[0:1], 0x28
	v_lshl_or_b32 v1, s26, 6, v0
	s_cmp_neq_f32 s10, 0
	s_delay_alu instid0(VALU_DEP_1)
	v_mad_u32 v2, s18, s26, v1
	v_mul_lo_u32 v0, s23, v1
	s_wait_xcnt 0x0
	s_cselect_b32 s0, -1, 0
	s_or_b32 s1, s19, s22
	s_ashr_i32 s19, s18, 31
	s_or_b32 s1, s1, s17
	s_or_b32 s17, s0, s22
	v_cmp_gt_i32_e64 s0, s18, v1
	v_cndmask_b32_e64 v10, 0, 1, s17
	s_xor_b32 s27, s17, -1
	s_mov_b32 s17, s10
	v_dual_ashrrev_i32 v3, 31, v2 :: v_dual_ashrrev_i32 v1, 31, v0
	s_lshl_b64 s[18:19], s[18:19], 3
	s_wait_kmcnt 0x0
	s_lshl_b64 s[6:7], s[6:7], 3
	s_delay_alu instid0(VALU_DEP_1)
	v_lshl_add_u64 v[2:3], v[2:3], 3, s[20:21]
	s_branch .LBB47_5
.LBB47_2:                               ;   in Loop: Header=BB47_5 Depth=1
	flat_store_b64 v[6:7], v[8:9]
.LBB47_3:                               ;   in Loop: Header=BB47_5 Depth=1
	s_wait_xcnt 0x0
	s_or_b32 exec_lo, exec_lo, s28
.LBB47_4:                               ;   in Loop: Header=BB47_5 Depth=1
	s_add_co_i32 s2, s2, 0x10000
	s_delay_alu instid0(SALU_CYCLE_1)
	s_cmp_lt_u32 s2, s24
	s_cbranch_scc0 .LBB47_21
.LBB47_5:                               ; =>This Loop Header: Depth=1
                                        ;     Child Loop BB47_16 Depth 2
	s_and_not1_b32 vcc_lo, exec_lo, s1
	s_cbranch_vccnz .LBB47_4
; %bb.6:                                ;   in Loop: Header=BB47_5 Depth=1
	s_lshl_b64 s[20:21], s[2:3], 3
	s_and_not1_b32 vcc_lo, exec_lo, s25
	s_add_nc_u64 s[20:21], s[4:5], s[20:21]
	s_mov_b32 s22, -1
	s_load_b64 s[20:21], s[20:21], 0x0
	s_wait_kmcnt 0x0
	s_wait_xcnt 0x0
	s_add_nc_u64 s[20:21], s[20:21], s[6:7]
	s_cbranch_vccnz .LBB47_12
; %bb.7:                                ;   in Loop: Header=BB47_5 Depth=1
	s_and_saveexec_b32 s22, s0
	s_cbranch_execz .LBB47_11
; %bb.8:                                ;   in Loop: Header=BB47_5 Depth=1
	v_cmp_ne_u32_e32 vcc_lo, 1, v10
	v_dual_mov_b32 v4, 0 :: v_dual_mov_b32 v5, 0
	s_cbranch_vccnz .LBB47_10
; %bb.9:                                ;   in Loop: Header=BB47_5 Depth=1
	v_lshl_add_u64 v[4:5], v[0:1], 3, s[20:21]
	v_mov_b64_e32 v[6:7], s[16:17]
	v_mov_b64_e32 v[8:9], s[10:11]
	flat_load_b64 v[4:5], v[4:5]
	s_wait_loadcnt_dscnt 0x0
	v_pk_mul_f32 v[6:7], v[4:5], v[6:7] op_sel:[1,0]
	s_delay_alu instid0(VALU_DEP_1) | instskip(SKIP_2) | instid1(VALU_DEP_2)
	v_pk_fma_f32 v[12:13], v[4:5], v[8:9], v[6:7] op_sel_hi:[0,1,1]
	s_wait_xcnt 0x0
	v_pk_fma_f32 v[4:5], v[4:5], v[8:9], v[6:7] neg_lo:[0,0,1] neg_hi:[0,0,1]
	v_mov_b32_e32 v5, v13
.LBB47_10:                              ;   in Loop: Header=BB47_5 Depth=1
	v_lshl_add_u64 v[6:7], v[0:1], 3, s[20:21]
	flat_store_b64 v[6:7], v[4:5]
.LBB47_11:                              ;   in Loop: Header=BB47_5 Depth=1
	s_wait_xcnt 0x0
	s_or_b32 exec_lo, exec_lo, s22
	s_mov_b32 s22, 0
.LBB47_12:                              ;   in Loop: Header=BB47_5 Depth=1
	s_delay_alu instid0(SALU_CYCLE_1)
	s_and_not1_b32 vcc_lo, exec_lo, s22
	s_cbranch_vccnz .LBB47_4
; %bb.13:                               ;   in Loop: Header=BB47_5 Depth=1
	s_and_saveexec_b32 s28, s0
	s_cbranch_execz .LBB47_3
; %bb.14:                               ;   in Loop: Header=BB47_5 Depth=1
	s_load_b32 s22, s[12:13], 0x0
	v_mov_b32_e32 v5, 0
	s_delay_alu instid0(VALU_DEP_1)
	v_mov_b32_e32 v4, v5
	s_wait_kmcnt 0x0
	s_cmp_ge_i32 s26, s22
	s_cbranch_scc1 .LBB47_17
; %bb.15:                               ;   in Loop: Header=BB47_5 Depth=1
	s_mov_b32 s23, s3
	v_mov_b32_e32 v4, 0
	s_mul_u64 s[30:31], s[18:19], s[22:23]
	s_mov_b32 s23, s26
	v_mad_nc_u64_u32 v[6:7], s30, s2, v[2:3]
	s_delay_alu instid0(VALU_DEP_2) | instskip(NEXT) | instid1(VALU_DEP_2)
	v_mov_b32_e32 v5, v4
	v_mad_u32 v7, s31, s2, v7
.LBB47_16:                              ;   Parent Loop BB47_5 Depth=1
                                        ; =>  This Inner Loop Header: Depth=2
	global_load_b64 v[8:9], v[6:7], off
	s_wait_xcnt 0x0
	v_add_nc_u64_e32 v[6:7], s[18:19], v[6:7]
	s_add_co_i32 s23, s23, 1
	s_delay_alu instid0(SALU_CYCLE_1)
	s_cmp_ge_i32 s23, s22
	s_wait_loadcnt 0x0
	v_pk_add_f32 v[4:5], v[4:5], v[8:9]
	s_cbranch_scc0 .LBB47_16
.LBB47_17:                              ;   in Loop: Header=BB47_5 Depth=1
	s_and_b32 vcc_lo, exec_lo, s27
	s_mov_b32 s22, -1
                                        ; implicit-def: $vgpr9
	s_cbranch_vccz .LBB47_19
; %bb.18:                               ;   in Loop: Header=BB47_5 Depth=1
	v_mov_b64_e32 v[6:7], s[14:15]
	v_mov_b64_e32 v[8:9], s[8:9]
	s_mov_b32 s22, 0
	s_delay_alu instid0(VALU_DEP_2) | instskip(NEXT) | instid1(VALU_DEP_2)
	v_pk_mul_f32 v[6:7], v[4:5], v[6:7] op_sel:[1,0]
	v_pk_mul_f32 v[12:13], v[4:5], v[8:9] op_sel_hi:[0,1]
	s_delay_alu instid0(VALU_DEP_2) | instskip(NEXT) | instid1(VALU_DEP_2)
	v_pk_fma_f32 v[8:9], v[4:5], v[8:9], v[6:7] op_sel_hi:[0,1,1]
	v_sub_f32_e32 v8, v12, v6
.LBB47_19:                              ;   in Loop: Header=BB47_5 Depth=1
	v_lshl_add_u64 v[6:7], v[0:1], 3, s[20:21]
	s_and_not1_b32 vcc_lo, exec_lo, s22
	s_cbranch_vccnz .LBB47_2
; %bb.20:                               ;   in Loop: Header=BB47_5 Depth=1
	flat_load_b64 v[8:9], v[6:7]
	v_mov_b64_e32 v[12:13], s[16:17]
	v_mov_b64_e32 v[14:15], s[14:15]
	;; [unrolled: 1-line block ×4, first 2 shown]
	s_delay_alu instid0(VALU_DEP_3) | instskip(NEXT) | instid1(VALU_DEP_1)
	v_pk_mul_f32 v[14:15], v[4:5], v[14:15] op_sel:[1,0]
	v_pk_fma_f32 v[22:23], v[4:5], v[18:19], v[14:15] op_sel_hi:[0,1,1]
	v_pk_fma_f32 v[4:5], v[4:5], v[18:19], v[14:15] neg_lo:[0,0,1] neg_hi:[0,0,1]
	s_delay_alu instid0(VALU_DEP_2) | instskip(SKIP_2) | instid1(VALU_DEP_1)
	v_mov_b32_e32 v5, v23
	s_wait_loadcnt_dscnt 0x0
	v_pk_mul_f32 v[12:13], v[8:9], v[12:13] op_sel:[1,0]
	v_pk_fma_f32 v[20:21], v[8:9], v[16:17], v[12:13] op_sel_hi:[0,1,1]
	v_pk_fma_f32 v[8:9], v[8:9], v[16:17], v[12:13] neg_lo:[0,0,1] neg_hi:[0,0,1]
	s_delay_alu instid0(VALU_DEP_2) | instskip(NEXT) | instid1(VALU_DEP_1)
	v_mov_b32_e32 v9, v21
	v_pk_add_f32 v[8:9], v[4:5], v[8:9]
	s_branch .LBB47_2
.LBB47_21:
	s_endpgm
	.section	.rodata,"a",@progbits
	.p2align	6, 0x0
	.amdhsa_kernel _ZL36rocblas_hemvn_kernel_lower_block_sumILi64Ei19rocblas_complex_numIfEPKPS1_S1_EviT1_lS5_lT2_lT0_lPT3_i
		.amdhsa_group_segment_fixed_size 0
		.amdhsa_private_segment_fixed_size 0
		.amdhsa_kernarg_size 344
		.amdhsa_user_sgpr_count 2
		.amdhsa_user_sgpr_dispatch_ptr 0
		.amdhsa_user_sgpr_queue_ptr 0
		.amdhsa_user_sgpr_kernarg_segment_ptr 1
		.amdhsa_user_sgpr_dispatch_id 0
		.amdhsa_user_sgpr_kernarg_preload_length 0
		.amdhsa_user_sgpr_kernarg_preload_offset 0
		.amdhsa_user_sgpr_private_segment_size 0
		.amdhsa_wavefront_size32 1
		.amdhsa_uses_dynamic_stack 0
		.amdhsa_enable_private_segment 0
		.amdhsa_system_sgpr_workgroup_id_x 1
		.amdhsa_system_sgpr_workgroup_id_y 0
		.amdhsa_system_sgpr_workgroup_id_z 1
		.amdhsa_system_sgpr_workgroup_info 0
		.amdhsa_system_vgpr_workitem_id 0
		.amdhsa_next_free_vgpr 24
		.amdhsa_next_free_sgpr 32
		.amdhsa_named_barrier_count 0
		.amdhsa_reserve_vcc 1
		.amdhsa_float_round_mode_32 0
		.amdhsa_float_round_mode_16_64 0
		.amdhsa_float_denorm_mode_32 3
		.amdhsa_float_denorm_mode_16_64 3
		.amdhsa_fp16_overflow 0
		.amdhsa_memory_ordered 1
		.amdhsa_forward_progress 1
		.amdhsa_inst_pref_size 7
		.amdhsa_round_robin_scheduling 0
		.amdhsa_exception_fp_ieee_invalid_op 0
		.amdhsa_exception_fp_denorm_src 0
		.amdhsa_exception_fp_ieee_div_zero 0
		.amdhsa_exception_fp_ieee_overflow 0
		.amdhsa_exception_fp_ieee_underflow 0
		.amdhsa_exception_fp_ieee_inexact 0
		.amdhsa_exception_int_div_zero 0
	.end_amdhsa_kernel
	.section	.text._ZL36rocblas_hemvn_kernel_lower_block_sumILi64Ei19rocblas_complex_numIfEPKPS1_S1_EviT1_lS5_lT2_lT0_lPT3_i,"axG",@progbits,_ZL36rocblas_hemvn_kernel_lower_block_sumILi64Ei19rocblas_complex_numIfEPKPS1_S1_EviT1_lS5_lT2_lT0_lPT3_i,comdat
.Lfunc_end47:
	.size	_ZL36rocblas_hemvn_kernel_lower_block_sumILi64Ei19rocblas_complex_numIfEPKPS1_S1_EviT1_lS5_lT2_lT0_lPT3_i, .Lfunc_end47-_ZL36rocblas_hemvn_kernel_lower_block_sumILi64Ei19rocblas_complex_numIfEPKPS1_S1_EviT1_lS5_lT2_lT0_lPT3_i
                                        ; -- End function
	.set _ZL36rocblas_hemvn_kernel_lower_block_sumILi64Ei19rocblas_complex_numIfEPKPS1_S1_EviT1_lS5_lT2_lT0_lPT3_i.num_vgpr, 24
	.set _ZL36rocblas_hemvn_kernel_lower_block_sumILi64Ei19rocblas_complex_numIfEPKPS1_S1_EviT1_lS5_lT2_lT0_lPT3_i.num_agpr, 0
	.set _ZL36rocblas_hemvn_kernel_lower_block_sumILi64Ei19rocblas_complex_numIfEPKPS1_S1_EviT1_lS5_lT2_lT0_lPT3_i.numbered_sgpr, 32
	.set _ZL36rocblas_hemvn_kernel_lower_block_sumILi64Ei19rocblas_complex_numIfEPKPS1_S1_EviT1_lS5_lT2_lT0_lPT3_i.num_named_barrier, 0
	.set _ZL36rocblas_hemvn_kernel_lower_block_sumILi64Ei19rocblas_complex_numIfEPKPS1_S1_EviT1_lS5_lT2_lT0_lPT3_i.private_seg_size, 0
	.set _ZL36rocblas_hemvn_kernel_lower_block_sumILi64Ei19rocblas_complex_numIfEPKPS1_S1_EviT1_lS5_lT2_lT0_lPT3_i.uses_vcc, 1
	.set _ZL36rocblas_hemvn_kernel_lower_block_sumILi64Ei19rocblas_complex_numIfEPKPS1_S1_EviT1_lS5_lT2_lT0_lPT3_i.uses_flat_scratch, 0
	.set _ZL36rocblas_hemvn_kernel_lower_block_sumILi64Ei19rocblas_complex_numIfEPKPS1_S1_EviT1_lS5_lT2_lT0_lPT3_i.has_dyn_sized_stack, 0
	.set _ZL36rocblas_hemvn_kernel_lower_block_sumILi64Ei19rocblas_complex_numIfEPKPS1_S1_EviT1_lS5_lT2_lT0_lPT3_i.has_recursion, 0
	.set _ZL36rocblas_hemvn_kernel_lower_block_sumILi64Ei19rocblas_complex_numIfEPKPS1_S1_EviT1_lS5_lT2_lT0_lPT3_i.has_indirect_call, 0
	.section	.AMDGPU.csdata,"",@progbits
; Kernel info:
; codeLenInByte = 888
; TotalNumSgprs: 34
; NumVgprs: 24
; ScratchSize: 0
; MemoryBound: 0
; FloatMode: 240
; IeeeMode: 1
; LDSByteSize: 0 bytes/workgroup (compile time only)
; SGPRBlocks: 0
; VGPRBlocks: 1
; NumSGPRsForWavesPerEU: 34
; NumVGPRsForWavesPerEU: 24
; NamedBarCnt: 0
; Occupancy: 16
; WaveLimiterHint : 1
; COMPUTE_PGM_RSRC2:SCRATCH_EN: 0
; COMPUTE_PGM_RSRC2:USER_SGPR: 2
; COMPUTE_PGM_RSRC2:TRAP_HANDLER: 0
; COMPUTE_PGM_RSRC2:TGID_X_EN: 1
; COMPUTE_PGM_RSRC2:TGID_Y_EN: 0
; COMPUTE_PGM_RSRC2:TGID_Z_EN: 1
; COMPUTE_PGM_RSRC2:TIDIG_COMP_CNT: 0
	.section	.text._ZL26rocblas_hemvn_kernel_upperILb1ELi64ELi4ELi33ELi32ELi16ElPK19rocblas_complex_numIdEPKS3_PS1_EviT6_lT7_lT5_lS8_lS9_lS7_lT8_i,"axG",@progbits,_ZL26rocblas_hemvn_kernel_upperILb1ELi64ELi4ELi33ELi32ELi16ElPK19rocblas_complex_numIdEPKS3_PS1_EviT6_lT7_lT5_lS8_lS9_lS7_lT8_i,comdat
	.globl	_ZL26rocblas_hemvn_kernel_upperILb1ELi64ELi4ELi33ELi32ELi16ElPK19rocblas_complex_numIdEPKS3_PS1_EviT6_lT7_lT5_lS8_lS9_lS7_lT8_i ; -- Begin function _ZL26rocblas_hemvn_kernel_upperILb1ELi64ELi4ELi33ELi32ELi16ElPK19rocblas_complex_numIdEPKS3_PS1_EviT6_lT7_lT5_lS8_lS9_lS7_lT8_i
	.p2align	8
	.type	_ZL26rocblas_hemvn_kernel_upperILb1ELi64ELi4ELi33ELi32ELi16ElPK19rocblas_complex_numIdEPKS3_PS1_EviT6_lT7_lT5_lS8_lS9_lS7_lT8_i,@function
_ZL26rocblas_hemvn_kernel_upperILb1ELi64ELi4ELi33ELi32ELi16ElPK19rocblas_complex_numIdEPKS3_PS1_EviT6_lT7_lT5_lS8_lS9_lS7_lT8_i: ; @_ZL26rocblas_hemvn_kernel_upperILb1ELi64ELi4ELi33ELi32ELi16ElPK19rocblas_complex_numIdEPKS3_PS1_EviT6_lT7_lT5_lS8_lS9_lS7_lT8_i
; %bb.0:
	s_clause 0x1
	s_load_b64 s[2:3], s[0:1], 0x84
	s_load_b32 s33, s[0:1], 0x70
	s_bfe_u32 s4, ttmp6, 0x40014
	s_lshr_b32 s5, ttmp7, 16
	s_add_co_i32 s4, s4, 1
	s_bfe_u32 s7, ttmp6, 0x40008
	s_mul_i32 s4, s5, s4
	s_getreg_b32 s6, hwreg(HW_REG_IB_STS2, 6, 4)
	s_add_co_i32 s7, s7, s4
	s_mov_b32 s35, 0
	s_wait_kmcnt 0x0
	s_lshr_b32 s4, s2, 16
	s_and_b32 s2, s2, 0xffff
	s_and_b32 s3, s3, 0xffff
	s_mul_i32 s2, s4, s2
	s_cmp_eq_u32 s6, 0
	s_mul_i32 s2, s2, s3
	s_cselect_b32 s34, s5, s7
	s_cmp_lg_u32 s2, 0x100
	s_cselect_b32 s2, -1, 0
	s_cmp_ge_u32 s34, s33
	s_cselect_b32 s3, -1, 0
	s_delay_alu instid0(SALU_CYCLE_1) | instskip(NEXT) | instid1(SALU_CYCLE_1)
	s_or_b32 s2, s2, s3
	s_and_b32 vcc_lo, exec_lo, s2
	s_cbranch_vccnz .LBB48_188
; %bb.1:
	s_load_b32 s2, s[0:1], 0x0
	s_add_nc_u64 s[8:9], s[0:1], 0x78
	s_clause 0x2
	s_load_b256 s[24:31], s[0:1], 0x8
	s_load_b64 s[22:23], s[0:1], 0x28
	s_load_b128 s[36:39], s[0:1], 0x38
	s_load_b32 s44, s[8:9], 0x0
	s_clause 0x2
	s_load_b64 s[4:5], s[0:1], 0x68
	s_load_b64 s[46:47], s[0:1], 0x48
	s_load_b128 s[40:43], s[0:1], 0x58
	s_wait_xcnt 0x0
	s_bfe_u32 s1, ttmp6, 0x4000c
	s_set_vgpr_msb 64                       ;  msbs: dst=1 src0=0 src1=0 src2=0
	v_and_b32_e32 v6 /*v262*/, 0x3ff, v0
	s_set_vgpr_msb 0                        ;  msbs: dst=0 src0=0 src1=0 src2=0
	v_bfe_u32 v1, v0, 10, 10
	v_dual_mov_b32 v2, 0 :: v_dual_bitop2_b32 v4, 31, v0 bitop3:0x40
	s_add_co_i32 s1, s1, 1
	s_and_b32 s0, ttmp6, 15
	s_mul_i32 s1, ttmp9, s1
	s_delay_alu instid0(VALU_DEP_1)
	v_dual_mov_b32 v5, v2 :: v_dual_lshlrev_b32 v6, 6, v1
	s_add_co_i32 s0, s0, s1
	s_set_vgpr_msb 4                        ;  msbs: dst=0 src0=0 src1=1 src2=0
	v_dual_mov_b32 v7, v2 :: v_dual_lshlrev_b32 v188, 4, v6 /*v262*/
	s_set_vgpr_msb 64                       ;  msbs: dst=1 src0=0 src1=0 src2=0
	v_add_nc_u32_e32 v10 /*v266*/, 0x4300, v6
	s_mov_b32 s45, s35
	s_set_vgpr_msb 0                        ;  msbs: dst=0 src0=0 src1=0 src2=0
	v_sub_nc_u64_e32 v[224:225], 0, v[4:5]
	s_set_vgpr_msb 64                       ;  msbs: dst=1 src0=0 src1=0 src2=0
	v_mad_u32_u24 v20 /*v276*/, 0x10c0, v1, v188
	s_wait_kmcnt 0x0
	s_ashr_i32 s3, s2, 31
	s_cmp_eq_u32 s6, 0
	s_set_vgpr_msb 0                        ;  msbs: dst=0 src0=0 src1=0 src2=0
	v_add_nc_u64_e32 v[10:11], 0x530, v[6:7]
	s_cselect_b32 s48, ttmp9, s0
	v_add_nc_u64_e32 v[8:9], 0x220, v[6:7]
	s_lshl_b32 s76, s48, 6
	s_set_vgpr_msb 4                        ;  msbs: dst=0 src0=0 src1=1 src2=0
	v_dual_add_nc_u32 v3, v6, v6 /*v262*/ :: v_dual_add_nc_u32 v186, s76, v6 /*v262*/
	s_lshr_b32 s1, s3, 26
	s_set_vgpr_msb 0                        ;  msbs: dst=0 src0=0 src1=0 src2=0
	v_mul_u64_e32 v[10:11], s[22:23], v[10:11]
	s_add_co_i32 s1, s2, s1
	v_dual_lshrrev_b32 v42, 5, v3 :: v_dual_ashrrev_i32 v187, 31, v186
	v_mul_u64_e32 v[8:9], s[22:23], v[8:9]
	s_and_not1_b32 s1, s1, 63
	s_add_co_i32 s6, s44, -1
	s_delay_alu instid0(VALU_DEP_2)
	v_mad_nc_u64_u32 v[190:191], s22, v42, v[4:5]
	s_sub_co_i32 s80, s2, s1
	v_lshlrev_b32_e32 v46, 2, v42
	s_cmp_eq_u32 s48, s6
	v_lshlrev_b32_e32 v43, 4, v4
	s_cselect_b32 s50, s80, 0
	v_add_nc_u64_e32 v[12:13], 0x210, v[6:7]
	s_cmp_lg_u32 s50, 0
	v_add_nc_u64_e32 v[14:15], 0x500, v[6:7]
	v_add_nc_u64_e32 v[16:17], 0x200, v[6:7]
	;; [unrolled: 1-line block ×3, first 2 shown]
	v_mad_u32 v191, s23, v42, v191
	v_add_nc_u64_e32 v[20:21], 0x230, v[6:7]
	v_add_nc_u64_e32 v[22:23], 0x520, v[6:7]
	;; [unrolled: 1-line block ×10, first 2 shown]
	v_lshlrev_b64_e32 v[40:41], 4, v[190:191]
	s_cselect_b32 s81, -1, 0
	s_cmp_eq_u32 s50, 0
	v_add_nc_u32_e32 v7, 8, v42
	s_cselect_b32 s1, -1, 0
	s_ashr_i32 s49, s48, 31
	v_cmp_gt_u32_e64 s15, 32, v3
	v_sub_nc_u64_e32 v[194:195], v[10:11], v[40:41]
	v_or_b32_e32 v10, 32, v4
	v_or_b32_e32 v47, 2, v46
	v_sub_nc_u64_e32 v[192:193], v[8:9], v[40:41]
	v_lshl_or_b32 v8, v4, 9, v43
	v_cmp_gt_u32_e64 s18, 64, v3
	v_cmp_gt_i32_e64 s12, s50, v10
	v_dual_lshrrev_b32 v10, 4, v3 :: v_dual_bitop2_b32 v11, 48, v0 bitop3:0x40
	s_mul_u64 s[6:7], s[2:3], s[48:49]
	s_mul_u64 s[52:53], s[44:45], s[2:3]
	s_lshl_b64 s[2:3], s[6:7], 4
	s_delay_alu instid0(VALU_DEP_1) | instskip(SKIP_4) | instid1(VALU_DEP_4)
	v_lshlrev_b32_e32 v6, 6, v10
	v_dual_lshlrev_b32 v3, 4, v11 :: v_dual_bitop2_b32 v9, 3, v46 bitop3:0x54
	v_mul_u64_e32 v[14:15], s[22:23], v[14:15]
	v_mul_u64_e32 v[18:19], s[22:23], v[18:19]
	;; [unrolled: 1-line block ×3, first 2 shown]
	v_cmp_le_u32_e64 s10, v9, v4
	v_cmp_eq_u32_e64 s11, v9, v4
	v_dual_lshlrev_b32 v9, 6, v42 :: v_dual_bitop2_b32 v0, 15, v0 bitop3:0x40
	v_mul_u64_e32 v[26:27], s[22:23], v[26:27]
	v_mul_u64_e32 v[30:31], s[22:23], v[30:31]
	;; [unrolled: 1-line block ×4, first 2 shown]
	s_sub_co_i32 s20, s50, 32
	s_add_nc_u64 s[54:55], s[4:5], s[2:3]
	v_cmp_le_i32_e64 s3, s50, v7
	v_cmp_le_i32_e64 s13, s20, v7
	v_mul_u32_u24_e32 v7, 0x840, v42
	s_set_vgpr_msb 64                       ;  msbs: dst=1 src0=0 src1=0 src2=0
	v_add_nc_u32_e32 v9 /*v265*/, v8, v9
	s_set_vgpr_msb 0                        ;  msbs: dst=0 src0=0 src1=0 src2=0
	v_dual_mov_b32 v189, v2 :: v_dual_bitop2_b32 v8, 1, v46 bitop3:0x54
	v_or_b32_e32 v11, 0xf0, v188
	v_mul_u64_e32 v[12:13], s[22:23], v[12:13]
	v_mul_u64_e32 v[16:17], s[22:23], v[16:17]
	;; [unrolled: 1-line block ×7, first 2 shown]
	v_cmp_eq_u32_e64 s19, v8, v4
	v_mul_u32_u24_e32 v8, 0x210, v8
	s_set_vgpr_msb 64                       ;  msbs: dst=1 src0=0 src1=0 src2=0
	v_mad_u32_u24 v11 /*v267*/, 0x430, v0, v6
	v_mad_u32_u24 v12 /*v268*/, 0x430, v0, v3
	;; [unrolled: 1-line block ×3, first 2 shown]
	s_set_vgpr_msb 0                        ;  msbs: dst=0 src0=0 src1=0 src2=0
	v_mul_u32_u24_e32 v0, 33, v4
	v_cmp_eq_u32_e64 s0, 0, v1
	s_set_vgpr_msb 64                       ;  msbs: dst=1 src0=0 src1=0 src2=0
	v_dual_add_nc_u32 v16 /*v272*/, v43, v8 :: v_dual_lshlrev_b32 v19 /*v275*/, 2, v1
	s_set_vgpr_msb 0                        ;  msbs: dst=0 src0=0 src1=0 src2=0
	v_mul_i32_i24_e32 v6, 0xffffffd0, v10
	s_set_vgpr_msb 64                       ;  msbs: dst=1 src0=0 src1=0 src2=0
	v_lshlrev_b32_e32 v17 /*v273*/, 4, v0
	v_mad_u32_u24 v21 /*v277*/, 0x430, v1, v188
	s_set_vgpr_msb 0                        ;  msbs: dst=0 src0=0 src1=0 src2=0
	v_mul_u64_e32 v[0:1], s[46:47], v[186:187]
	s_set_vgpr_msb 4                        ;  msbs: dst=0 src0=0 src1=1 src2=0
	v_cmp_gt_i32_e32 vcc_lo, s50, v6 /*v262*/
	s_set_vgpr_msb 0                        ;  msbs: dst=0 src0=0 src1=0 src2=0
	v_sub_nc_u64_e32 v[198:199], v[14:15], v[40:41]
	v_sub_nc_u64_e32 v[202:203], v[18:19], v[40:41]
	;; [unrolled: 1-line block ×7, first 2 shown]
	s_set_vgpr_msb 64                       ;  msbs: dst=1 src0=0 src1=0 src2=0
	v_mad_u32_u24 v7 /*v263*/, 0x210, v42, v43
	s_set_vgpr_msb 0                        ;  msbs: dst=0 src0=0 src1=0 src2=0
	v_dual_add_nc_u32 v44, 16, v42 :: v_dual_add_nc_u32 v45, 24, v42
	v_dual_lshlrev_b32 v3, 4, v42 :: v_dual_bitop2_b32 v192, 8, v192 bitop3:0x54
	s_or_b32 s68, s1, vcc_lo
	v_sub_nc_u64_e32 v[196:197], v[12:13], v[40:41]
	v_sub_nc_u64_e32 v[200:201], v[16:17], v[40:41]
	;; [unrolled: 1-line block ×7, first 2 shown]
	s_ashr_i32 s77, s76, 31
	s_add_co_i32 s45, s48, 1
	s_xor_b32 s82, s68, -1
	v_cmp_gt_i32_e64 s1, s50, v4
	s_ashr_i32 s51, s50, 31
	v_cmp_le_i32_e64 s2, s50, v42
	s_lshl_b64 s[58:59], s[22:23], 7
	v_cmp_le_i32_e64 s4, s50, v44
	s_lshl_b64 s[60:61], s[22:23], 8
	v_cmp_le_i32_e64 s5, s50, v45
	v_cmp_le_u32_e64 s6, v46, v4
	v_cmp_le_u32_e64 s7, v47, v4
	v_cmp_eq_u32_e64 s8, v47, v4
	v_cmp_eq_u32_e64 s9, v46, v4
	s_set_vgpr_msb 64                       ;  msbs: dst=1 src0=0 src1=0 src2=0
	v_mad_u32_u24 v8 /*v264*/, 0x210, v4, v43
	v_cmp_ge_u32_e64 s14, v46, v4
	v_cmp_le_i32_e64 s16, s20, v44
	v_cmp_le_i32_e64 s17, s20, v45
	v_add_nc_u32_e32 v14 /*v270*/, 0x4700, v9
	v_add_nc_u32_e32 v15 /*v271*/, v43, v7
	s_lshl_b64 s[64:65], s[22:23], 5
	v_cmp_le_i32_e64 s20, s20, v42
	v_cmp_eq_u32_e64 s21, 1, v42
	v_mul_i32_i24_e32 v18 /*v274*/, 0xffffffd0, v42
	v_add_nc_u32_e32 v23 /*v279*/, 0x4700, v3
	s_set_vgpr_msb 0                        ;  msbs: dst=0 src0=0 src1=0 src2=0
	v_dual_lshlrev_b32 v226, 4, v4 :: v_dual_bitop2_b32 v194, 8, v194 bitop3:0x54
	v_or_b32_e32 v198, 8, v198
	v_or_b32_e32 v202, 8, v202
	;; [unrolled: 1-line block ×7, first 2 shown]
	s_set_vgpr_msb 0x41                     ;  msbs: dst=1 src0=1 src1=0 src2=0
	v_dual_add_nc_u32 v24 /*v280*/, v11 /*v267*/, v6 :: v_dual_add_nc_u32 v22 /*v278*/, v17 /*v273*/, v3
	v_add_nc_u32_e32 v25 /*v281*/, 0x4700, v188
	s_set_vgpr_msb 0x44                     ;  msbs: dst=1 src0=0 src1=1 src2=0
	v_add_nc_u32_e32 v26 /*v282*/, 0x1080, v7 /*v263*/
	v_add_nc_u32_e32 v27 /*v283*/, 0x2100, v7 /*v263*/
	;; [unrolled: 1-line block ×3, first 2 shown]
	v_dual_add_nc_u32 v29 /*v285*/, 16, v9 /*v265*/ :: v_dual_add_nc_u32 v30 /*v286*/, 32, v9 /*v265*/
	v_dual_add_nc_u32 v31 /*v287*/, 48, v9 /*v265*/ :: v_dual_bitop2_b32 v33 /*v289*/, 1, v19 /*v275*/ bitop3:0x54
	s_set_vgpr_msb 64                       ;  msbs: dst=1 src0=0 src1=0 src2=0
	v_add_nc_u32_e32 v32 /*v288*/, 0x4300, v188
	s_set_vgpr_msb 0x44                     ;  msbs: dst=1 src0=0 src1=1 src2=0
	v_dual_add_nc_u32 v36 /*v292*/, 16, v19 /*v275*/ :: v_dual_bitop2_b32 v34 /*v290*/, 2, v19 /*v275*/ bitop3:0x54
	v_dual_add_nc_u32 v37 /*v293*/, 17, v19 /*v275*/ :: v_dual_bitop2_b32 v35 /*v291*/, 3, v19 /*v275*/ bitop3:0x54
	v_dual_add_nc_u32 v38 /*v294*/, 18, v19 /*v275*/ :: v_dual_add_nc_u32 v39 /*v295*/, 19, v19 /*v275*/
	v_dual_add_nc_u32 v40 /*v296*/, 32, v19 /*v275*/ :: v_dual_add_nc_u32 v41 /*v297*/, 33, v19 /*v275*/
	;; [unrolled: 1-line block ×5, first 2 shown]
	s_mul_u64 s[66:67], s[46:47], s[76:77]
	s_cmp_lt_u32 s45, s44
	s_mul_u64 s[56:57], s[22:23], s[76:77]
	s_mul_u64 s[62:63], s[22:23], 0x180
	s_sub_nc_u64 s[66:67], 0, s[66:67]
	s_cselect_b32 s45, -1, 0
	s_add_co_i32 s49, s44, -2
	s_and_b32 s83, s0, s68
	s_sub_nc_u64 s[68:69], 0, s[50:51]
	s_add_co_i32 s84, s76, 64
	s_lshl_b64 s[70:71], s[22:23], 10
	s_mov_b64 s[72:73], 0xfffffffffffffe00
	s_mov_b64 s[74:75], 0xfffffffffffffdf0
	s_lshl_b64 s[38:39], s[38:39], 4
	s_lshl_b64 s[30:31], s[30:31], 4
	s_lshl_b64 s[76:77], s[76:77], 4
	s_set_vgpr_msb 0                        ;  msbs: dst=0 src0=0 src1=0 src2=0
	s_branch .LBB48_4
.LBB48_2:                               ;   in Loop: Header=BB48_4 Depth=1
	s_wait_xcnt 0x0
	s_or_b32 exec_lo, exec_lo, s78
.LBB48_3:                               ;   in Loop: Header=BB48_4 Depth=1
	s_add_co_i32 s34, s34, 0x10000
	s_delay_alu instid0(SALU_CYCLE_1)
	s_cmp_lt_u32 s34, s33
	s_cbranch_scc0 .LBB48_188
.LBB48_4:                               ; =>This Loop Header: Depth=1
                                        ;     Child Loop BB48_112 Depth 2
	s_mul_u64 s[22:23], s[26:27], s[34:35]
	s_delay_alu instid0(SALU_CYCLE_1) | instskip(NEXT) | instid1(SALU_CYCLE_1)
	s_lshl_b64 s[22:23], s[22:23], 4
	s_add_nc_u64 s[22:23], s[24:25], s[22:23]
	global_load_b128 v[4:7], v2, s[22:23]
	s_wait_loadcnt 0x0
	v_cmp_neq_f64_e32 vcc_lo, 0, v[4:5]
	s_wait_xcnt 0x0
	v_cmp_neq_f64_e64 s22, 0, v[6:7]
	s_or_b32 s22, vcc_lo, s22
	s_delay_alu instid0(SALU_CYCLE_1)
	s_and_b32 vcc_lo, exec_lo, s22
	s_mov_b32 s22, -1
	s_cbranch_vccz .LBB48_6
; %bb.5:                                ;   in Loop: Header=BB48_4 Depth=1
	s_and_not1_b32 vcc_lo, exec_lo, s22
	s_cbranch_vccnz .LBB48_3
	s_branch .LBB48_7
.LBB48_6:                               ;   in Loop: Header=BB48_4 Depth=1
	s_mul_u64 s[22:23], s[42:43], s[34:35]
	s_delay_alu instid0(SALU_CYCLE_1) | instskip(NEXT) | instid1(SALU_CYCLE_1)
	s_lshl_b64 s[22:23], s[22:23], 4
	s_add_nc_u64 s[22:23], s[40:41], s[22:23]
	global_load_b128 v[4:7], v2, s[22:23]
	s_wait_loadcnt 0x0
	v_cmp_eq_f64_e32 vcc_lo, 1.0, v[4:5]
	s_wait_xcnt 0x0
	v_cmp_eq_f64_e64 s22, 0, v[6:7]
	s_and_b32 s22, vcc_lo, s22
	s_delay_alu instid0(SALU_CYCLE_1)
	s_and_not1_b32 vcc_lo, exec_lo, s22
	s_cbranch_execnz .LBB48_3
.LBB48_7:                               ;   in Loop: Header=BB48_4 Depth=1
	s_lshl_b64 s[22:23], s[34:35], 3
	s_delay_alu instid0(SALU_CYCLE_1)
	s_add_nc_u64 s[78:79], s[36:37], s[22:23]
	s_add_nc_u64 s[22:23], s[28:29], s[22:23]
	s_clause 0x1
	global_load_b64 v[4:5], v2, s[78:79]
	global_load_b64 v[6:7], v2, s[22:23]
	s_wait_loadcnt 0x1
	v_add_nc_u64_e32 v[4:5], s[38:39], v[4:5]
	s_delay_alu instid0(VALU_DEP_1)
	v_lshl_add_u64 v[42:43], v[0:1], 4, v[4:5]
	s_wait_xcnt 0x0
	s_and_saveexec_b32 s22, s0
	s_cbranch_execz .LBB48_12
; %bb.8:                                ;   in Loop: Header=BB48_4 Depth=1
	s_and_saveexec_b32 s23, s82
	s_delay_alu instid0(SALU_CYCLE_1)
	s_xor_b32 s23, exec_lo, s23
; %bb.9:                                ;   in Loop: Header=BB48_4 Depth=1
	v_dual_mov_b32 v3, v2 :: v_dual_mov_b32 v4, v2
	v_mov_b32_e32 v5, v2
	s_set_vgpr_msb 1                        ;  msbs: dst=0 src0=1 src1=0 src2=0
	ds_store_b128 v25 /*v281*/, v[2:5]
; %bb.10:                               ;   in Loop: Header=BB48_4 Depth=1
	s_and_not1_saveexec_b32 s23, s23
	s_set_vgpr_msb 0                        ;  msbs: dst=0 src0=0 src1=0 src2=0
	s_cbranch_execz .LBB48_12
; %bb.11:                               ;   in Loop: Header=BB48_4 Depth=1
	flat_load_b128 v[8:11], v[42:43]
	s_wait_loadcnt_dscnt 0x0
	s_set_vgpr_msb 1                        ;  msbs: dst=0 src0=1 src1=0 src2=0
	ds_store_2addr_b64 v25 /*v281*/, v[8:9], v[10:11] offset1:1
.LBB48_12:                              ;   in Loop: Header=BB48_4 Depth=1
	s_wait_xcnt 0x0
	s_or_b32 exec_lo, exec_lo, s22
	s_wait_loadcnt 0x0
	s_set_vgpr_msb 0                        ;  msbs: dst=0 src0=0 src1=0 src2=0
	v_add_nc_u64_e32 v[4:5], s[30:31], v[6:7]
	s_and_b32 vcc_lo, exec_lo, s81
	s_mov_b32 s22, -1
                                        ; implicit-def: $vgpr10_vgpr11
	s_delay_alu instid0(VALU_DEP_1) | instskip(NEXT) | instid1(VALU_DEP_1)
	v_add_nc_u64_e32 v[4:5], s[76:77], v[4:5]
	v_lshl_add_u64 v[4:5], v[190:191], 4, v[4:5]
	s_delay_alu instid0(VALU_DEP_1)
	v_lshl_add_u64 v[6:7], s[56:57], 4, v[4:5]
	s_cbranch_vccz .LBB48_24
; %bb.13:                               ;   in Loop: Header=BB48_4 Depth=1
	s_and_saveexec_b32 s22, s2
	s_delay_alu instid0(SALU_CYCLE_1)
	s_xor_b32 s22, exec_lo, s22
; %bb.14:                               ;   in Loop: Header=BB48_4 Depth=1
	v_dual_mov_b32 v3, v2 :: v_dual_mov_b32 v4, v2
	v_mov_b32_e32 v5, v2
	s_set_vgpr_msb 1                        ;  msbs: dst=0 src0=1 src1=0 src2=0
	ds_store_b128 v7 /*v263*/, v[2:5]
; %bb.15:                               ;   in Loop: Header=BB48_4 Depth=1
	s_or_saveexec_b32 s22, s22
	s_set_vgpr_msb 0                        ;  msbs: dst=0 src0=0 src1=0 src2=0
	v_lshl_add_u64 v[4:5], v[224:225], 4, v[6:7]
	s_delay_alu instid0(VALU_DEP_1) | instskip(NEXT) | instid1(VALU_DEP_1)
	v_lshl_add_u64 v[4:5], s[50:51], 4, v[4:5]
	v_add_nc_u64_e32 v[4:5], -16, v[4:5]
	s_delay_alu instid0(VALU_DEP_1)
	v_dual_cndmask_b32 v9, v5, v7, s1 :: v_dual_cndmask_b32 v8, v4, v6, s1
	s_xor_b32 exec_lo, exec_lo, s22
	s_cbranch_execnz .LBB48_170
; %bb.16:                               ;   in Loop: Header=BB48_4 Depth=1
	s_or_b32 exec_lo, exec_lo, s22
	s_and_saveexec_b32 s22, s3
	s_delay_alu instid0(SALU_CYCLE_1)
	s_xor_b32 s22, exec_lo, s22
	s_cbranch_execnz .LBB48_171
.LBB48_17:                              ;   in Loop: Header=BB48_4 Depth=1
	s_and_not1_saveexec_b32 s22, s22
	s_cbranch_execnz .LBB48_172
.LBB48_18:                              ;   in Loop: Header=BB48_4 Depth=1
	s_or_b32 exec_lo, exec_lo, s22
	s_and_saveexec_b32 s22, s4
	s_delay_alu instid0(SALU_CYCLE_1)
	s_xor_b32 s22, exec_lo, s22
	s_cbranch_execnz .LBB48_173
.LBB48_19:                              ;   in Loop: Header=BB48_4 Depth=1
	s_and_not1_saveexec_b32 s22, s22
	s_cbranch_execnz .LBB48_174
.LBB48_20:                              ;   in Loop: Header=BB48_4 Depth=1
	s_or_b32 exec_lo, exec_lo, s22
	s_and_saveexec_b32 s22, s5
	s_delay_alu instid0(SALU_CYCLE_1)
	s_xor_b32 s22, exec_lo, s22
	s_cbranch_execnz .LBB48_175
.LBB48_21:                              ;   in Loop: Header=BB48_4 Depth=1
	s_and_not1_saveexec_b32 s22, s22
	s_cbranch_execz .LBB48_23
.LBB48_22:                              ;   in Loop: Header=BB48_4 Depth=1
	v_add_nc_u64_e32 v[4:5], s[62:63], v[8:9]
	flat_load_b128 v[10:13], v[4:5]
	s_wait_loadcnt_dscnt 0x0
	s_set_vgpr_msb 1                        ;  msbs: dst=0 src0=1 src1=0 src2=0
	ds_store_2addr_b64 v28 /*v284*/, v[10:11], v[12:13] offset1:1
.LBB48_23:                              ;   in Loop: Header=BB48_4 Depth=1
	s_wait_xcnt 0x0
	s_or_b32 exec_lo, exec_lo, s22
	s_set_vgpr_msb 0                        ;  msbs: dst=0 src0=0 src1=0 src2=0
	v_mov_b32_e32 v227, v2
	s_mov_b32 s22, 0
	s_delay_alu instid0(VALU_DEP_1) | instskip(NEXT) | instid1(VALU_DEP_1)
	v_add_nc_u64_e32 v[4:5], v[8:9], v[226:227]
	v_lshl_add_u64 v[4:5], s[68:69], 4, v[4:5]
	s_delay_alu instid0(VALU_DEP_1) | instskip(NEXT) | instid1(VALU_DEP_1)
	v_add_nc_u64_e32 v[4:5], 16, v[4:5]
	v_dual_cndmask_b32 v11, v5, v7, s1 :: v_dual_cndmask_b32 v10, v4, v6, s1
.LBB48_24:                              ;   in Loop: Header=BB48_4 Depth=1
	s_and_b32 vcc_lo, exec_lo, s22
	s_cbranch_vccz .LBB48_26
; %bb.25:                               ;   in Loop: Header=BB48_4 Depth=1
	flat_load_b128 v[8:11], v[6:7]
	v_add_nc_u64_e32 v[4:5], s[58:59], v[6:7]
	s_wait_loadcnt_dscnt 0x0
	s_set_vgpr_msb 1                        ;  msbs: dst=0 src0=1 src1=0 src2=0
	ds_store_2addr_b64 v7 /*v263*/, v[8:9], v[10:11] offset1:1
	s_set_vgpr_msb 0                        ;  msbs: dst=0 src0=0 src1=0 src2=0
	flat_load_b128 v[8:11], v[4:5]
	s_wait_xcnt 0x0
	v_add_nc_u64_e32 v[4:5], s[58:59], v[4:5]
	s_wait_loadcnt_dscnt 0x0
	s_set_vgpr_msb 1                        ;  msbs: dst=0 src0=1 src1=0 src2=0
	ds_store_2addr_b64 v26 /*v282*/, v[8:9], v[10:11] offset1:1
	s_set_vgpr_msb 0                        ;  msbs: dst=0 src0=0 src1=0 src2=0
	flat_load_b128 v[8:11], v[4:5]
	s_wait_xcnt 0x0
	v_add_nc_u64_e32 v[4:5], s[58:59], v[4:5]
	s_wait_loadcnt_dscnt 0x0
	s_set_vgpr_msb 1                        ;  msbs: dst=0 src0=1 src1=0 src2=0
	ds_store_2addr_b64 v27 /*v283*/, v[8:9], v[10:11] offset1:1
	s_set_vgpr_msb 0                        ;  msbs: dst=0 src0=0 src1=0 src2=0
	flat_load_b128 v[12:15], v[4:5]
	v_mov_b64_e32 v[10:11], v[6:7]
	s_wait_loadcnt_dscnt 0x0
	s_set_vgpr_msb 1                        ;  msbs: dst=0 src0=1 src1=0 src2=0
	ds_store_2addr_b64 v28 /*v284*/, v[12:13], v[14:15] offset1:1
.LBB48_26:                              ;   in Loop: Header=BB48_4 Depth=1
	s_mov_b32 s22, 0
	s_wait_dscnt 0x0
	s_barrier_signal -1
	s_barrier_wait -1
	s_wait_xcnt 0x0
	s_and_saveexec_b32 s23, s6
	s_delay_alu instid0(SALU_CYCLE_1)
	s_xor_b32 s23, exec_lo, s23
; %bb.27:                               ;   in Loop: Header=BB48_4 Depth=1
	s_and_b32 s22, s9, exec_lo
; %bb.28:                               ;   in Loop: Header=BB48_4 Depth=1
	s_or_saveexec_b32 s23, s23
	s_set_vgpr_msb 1                        ;  msbs: dst=0 src0=1 src1=0 src2=0
	v_mov_b64_e32 v[6:7], 0
	v_mov_b32_e32 v3, v8 /*v264*/
	s_xor_b32 exec_lo, exec_lo, s23
	s_set_vgpr_msb 0                        ;  msbs: dst=0 src0=0 src1=0 src2=0
	s_cbranch_execz .LBB48_30
; %bb.29:                               ;   in Loop: Header=BB48_4 Depth=1
	s_set_vgpr_msb 1                        ;  msbs: dst=0 src0=1 src1=0 src2=0
	ds_load_b128 v[4:7], v15 /*v271*/
	v_mov_b32_e32 v3, v9 /*v265*/
	s_or_b32 s22, s22, exec_lo
	s_wait_dscnt 0x0
	v_xor_b32_e32 v7, 0x80000000, v7
	ds_store_b64 v9 /*v265*/, v[4:5]
.LBB48_30:                              ;   in Loop: Header=BB48_4 Depth=1
	s_or_b32 exec_lo, exec_lo, s23
	s_and_saveexec_b32 s23, s22
; %bb.31:                               ;   in Loop: Header=BB48_4 Depth=1
	s_set_vgpr_msb 0                        ;  msbs: dst=0 src0=0 src1=0 src2=0
	ds_store_b64 v3, v[6:7] offset:8
; %bb.32:                               ;   in Loop: Header=BB48_4 Depth=1
	s_or_b32 exec_lo, exec_lo, s23
	s_mov_b32 s22, 0
                                        ; implicit-def: $vgpr6_vgpr7
	s_and_saveexec_b32 s23, s14
	s_delay_alu instid0(SALU_CYCLE_1)
	s_xor_b32 s23, exec_lo, s23
	s_cbranch_execnz .LBB48_166
; %bb.33:                               ;   in Loop: Header=BB48_4 Depth=1
	s_or_saveexec_b32 s23, s23
	s_set_vgpr_msb 1                        ;  msbs: dst=0 src0=1 src1=0 src2=0
	v_mov_b32_e32 v3, v29 /*v285*/
	s_xor_b32 exec_lo, exec_lo, s23
	s_set_vgpr_msb 0                        ;  msbs: dst=0 src0=0 src1=0 src2=0
	s_cbranch_execnz .LBB48_167
.LBB48_34:                              ;   in Loop: Header=BB48_4 Depth=1
	s_or_b32 exec_lo, exec_lo, s23
	s_and_saveexec_b32 s23, s22
.LBB48_35:                              ;   in Loop: Header=BB48_4 Depth=1
	ds_store_b64 v3, v[6:7] offset:8
.LBB48_36:                              ;   in Loop: Header=BB48_4 Depth=1
	s_or_b32 exec_lo, exec_lo, s23
	s_mov_b32 s22, 0
	s_and_saveexec_b32 s23, s7
	s_delay_alu instid0(SALU_CYCLE_1)
	s_xor_b32 s23, exec_lo, s23
; %bb.37:                               ;   in Loop: Header=BB48_4 Depth=1
	s_and_b32 s22, s8, exec_lo
; %bb.38:                               ;   in Loop: Header=BB48_4 Depth=1
	s_or_saveexec_b32 s23, s23
	v_mov_b64_e32 v[6:7], 0
	s_set_vgpr_msb 1                        ;  msbs: dst=0 src0=1 src1=0 src2=0
	v_mov_b32_e32 v3, v8 /*v264*/
	s_xor_b32 exec_lo, exec_lo, s23
	s_set_vgpr_msb 0                        ;  msbs: dst=0 src0=0 src1=0 src2=0
	s_cbranch_execz .LBB48_40
; %bb.39:                               ;   in Loop: Header=BB48_4 Depth=1
	s_set_vgpr_msb 1                        ;  msbs: dst=0 src0=1 src1=0 src2=0
	ds_load_b128 v[4:7], v16 /*v272*/ offset:528
	v_mov_b32_e32 v3, v30 /*v286*/
	s_or_b32 s22, s22, exec_lo
	s_wait_dscnt 0x0
	v_xor_b32_e32 v7, 0x80000000, v7
	ds_store_b64 v30 /*v286*/, v[4:5]
.LBB48_40:                              ;   in Loop: Header=BB48_4 Depth=1
	s_or_b32 exec_lo, exec_lo, s23
	s_and_saveexec_b32 s23, s22
; %bb.41:                               ;   in Loop: Header=BB48_4 Depth=1
	s_set_vgpr_msb 0                        ;  msbs: dst=0 src0=0 src1=0 src2=0
	ds_store_b64 v3, v[6:7] offset:8
; %bb.42:                               ;   in Loop: Header=BB48_4 Depth=1
	s_or_b32 exec_lo, exec_lo, s23
	s_mov_b32 s22, 0
	s_and_saveexec_b32 s23, s10
	s_delay_alu instid0(SALU_CYCLE_1)
	s_xor_b32 s23, exec_lo, s23
; %bb.43:                               ;   in Loop: Header=BB48_4 Depth=1
	s_and_b32 s22, s11, exec_lo
; %bb.44:                               ;   in Loop: Header=BB48_4 Depth=1
	s_or_saveexec_b32 s23, s23
	v_mov_b64_e32 v[6:7], 0
	s_set_vgpr_msb 1                        ;  msbs: dst=0 src0=1 src1=0 src2=0
	v_mov_b32_e32 v3, v8 /*v264*/
	s_xor_b32 exec_lo, exec_lo, s23
	s_set_vgpr_msb 0                        ;  msbs: dst=0 src0=0 src1=0 src2=0
	s_cbranch_execz .LBB48_46
; %bb.45:                               ;   in Loop: Header=BB48_4 Depth=1
	s_set_vgpr_msb 1                        ;  msbs: dst=0 src0=1 src1=0 src2=0
	ds_load_b128 v[4:7], v16 /*v272*/ offset:1056
	v_mov_b32_e32 v3, v31 /*v287*/
	s_or_b32 s22, s22, exec_lo
	s_wait_dscnt 0x0
	v_xor_b32_e32 v7, 0x80000000, v7
	ds_store_b64 v31 /*v287*/, v[4:5]
.LBB48_46:                              ;   in Loop: Header=BB48_4 Depth=1
	s_or_b32 exec_lo, exec_lo, s23
	s_and_saveexec_b32 s23, s22
; %bb.47:                               ;   in Loop: Header=BB48_4 Depth=1
	s_set_vgpr_msb 0                        ;  msbs: dst=0 src0=0 src1=0 src2=0
	ds_store_b64 v3, v[6:7] offset:8
; %bb.48:                               ;   in Loop: Header=BB48_4 Depth=1
	s_or_b32 exec_lo, exec_lo, s23
	s_wait_dscnt 0x0
	s_barrier_signal -1
	s_barrier_wait -1
	s_set_vgpr_msb 1                        ;  msbs: dst=0 src0=1 src1=0 src2=0
	ds_load_b128 v[4:7], v15 /*v271*/
	ds_load_b128 v[12:15], v14 /*v270*/
	ds_load_b128 v[16:19], v14 /*v270*/ offset:16
	ds_load_b128 v[20:23], v16 /*v272*/
	s_wait_dscnt 0x2
	s_set_vgpr_msb 0                        ;  msbs: dst=0 src0=0 src1=0 src2=0
	v_mul_f64_e32 v[8:9], v[14:15], v[6:7]
	v_mul_f64_e32 v[30:31], v[12:13], v[6:7]
	s_wait_dscnt 0x0
	v_mul_f64_e32 v[32:33], v[18:19], v[22:23]
	v_mul_f64_e32 v[34:35], v[16:17], v[22:23]
	s_delay_alu instid0(VALU_DEP_4) | instskip(NEXT) | instid1(VALU_DEP_4)
	v_fma_f64 v[8:9], v[12:13], v[4:5], -v[8:9]
	v_fmac_f64_e32 v[30:31], v[14:15], v[4:5]
	s_set_vgpr_msb 1                        ;  msbs: dst=0 src0=1 src1=0 src2=0
	ds_load_b128 v[4:7], v16 /*v272*/ offset:528
	ds_load_b128 v[12:15], v14 /*v270*/ offset:32
	;; [unrolled: 1-line block ×4, first 2 shown]
	s_set_vgpr_msb 0                        ;  msbs: dst=0 src0=0 src1=0 src2=0
	v_fma_f64 v[16:17], v[16:17], v[20:21], -v[32:33]
	v_fmac_f64_e32 v[34:35], v[18:19], v[20:21]
	s_wait_dscnt 0x0
	s_barrier_signal -1
	s_barrier_wait -1
	v_mul_f64_e32 v[36:37], v[14:15], v[6:7]
	v_mul_f64_e32 v[6:7], v[12:13], v[6:7]
	v_mul_f64_e32 v[20:21], v[24:25], v[28:29]
	v_mul_f64_e32 v[28:29], v[22:23], v[28:29]
	v_add_f64_e32 v[8:9], 0, v[8:9]
	v_add_f64_e32 v[18:19], 0, v[30:31]
	v_fma_f64 v[12:13], v[12:13], v[4:5], -v[36:37]
	v_fmac_f64_e32 v[6:7], v[14:15], v[4:5]
	v_fma_f64 v[14:15], v[22:23], v[26:27], -v[20:21]
	v_fmac_f64_e32 v[28:29], v[24:25], v[26:27]
	v_add_f64_e32 v[4:5], v[8:9], v[16:17]
	v_add_f64_e32 v[8:9], v[18:19], v[34:35]
	s_delay_alu instid0(VALU_DEP_2) | instskip(NEXT) | instid1(VALU_DEP_2)
	v_add_f64_e32 v[4:5], v[4:5], v[12:13]
	v_add_f64_e32 v[6:7], v[8:9], v[6:7]
	v_mov_b64_e32 v[8:9], 0
	s_delay_alu instid0(VALU_DEP_3) | instskip(NEXT) | instid1(VALU_DEP_3)
	v_add_f64_e32 v[12:13], v[4:5], v[14:15]
	v_add_f64_e32 v[14:15], v[6:7], v[28:29]
	v_mov_b64_e32 v[6:7], 0
	s_set_vgpr_msb 1                        ;  msbs: dst=0 src0=1 src1=0 src2=0
	ds_store_b128 v22 /*v278*/, v[12:15]
	s_wait_dscnt 0x0
	s_barrier_signal -1
	s_barrier_wait -1
	s_and_saveexec_b32 s22, s15
	s_set_vgpr_msb 0                        ;  msbs: dst=0 src0=0 src1=0 src2=0
	s_cbranch_execz .LBB48_50
; %bb.49:                               ;   in Loop: Header=BB48_4 Depth=1
	s_set_vgpr_msb 1                        ;  msbs: dst=0 src0=1 src1=0 src2=0
	ds_load_b128 v[4:7], v17 /*v273*/
	ds_load_b128 v[12:15], v17 /*v273*/ offset:16
	s_wait_dscnt 0x0
	s_set_vgpr_msb 0                        ;  msbs: dst=0 src0=0 src1=0 src2=0
	v_add_f64_e32 v[8:9], v[12:13], v[4:5]
	v_add_f64_e32 v[16:17], v[14:15], v[6:7]
	s_set_vgpr_msb 1                        ;  msbs: dst=0 src0=1 src1=0 src2=0
	ds_load_b128 v[4:7], v17 /*v273*/ offset:32
	ds_load_b128 v[12:15], v17 /*v273*/ offset:48
	s_wait_dscnt 0x1
	s_set_vgpr_msb 0                        ;  msbs: dst=0 src0=0 src1=0 src2=0
	v_add_f64_e32 v[4:5], v[8:9], v[4:5]
	v_add_f64_e32 v[6:7], v[16:17], v[6:7]
	s_wait_dscnt 0x0
	s_delay_alu instid0(VALU_DEP_2) | instskip(NEXT) | instid1(VALU_DEP_2)
	v_add_f64_e32 v[8:9], v[4:5], v[12:13]
	v_add_f64_e32 v[16:17], v[6:7], v[14:15]
	s_set_vgpr_msb 1                        ;  msbs: dst=0 src0=1 src1=0 src2=0
	ds_load_b128 v[4:7], v17 /*v273*/ offset:64
	ds_load_b128 v[12:15], v17 /*v273*/ offset:80
	s_wait_dscnt 0x1
	s_set_vgpr_msb 0                        ;  msbs: dst=0 src0=0 src1=0 src2=0
	v_add_f64_e32 v[4:5], v[8:9], v[4:5]
	v_add_f64_e32 v[6:7], v[16:17], v[6:7]
	s_wait_dscnt 0x0
	s_delay_alu instid0(VALU_DEP_2) | instskip(NEXT) | instid1(VALU_DEP_2)
	;; [unrolled: 11-line block ×3, first 2 shown]
	v_add_f64_e32 v[6:7], v[4:5], v[12:13]
	v_add_f64_e32 v[8:9], v[8:9], v[14:15]
.LBB48_50:                              ;   in Loop: Header=BB48_4 Depth=1
	s_or_b32 exec_lo, exec_lo, s22
	v_lshl_add_u64 v[12:13], s[64:65], 4, v[10:11]
	s_and_b32 vcc_lo, exec_lo, s81
	s_mov_b32 s22, -1
	s_barrier_signal -1
	s_delay_alu instid0(VALU_DEP_1)
	v_add_nc_u64_e32 v[10:11], 0x200, v[12:13]
	s_barrier_wait -1
                                        ; implicit-def: $vgpr14_vgpr15
	s_cbranch_vccz .LBB48_62
; %bb.51:                               ;   in Loop: Header=BB48_4 Depth=1
	s_and_saveexec_b32 s22, s20
	s_delay_alu instid0(SALU_CYCLE_1)
	s_xor_b32 s22, exec_lo, s22
; %bb.52:                               ;   in Loop: Header=BB48_4 Depth=1
	v_dual_mov_b32 v3, v2 :: v_dual_mov_b32 v4, v2
	v_mov_b32_e32 v5, v2
	s_set_vgpr_msb 1                        ;  msbs: dst=0 src0=1 src1=0 src2=0
	ds_store_b128 v7 /*v263*/, v[2:5]
; %bb.53:                               ;   in Loop: Header=BB48_4 Depth=1
	s_or_saveexec_b32 s22, s22
	s_set_vgpr_msb 0                        ;  msbs: dst=0 src0=0 src1=0 src2=0
	v_lshl_add_u64 v[4:5], v[224:225], 4, v[12:13]
	s_delay_alu instid0(VALU_DEP_1) | instskip(NEXT) | instid1(VALU_DEP_1)
	v_lshl_add_u64 v[4:5], s[50:51], 4, v[4:5]
	v_add_nc_u64_e32 v[4:5], -16, v[4:5]
	s_delay_alu instid0(VALU_DEP_1)
	v_dual_cndmask_b32 v15, v5, v11, s12 :: v_dual_cndmask_b32 v14, v4, v10, s12
	s_xor_b32 exec_lo, exec_lo, s22
	s_cbranch_execnz .LBB48_176
; %bb.54:                               ;   in Loop: Header=BB48_4 Depth=1
	s_or_b32 exec_lo, exec_lo, s22
	s_and_saveexec_b32 s22, s13
	s_delay_alu instid0(SALU_CYCLE_1)
	s_xor_b32 s22, exec_lo, s22
	s_cbranch_execnz .LBB48_177
.LBB48_55:                              ;   in Loop: Header=BB48_4 Depth=1
	s_and_not1_saveexec_b32 s22, s22
	s_cbranch_execnz .LBB48_178
.LBB48_56:                              ;   in Loop: Header=BB48_4 Depth=1
	s_or_b32 exec_lo, exec_lo, s22
	s_and_saveexec_b32 s22, s16
	s_delay_alu instid0(SALU_CYCLE_1)
	s_xor_b32 s22, exec_lo, s22
	s_cbranch_execnz .LBB48_179
.LBB48_57:                              ;   in Loop: Header=BB48_4 Depth=1
	s_and_not1_saveexec_b32 s22, s22
	s_cbranch_execnz .LBB48_180
.LBB48_58:                              ;   in Loop: Header=BB48_4 Depth=1
	s_or_b32 exec_lo, exec_lo, s22
	s_and_saveexec_b32 s22, s17
	s_delay_alu instid0(SALU_CYCLE_1)
	s_xor_b32 s22, exec_lo, s22
	s_cbranch_execnz .LBB48_181
.LBB48_59:                              ;   in Loop: Header=BB48_4 Depth=1
	s_and_not1_saveexec_b32 s22, s22
	s_cbranch_execz .LBB48_61
.LBB48_60:                              ;   in Loop: Header=BB48_4 Depth=1
	v_add_nc_u64_e32 v[4:5], s[62:63], v[14:15]
	flat_load_b128 v[16:19], v[4:5]
	s_wait_loadcnt_dscnt 0x0
	s_set_vgpr_msb 1                        ;  msbs: dst=0 src0=1 src1=0 src2=0
	ds_store_2addr_b64 v28 /*v284*/, v[16:17], v[18:19] offset1:1
.LBB48_61:                              ;   in Loop: Header=BB48_4 Depth=1
	s_wait_xcnt 0x0
	s_or_b32 exec_lo, exec_lo, s22
	s_set_vgpr_msb 0                        ;  msbs: dst=0 src0=0 src1=0 src2=0
	v_mov_b32_e32 v227, v2
	s_mov_b32 s22, 0
	s_delay_alu instid0(VALU_DEP_1) | instskip(NEXT) | instid1(VALU_DEP_1)
	v_add_nc_u64_e32 v[4:5], v[14:15], v[226:227]
	v_lshl_add_u64 v[4:5], s[68:69], 4, v[4:5]
	s_delay_alu instid0(VALU_DEP_1) | instskip(NEXT) | instid1(VALU_DEP_1)
	v_add_nc_u64_e32 v[4:5], 0x210, v[4:5]
	v_dual_cndmask_b32 v15, v5, v11, s12 :: v_dual_cndmask_b32 v14, v4, v10, s12
.LBB48_62:                              ;   in Loop: Header=BB48_4 Depth=1
	s_and_b32 vcc_lo, exec_lo, s22
	s_cbranch_vccz .LBB48_64
; %bb.63:                               ;   in Loop: Header=BB48_4 Depth=1
	flat_load_b128 v[14:17], v[10:11]
	v_add_nc_u64_e32 v[4:5], s[58:59], v[12:13]
	s_wait_loadcnt_dscnt 0x0
	s_set_vgpr_msb 1                        ;  msbs: dst=0 src0=1 src1=0 src2=0
	ds_store_2addr_b64 v7 /*v263*/, v[14:15], v[16:17] offset1:1
	s_set_vgpr_msb 0                        ;  msbs: dst=0 src0=0 src1=0 src2=0
	flat_load_b128 v[12:15], v[4:5] offset:512
	s_wait_xcnt 0x0
	v_add_nc_u64_e32 v[4:5], s[58:59], v[4:5]
	s_wait_loadcnt_dscnt 0x0
	s_set_vgpr_msb 1                        ;  msbs: dst=0 src0=1 src1=0 src2=0
	ds_store_2addr_b64 v26 /*v282*/, v[12:13], v[14:15] offset1:1
	s_set_vgpr_msb 0                        ;  msbs: dst=0 src0=0 src1=0 src2=0
	flat_load_b128 v[12:15], v[4:5] offset:512
	s_wait_xcnt 0x0
	v_add_nc_u64_e32 v[4:5], s[58:59], v[4:5]
	s_wait_loadcnt_dscnt 0x0
	s_set_vgpr_msb 1                        ;  msbs: dst=0 src0=1 src1=0 src2=0
	ds_store_2addr_b64 v27 /*v283*/, v[12:13], v[14:15] offset1:1
	s_set_vgpr_msb 0                        ;  msbs: dst=0 src0=0 src1=0 src2=0
	flat_load_b128 v[16:19], v[4:5] offset:512
	v_mov_b64_e32 v[14:15], v[10:11]
	s_wait_loadcnt_dscnt 0x0
	s_set_vgpr_msb 1                        ;  msbs: dst=0 src0=1 src1=0 src2=0
	ds_store_2addr_b64 v28 /*v284*/, v[16:17], v[18:19] offset1:1
.LBB48_64:                              ;   in Loop: Header=BB48_4 Depth=1
	s_mov_b32 s22, 0
	s_wait_dscnt 0x0
	s_barrier_signal -1
	s_barrier_wait -1
	s_wait_xcnt 0x0
	s_and_saveexec_b32 s23, s6
	s_delay_alu instid0(SALU_CYCLE_1)
	s_xor_b32 s23, exec_lo, s23
; %bb.65:                               ;   in Loop: Header=BB48_4 Depth=1
	s_and_b32 s22, s9, exec_lo
; %bb.66:                               ;   in Loop: Header=BB48_4 Depth=1
	s_or_saveexec_b32 s23, s23
	s_set_vgpr_msb 1                        ;  msbs: dst=0 src0=1 src1=0 src2=0
	v_mov_b64_e32 v[12:13], 0
	v_mov_b32_e32 v3, v8 /*v264*/
	s_xor_b32 exec_lo, exec_lo, s23
	s_set_vgpr_msb 0                        ;  msbs: dst=0 src0=0 src1=0 src2=0
	s_cbranch_execz .LBB48_68
; %bb.67:                               ;   in Loop: Header=BB48_4 Depth=1
	s_set_vgpr_msb 1                        ;  msbs: dst=0 src0=1 src1=0 src2=0
	ds_load_b128 v[10:13], v15 /*v271*/
	v_mov_b32_e32 v3, v9 /*v265*/
	s_or_b32 s22, s22, exec_lo
	s_wait_dscnt 0x0
	v_xor_b32_e32 v13, 0x80000000, v13
	ds_store_b64 v9 /*v265*/, v[10:11]
.LBB48_68:                              ;   in Loop: Header=BB48_4 Depth=1
	s_or_b32 exec_lo, exec_lo, s23
	s_and_saveexec_b32 s23, s22
; %bb.69:                               ;   in Loop: Header=BB48_4 Depth=1
	s_set_vgpr_msb 0                        ;  msbs: dst=0 src0=0 src1=0 src2=0
	ds_store_b64 v3, v[12:13] offset:8
; %bb.70:                               ;   in Loop: Header=BB48_4 Depth=1
	s_or_b32 exec_lo, exec_lo, s23
	s_mov_b32 s22, 0
                                        ; implicit-def: $vgpr12_vgpr13
	s_and_saveexec_b32 s23, s14
	s_delay_alu instid0(SALU_CYCLE_1)
	s_xor_b32 s23, exec_lo, s23
	s_cbranch_execnz .LBB48_168
; %bb.71:                               ;   in Loop: Header=BB48_4 Depth=1
	s_or_saveexec_b32 s23, s23
	s_set_vgpr_msb 1                        ;  msbs: dst=0 src0=1 src1=0 src2=0
	v_mov_b32_e32 v3, v29 /*v285*/
	s_xor_b32 exec_lo, exec_lo, s23
	s_set_vgpr_msb 0                        ;  msbs: dst=0 src0=0 src1=0 src2=0
	s_cbranch_execnz .LBB48_169
.LBB48_72:                              ;   in Loop: Header=BB48_4 Depth=1
	s_or_b32 exec_lo, exec_lo, s23
	s_and_saveexec_b32 s23, s22
.LBB48_73:                              ;   in Loop: Header=BB48_4 Depth=1
	ds_store_b64 v3, v[12:13] offset:8
.LBB48_74:                              ;   in Loop: Header=BB48_4 Depth=1
	s_or_b32 exec_lo, exec_lo, s23
	s_mov_b32 s22, 0
	s_and_saveexec_b32 s23, s7
	s_delay_alu instid0(SALU_CYCLE_1)
	s_xor_b32 s23, exec_lo, s23
; %bb.75:                               ;   in Loop: Header=BB48_4 Depth=1
	s_and_b32 s22, s8, exec_lo
; %bb.76:                               ;   in Loop: Header=BB48_4 Depth=1
	s_or_saveexec_b32 s23, s23
	v_mov_b64_e32 v[12:13], 0
	s_set_vgpr_msb 1                        ;  msbs: dst=0 src0=1 src1=0 src2=0
	v_mov_b32_e32 v3, v8 /*v264*/
	s_xor_b32 exec_lo, exec_lo, s23
	s_set_vgpr_msb 0                        ;  msbs: dst=0 src0=0 src1=0 src2=0
	s_cbranch_execz .LBB48_78
; %bb.77:                               ;   in Loop: Header=BB48_4 Depth=1
	s_set_vgpr_msb 1                        ;  msbs: dst=0 src0=1 src1=0 src2=0
	ds_load_b128 v[10:13], v16 /*v272*/ offset:528
	v_mov_b32_e32 v3, v30 /*v286*/
	s_or_b32 s22, s22, exec_lo
	s_wait_dscnt 0x0
	v_xor_b32_e32 v13, 0x80000000, v13
	ds_store_b64 v30 /*v286*/, v[10:11]
.LBB48_78:                              ;   in Loop: Header=BB48_4 Depth=1
	s_or_b32 exec_lo, exec_lo, s23
	s_and_saveexec_b32 s23, s22
; %bb.79:                               ;   in Loop: Header=BB48_4 Depth=1
	s_set_vgpr_msb 0                        ;  msbs: dst=0 src0=0 src1=0 src2=0
	ds_store_b64 v3, v[12:13] offset:8
; %bb.80:                               ;   in Loop: Header=BB48_4 Depth=1
	s_or_b32 exec_lo, exec_lo, s23
	s_mov_b32 s22, 0
	s_and_saveexec_b32 s23, s10
	s_delay_alu instid0(SALU_CYCLE_1)
	s_xor_b32 s23, exec_lo, s23
; %bb.81:                               ;   in Loop: Header=BB48_4 Depth=1
	s_and_b32 s22, s11, exec_lo
; %bb.82:                               ;   in Loop: Header=BB48_4 Depth=1
	s_or_saveexec_b32 s23, s23
	v_mov_b64_e32 v[12:13], 0
	s_set_vgpr_msb 1                        ;  msbs: dst=0 src0=1 src1=0 src2=0
	v_mov_b32_e32 v3, v8 /*v264*/
	s_xor_b32 exec_lo, exec_lo, s23
	s_set_vgpr_msb 0                        ;  msbs: dst=0 src0=0 src1=0 src2=0
	s_cbranch_execz .LBB48_84
; %bb.83:                               ;   in Loop: Header=BB48_4 Depth=1
	s_set_vgpr_msb 1                        ;  msbs: dst=0 src0=1 src1=0 src2=0
	ds_load_b128 v[10:13], v16 /*v272*/ offset:1056
	v_mov_b32_e32 v3, v31 /*v287*/
	s_or_b32 s22, s22, exec_lo
	s_wait_dscnt 0x0
	v_xor_b32_e32 v13, 0x80000000, v13
	ds_store_b64 v31 /*v287*/, v[10:11]
.LBB48_84:                              ;   in Loop: Header=BB48_4 Depth=1
	s_or_b32 exec_lo, exec_lo, s23
	s_and_saveexec_b32 s23, s22
; %bb.85:                               ;   in Loop: Header=BB48_4 Depth=1
	s_set_vgpr_msb 0                        ;  msbs: dst=0 src0=0 src1=0 src2=0
	ds_store_b64 v3, v[12:13] offset:8
; %bb.86:                               ;   in Loop: Header=BB48_4 Depth=1
	s_or_b32 exec_lo, exec_lo, s23
	s_wait_dscnt 0x0
	s_barrier_signal -1
	s_barrier_wait -1
	s_set_vgpr_msb 1                        ;  msbs: dst=0 src0=1 src1=0 src2=0
	ds_load_b128 v[10:13], v15 /*v271*/
	ds_load_b128 v[16:19], v14 /*v270*/ offset:512
	ds_load_b128 v[20:23], v14 /*v270*/ offset:528
	ds_load_b128 v[24:27], v16 /*v272*/
	s_wait_dscnt 0x2
	s_set_vgpr_msb 0                        ;  msbs: dst=0 src0=0 src1=0 src2=0
	v_mul_f64_e32 v[4:5], v[18:19], v[12:13]
	v_mul_f64_e32 v[34:35], v[16:17], v[12:13]
	s_wait_dscnt 0x0
	v_mul_f64_e32 v[36:37], v[22:23], v[26:27]
	v_mul_f64_e32 v[38:39], v[20:21], v[26:27]
	s_delay_alu instid0(VALU_DEP_4) | instskip(NEXT) | instid1(VALU_DEP_4)
	v_fma_f64 v[4:5], v[16:17], v[10:11], -v[4:5]
	v_fmac_f64_e32 v[34:35], v[18:19], v[10:11]
	s_set_vgpr_msb 1                        ;  msbs: dst=0 src0=1 src1=0 src2=0
	ds_load_b128 v[10:13], v16 /*v272*/ offset:528
	ds_load_b128 v[16:19], v14 /*v270*/ offset:544
	;; [unrolled: 1-line block ×4, first 2 shown]
	s_set_vgpr_msb 0                        ;  msbs: dst=0 src0=0 src1=0 src2=0
	v_fma_f64 v[20:21], v[20:21], v[24:25], -v[36:37]
	v_fmac_f64_e32 v[38:39], v[22:23], v[24:25]
	s_wait_dscnt 0x0
	s_barrier_signal -1
	s_barrier_wait -1
	v_mul_f64_e32 v[40:41], v[18:19], v[12:13]
	v_mul_f64_e32 v[12:13], v[16:17], v[12:13]
	v_mul_f64_e32 v[24:25], v[28:29], v[32:33]
	v_mul_f64_e32 v[32:33], v[26:27], v[32:33]
	v_add_f64_e32 v[4:5], 0, v[4:5]
	v_add_f64_e32 v[22:23], 0, v[34:35]
	v_fma_f64 v[16:17], v[16:17], v[10:11], -v[40:41]
	v_fmac_f64_e32 v[12:13], v[18:19], v[10:11]
	v_fma_f64 v[18:19], v[26:27], v[30:31], -v[24:25]
	v_fmac_f64_e32 v[32:33], v[28:29], v[30:31]
	v_add_f64_e32 v[4:5], v[4:5], v[20:21]
	v_add_f64_e32 v[10:11], v[22:23], v[38:39]
	s_delay_alu instid0(VALU_DEP_2) | instskip(NEXT) | instid1(VALU_DEP_2)
	v_add_f64_e32 v[4:5], v[4:5], v[16:17]
	v_add_f64_e32 v[12:13], v[10:11], v[12:13]
	s_delay_alu instid0(VALU_DEP_2) | instskip(NEXT) | instid1(VALU_DEP_2)
	v_add_f64_e32 v[10:11], v[4:5], v[18:19]
	v_add_f64_e32 v[12:13], v[12:13], v[32:33]
	s_set_vgpr_msb 1                        ;  msbs: dst=0 src0=1 src1=0 src2=0
	ds_store_b128 v22 /*v278*/, v[10:13]
	s_wait_dscnt 0x0
	s_barrier_signal -1
	s_barrier_wait -1
	s_and_saveexec_b32 s22, s21
	s_set_vgpr_msb 0                        ;  msbs: dst=0 src0=0 src1=0 src2=0
	s_cbranch_execz .LBB48_88
; %bb.87:                               ;   in Loop: Header=BB48_4 Depth=1
	s_set_vgpr_msb 1                        ;  msbs: dst=0 src0=1 src1=0 src2=0
	ds_load_b128 v[4:7], v17 /*v273*/
	ds_load_b128 v[8:11], v17 /*v273*/ offset:16
	s_wait_dscnt 0x0
	s_set_vgpr_msb 0                        ;  msbs: dst=0 src0=0 src1=0 src2=0
	v_add_f64_e32 v[12:13], v[8:9], v[4:5]
	v_add_f64_e32 v[16:17], v[10:11], v[6:7]
	s_set_vgpr_msb 1                        ;  msbs: dst=0 src0=1 src1=0 src2=0
	ds_load_b128 v[4:7], v17 /*v273*/ offset:32
	ds_load_b128 v[8:11], v17 /*v273*/ offset:48
	s_wait_dscnt 0x1
	s_set_vgpr_msb 0                        ;  msbs: dst=0 src0=0 src1=0 src2=0
	v_add_f64_e32 v[4:5], v[12:13], v[4:5]
	v_add_f64_e32 v[6:7], v[16:17], v[6:7]
	s_wait_dscnt 0x0
	s_delay_alu instid0(VALU_DEP_2) | instskip(NEXT) | instid1(VALU_DEP_2)
	v_add_f64_e32 v[12:13], v[4:5], v[8:9]
	v_add_f64_e32 v[16:17], v[6:7], v[10:11]
	s_set_vgpr_msb 1                        ;  msbs: dst=0 src0=1 src1=0 src2=0
	ds_load_b128 v[4:7], v17 /*v273*/ offset:64
	ds_load_b128 v[8:11], v17 /*v273*/ offset:80
	s_wait_dscnt 0x1
	s_set_vgpr_msb 0                        ;  msbs: dst=0 src0=0 src1=0 src2=0
	v_add_f64_e32 v[4:5], v[12:13], v[4:5]
	v_add_f64_e32 v[6:7], v[16:17], v[6:7]
	s_wait_dscnt 0x0
	s_delay_alu instid0(VALU_DEP_2) | instskip(NEXT) | instid1(VALU_DEP_2)
	;; [unrolled: 11-line block ×3, first 2 shown]
	v_add_f64_e32 v[6:7], v[4:5], v[8:9]
	v_add_f64_e32 v[8:9], v[12:13], v[10:11]
.LBB48_88:                              ;   in Loop: Header=BB48_4 Depth=1
	s_or_b32 exec_lo, exec_lo, s22
	v_add_nc_u64_e32 v[10:11], s[72:73], v[14:15]
	s_and_b32 vcc_lo, exec_lo, s81
	s_mov_b32 s22, -1
	s_barrier_signal -1
	s_barrier_wait -1
                                        ; implicit-def: $vgpr4_vgpr5
	s_cbranch_vccz .LBB48_100
; %bb.89:                               ;   in Loop: Header=BB48_4 Depth=1
	s_and_saveexec_b32 s22, s20
	s_delay_alu instid0(SALU_CYCLE_1)
	s_xor_b32 s22, exec_lo, s22
; %bb.90:                               ;   in Loop: Header=BB48_4 Depth=1
	v_dual_mov_b32 v3, v2 :: v_dual_mov_b32 v4, v2
	v_mov_b32_e32 v5, v2
	s_set_vgpr_msb 1                        ;  msbs: dst=0 src0=1 src1=0 src2=0
	ds_store_b128 v7 /*v263*/, v[2:5]
; %bb.91:                               ;   in Loop: Header=BB48_4 Depth=1
	s_or_saveexec_b32 s22, s22
	s_set_vgpr_msb 0                        ;  msbs: dst=0 src0=0 src1=0 src2=0
	v_lshl_add_u64 v[4:5], v[224:225], 4, v[14:15]
	s_delay_alu instid0(VALU_DEP_1) | instskip(NEXT) | instid1(VALU_DEP_1)
	v_lshl_add_u64 v[4:5], s[50:51], 4, v[4:5]
	v_add_nc_u64_e32 v[4:5], s[74:75], v[4:5]
	s_delay_alu instid0(VALU_DEP_1)
	v_dual_cndmask_b32 v13, v5, v11, s1 :: v_dual_cndmask_b32 v12, v4, v10, s1
	s_xor_b32 exec_lo, exec_lo, s22
	s_cbranch_execnz .LBB48_182
; %bb.92:                               ;   in Loop: Header=BB48_4 Depth=1
	s_or_b32 exec_lo, exec_lo, s22
	s_and_saveexec_b32 s22, s13
	s_delay_alu instid0(SALU_CYCLE_1)
	s_xor_b32 s22, exec_lo, s22
	s_cbranch_execnz .LBB48_183
.LBB48_93:                              ;   in Loop: Header=BB48_4 Depth=1
	s_and_not1_saveexec_b32 s22, s22
	s_cbranch_execnz .LBB48_184
.LBB48_94:                              ;   in Loop: Header=BB48_4 Depth=1
	s_or_b32 exec_lo, exec_lo, s22
	s_and_saveexec_b32 s22, s16
	s_delay_alu instid0(SALU_CYCLE_1)
	s_xor_b32 s22, exec_lo, s22
	s_cbranch_execnz .LBB48_185
.LBB48_95:                              ;   in Loop: Header=BB48_4 Depth=1
	s_and_not1_saveexec_b32 s22, s22
	s_cbranch_execnz .LBB48_186
.LBB48_96:                              ;   in Loop: Header=BB48_4 Depth=1
	s_or_b32 exec_lo, exec_lo, s22
	s_and_saveexec_b32 s22, s17
	s_delay_alu instid0(SALU_CYCLE_1)
	s_xor_b32 s22, exec_lo, s22
	s_cbranch_execnz .LBB48_187
.LBB48_97:                              ;   in Loop: Header=BB48_4 Depth=1
	s_and_not1_saveexec_b32 s22, s22
	s_cbranch_execz .LBB48_99
.LBB48_98:                              ;   in Loop: Header=BB48_4 Depth=1
	v_add_nc_u64_e32 v[4:5], s[62:63], v[12:13]
	flat_load_b128 v[16:19], v[4:5]
	s_wait_loadcnt_dscnt 0x0
	s_set_vgpr_msb 1                        ;  msbs: dst=0 src0=1 src1=0 src2=0
	ds_store_2addr_b64 v28 /*v284*/, v[16:17], v[18:19] offset1:1
.LBB48_99:                              ;   in Loop: Header=BB48_4 Depth=1
	s_wait_xcnt 0x0
	s_or_b32 exec_lo, exec_lo, s22
	s_set_vgpr_msb 0                        ;  msbs: dst=0 src0=0 src1=0 src2=0
	v_mov_b32_e32 v227, v2
	s_mov_b32 s22, 0
	s_delay_alu instid0(VALU_DEP_1) | instskip(NEXT) | instid1(VALU_DEP_1)
	v_add_nc_u64_e32 v[4:5], v[12:13], v[226:227]
	v_lshl_add_u64 v[4:5], s[68:69], 4, v[4:5]
	s_delay_alu instid0(VALU_DEP_1) | instskip(NEXT) | instid1(VALU_DEP_1)
	v_add_nc_u64_e32 v[4:5], 16, v[4:5]
	v_dual_cndmask_b32 v5, v5, v11, s1 :: v_dual_cndmask_b32 v4, v4, v10, s1
.LBB48_100:                             ;   in Loop: Header=BB48_4 Depth=1
	s_and_b32 vcc_lo, exec_lo, s22
	s_cbranch_vccz .LBB48_102
; %bb.101:                              ;   in Loop: Header=BB48_4 Depth=1
	flat_load_b128 v[16:19], v[10:11]
	v_add_nc_u64_e32 v[4:5], s[58:59], v[14:15]
	s_wait_loadcnt_dscnt 0x0
	s_set_vgpr_msb 1                        ;  msbs: dst=0 src0=1 src1=0 src2=0
	ds_store_2addr_b64 v7 /*v263*/, v[16:17], v[18:19] offset1:1
	s_set_vgpr_msb 0                        ;  msbs: dst=0 src0=0 src1=0 src2=0
	flat_load_b128 v[12:15], v[4:5] offset:-512
	s_wait_xcnt 0x0
	v_add_nc_u64_e32 v[4:5], s[58:59], v[4:5]
	s_wait_loadcnt_dscnt 0x0
	s_set_vgpr_msb 1                        ;  msbs: dst=0 src0=1 src1=0 src2=0
	ds_store_2addr_b64 v26 /*v282*/, v[12:13], v[14:15] offset1:1
	s_set_vgpr_msb 0                        ;  msbs: dst=0 src0=0 src1=0 src2=0
	flat_load_b128 v[12:15], v[4:5] offset:-512
	s_wait_xcnt 0x0
	v_add_nc_u64_e32 v[4:5], s[58:59], v[4:5]
	s_wait_loadcnt_dscnt 0x0
	s_set_vgpr_msb 1                        ;  msbs: dst=0 src0=1 src1=0 src2=0
	ds_store_2addr_b64 v27 /*v283*/, v[12:13], v[14:15] offset1:1
	s_set_vgpr_msb 0                        ;  msbs: dst=0 src0=0 src1=0 src2=0
	flat_load_b128 v[12:15], v[4:5] offset:-512
	s_wait_xcnt 0x0
	v_mov_b64_e32 v[4:5], v[10:11]
	s_wait_loadcnt_dscnt 0x0
	s_set_vgpr_msb 1                        ;  msbs: dst=0 src0=1 src1=0 src2=0
	ds_store_2addr_b64 v28 /*v284*/, v[12:13], v[14:15] offset1:1
.LBB48_102:                             ;   in Loop: Header=BB48_4 Depth=1
	s_set_vgpr_msb 5                        ;  msbs: dst=0 src0=1 src1=1 src2=0
	v_dual_add_nc_u32 v3, v9 /*v265*/, v18 /*v274*/ :: v_dual_add_nc_u32 v14, v14 /*v270*/, v18 /*v274*/
	s_wait_dscnt 0x0
	s_barrier_signal -1
	s_barrier_wait -1
	s_set_vgpr_msb 0                        ;  msbs: dst=0 src0=0 src1=0 src2=0
	ds_load_b128 v[10:13], v3
	ds_load_b128 v[14:17], v14
	s_set_vgpr_msb 1                        ;  msbs: dst=0 src0=1 src1=0 src2=0
	ds_load_b128 v[18:21], v23 /*v279*/ offset:128
	ds_load_b128 v[22:25], v22 /*v278*/ offset:128
	;; [unrolled: 1-line block ×4, first 2 shown]
	s_wait_dscnt 0x2
	s_set_vgpr_msb 0                        ;  msbs: dst=0 src0=0 src1=0 src2=0
	v_mul_f64_e32 v[36:37], v[24:25], v[20:21]
	v_mul_f64_e32 v[34:35], v[12:13], v[16:17]
	;; [unrolled: 1-line block ×4, first 2 shown]
	s_delay_alu instid0(VALU_DEP_4) | instskip(NEXT) | instid1(VALU_DEP_4)
	v_fmac_f64_e32 v[36:37], v[22:23], v[18:19]
	v_fmac_f64_e32 v[34:35], v[10:11], v[14:15]
	s_delay_alu instid0(VALU_DEP_4)
	v_fma_f64 v[38:39], v[10:11], v[16:17], -v[12:13]
	s_set_vgpr_msb 1                        ;  msbs: dst=0 src0=1 src1=0 src2=0
	ds_load_b128 v[10:13], v23 /*v279*/ offset:256
	ds_load_b128 v[14:17], v23 /*v279*/ offset:384
	s_set_vgpr_msb 0                        ;  msbs: dst=0 src0=0 src1=0 src2=0
	v_fma_f64 v[18:19], v[22:23], v[20:21], -v[24:25]
	s_wait_dscnt 0x1
	v_mul_f64_e32 v[40:41], v[28:29], v[12:13]
	v_mul_f64_e32 v[28:29], v[28:29], v[10:11]
	s_wait_dscnt 0x0
	v_mul_f64_e32 v[24:25], v[32:33], v[16:17]
	v_mul_f64_e32 v[32:33], v[32:33], v[14:15]
	v_add_f64_e32 v[20:21], 0, v[34:35]
	v_add_f64_e32 v[22:23], 0, v[38:39]
	v_fmac_f64_e32 v[40:41], v[26:27], v[10:11]
	v_fma_f64 v[10:11], v[26:27], v[12:13], -v[28:29]
	v_fmac_f64_e32 v[24:25], v[30:31], v[14:15]
	v_fma_f64 v[14:15], v[30:31], v[16:17], -v[32:33]
	v_add_f64_e32 v[12:13], v[20:21], v[36:37]
	v_add_f64_e32 v[18:19], v[22:23], v[18:19]
	s_delay_alu instid0(VALU_DEP_2) | instskip(NEXT) | instid1(VALU_DEP_2)
	v_add_f64_e32 v[12:13], v[12:13], v[40:41]
	v_add_f64_e32 v[10:11], v[18:19], v[10:11]
	s_delay_alu instid0(VALU_DEP_2) | instskip(NEXT) | instid1(VALU_DEP_2)
	v_add_f64_e32 v[44:45], v[12:13], v[24:25]
	v_add_f64_e32 v[46:47], v[10:11], v[14:15]
	s_set_vgpr_msb 1                        ;  msbs: dst=0 src0=1 src1=0 src2=0
	ds_load_b128 v[34:37], v14 /*v270*/ offset:512
	ds_load_b128 v[26:29], v14 /*v270*/ offset:528
	;; [unrolled: 1-line block ×4, first 2 shown]
	ds_load_b128 v[38:41], v15 /*v271*/
	ds_load_b128 v[30:33], v16 /*v272*/
	ds_load_b128 v[22:25], v16 /*v272*/ offset:528
	ds_load_b128 v[18:21], v16 /*v272*/ offset:1056
	s_wait_dscnt 0x0
	s_barrier_signal -1
	s_barrier_wait -1
	ds_store_b128 v22 /*v278*/, v[44:47]
	s_wait_dscnt 0x0
	s_barrier_signal -1
	s_barrier_wait -1
	s_and_saveexec_b32 s22, s21
	s_set_vgpr_msb 0                        ;  msbs: dst=0 src0=0 src1=0 src2=0
	s_cbranch_execz .LBB48_104
; %bb.103:                              ;   in Loop: Header=BB48_4 Depth=1
	s_set_vgpr_msb 1                        ;  msbs: dst=0 src0=1 src1=0 src2=0
	ds_load_b128 v[44:47], v17 /*v273*/
	ds_load_b128 v[48:51], v17 /*v273*/ offset:16
	s_wait_dscnt 0x1
	s_set_vgpr_msb 0                        ;  msbs: dst=0 src0=0 src1=0 src2=0
	v_add_f64_e32 v[6:7], v[6:7], v[44:45]
	v_add_f64_e32 v[8:9], v[8:9], v[46:47]
	s_wait_dscnt 0x0
	s_delay_alu instid0(VALU_DEP_2) | instskip(NEXT) | instid1(VALU_DEP_2)
	v_add_f64_e32 v[48:49], v[6:7], v[48:49]
	v_add_f64_e32 v[50:51], v[8:9], v[50:51]
	s_set_vgpr_msb 1                        ;  msbs: dst=0 src0=1 src1=0 src2=0
	ds_load_b128 v[6:9], v17 /*v273*/ offset:32
	ds_load_b128 v[44:47], v17 /*v273*/ offset:48
	s_wait_dscnt 0x1
	s_set_vgpr_msb 0                        ;  msbs: dst=0 src0=0 src1=0 src2=0
	v_add_f64_e32 v[6:7], v[48:49], v[6:7]
	v_add_f64_e32 v[8:9], v[50:51], v[8:9]
	s_wait_dscnt 0x0
	s_delay_alu instid0(VALU_DEP_2) | instskip(NEXT) | instid1(VALU_DEP_2)
	v_add_f64_e32 v[48:49], v[6:7], v[44:45]
	v_add_f64_e32 v[50:51], v[8:9], v[46:47]
	s_set_vgpr_msb 1                        ;  msbs: dst=0 src0=1 src1=0 src2=0
	ds_load_b128 v[6:9], v17 /*v273*/ offset:64
	;; [unrolled: 11-line block ×3, first 2 shown]
	ds_load_b128 v[44:47], v17 /*v273*/ offset:112
	s_wait_dscnt 0x1
	s_set_vgpr_msb 0                        ;  msbs: dst=0 src0=0 src1=0 src2=0
	v_add_f64_e32 v[6:7], v[48:49], v[6:7]
	v_add_f64_e32 v[8:9], v[50:51], v[8:9]
	s_wait_dscnt 0x0
	s_delay_alu instid0(VALU_DEP_2) | instskip(NEXT) | instid1(VALU_DEP_2)
	v_add_f64_e32 v[6:7], v[6:7], v[44:45]
	v_add_f64_e32 v[8:9], v[8:9], v[46:47]
.LBB48_104:                             ;   in Loop: Header=BB48_4 Depth=1
	s_or_b32 exec_lo, exec_lo, s22
	v_mul_f64_e32 v[44:45], v[36:37], v[40:41]
	v_mul_f64_e32 v[40:41], v[34:35], v[40:41]
	;; [unrolled: 1-line block ×4, first 2 shown]
	s_barrier_signal -1
	s_barrier_wait -1
	s_delay_alu instid0(VALU_DEP_4) | instskip(NEXT) | instid1(VALU_DEP_4)
	v_fma_f64 v[34:35], v[34:35], v[38:39], -v[44:45]
	v_fmac_f64_e32 v[40:41], v[36:37], v[38:39]
	v_mul_f64_e32 v[36:37], v[16:17], v[24:25]
	v_mul_f64_e32 v[24:25], v[14:15], v[24:25]
	v_fma_f64 v[26:27], v[26:27], v[30:31], -v[46:47]
	v_fmac_f64_e32 v[32:33], v[28:29], v[30:31]
	v_add_f64_e32 v[28:29], 0, v[34:35]
	v_add_f64_e32 v[30:31], 0, v[40:41]
	v_mul_f64_e32 v[34:35], v[12:13], v[20:21]
	v_mul_f64_e32 v[20:21], v[10:11], v[20:21]
	v_fma_f64 v[14:15], v[14:15], v[22:23], -v[36:37]
	v_fmac_f64_e32 v[24:25], v[16:17], v[22:23]
	v_add_f64_e32 v[16:17], v[28:29], v[26:27]
	v_add_f64_e32 v[22:23], v[30:31], v[32:33]
	v_fma_f64 v[10:11], v[10:11], v[18:19], -v[34:35]
	v_fmac_f64_e32 v[20:21], v[12:13], v[18:19]
	s_delay_alu instid0(VALU_DEP_4) | instskip(NEXT) | instid1(VALU_DEP_4)
	v_add_f64_e32 v[12:13], v[16:17], v[14:15]
	v_add_f64_e32 v[14:15], v[22:23], v[24:25]
	s_delay_alu instid0(VALU_DEP_2) | instskip(NEXT) | instid1(VALU_DEP_2)
	v_add_f64_e32 v[10:11], v[12:13], v[10:11]
	v_add_f64_e32 v[12:13], v[14:15], v[20:21]
	s_set_vgpr_msb 1                        ;  msbs: dst=0 src0=1 src1=0 src2=0
	ds_store_b128 v22 /*v278*/, v[10:13]
	s_wait_dscnt 0x0
	s_barrier_signal -1
	s_barrier_wait -1
	s_and_saveexec_b32 s22, s15
	s_set_vgpr_msb 0                        ;  msbs: dst=0 src0=0 src1=0 src2=0
	s_cbranch_execz .LBB48_106
; %bb.105:                              ;   in Loop: Header=BB48_4 Depth=1
	s_set_vgpr_msb 1                        ;  msbs: dst=0 src0=1 src1=0 src2=0
	ds_load_b128 v[10:13], v17 /*v273*/
	ds_load_b128 v[14:17], v17 /*v273*/ offset:16
	s_wait_dscnt 0x1
	s_set_vgpr_msb 0                        ;  msbs: dst=0 src0=0 src1=0 src2=0
	v_add_f64_e32 v[6:7], v[6:7], v[10:11]
	v_add_f64_e32 v[8:9], v[8:9], v[12:13]
	s_wait_dscnt 0x0
	s_delay_alu instid0(VALU_DEP_2) | instskip(NEXT) | instid1(VALU_DEP_2)
	v_add_f64_e32 v[14:15], v[6:7], v[14:15]
	v_add_f64_e32 v[16:17], v[8:9], v[16:17]
	s_set_vgpr_msb 1                        ;  msbs: dst=0 src0=1 src1=0 src2=0
	ds_load_b128 v[6:9], v17 /*v273*/ offset:32
	ds_load_b128 v[10:13], v17 /*v273*/ offset:48
	s_wait_dscnt 0x1
	s_set_vgpr_msb 0                        ;  msbs: dst=0 src0=0 src1=0 src2=0
	v_add_f64_e32 v[6:7], v[14:15], v[6:7]
	v_add_f64_e32 v[8:9], v[16:17], v[8:9]
	s_wait_dscnt 0x0
	s_delay_alu instid0(VALU_DEP_2) | instskip(NEXT) | instid1(VALU_DEP_2)
	v_add_f64_e32 v[14:15], v[6:7], v[10:11]
	v_add_f64_e32 v[16:17], v[8:9], v[12:13]
	s_set_vgpr_msb 1                        ;  msbs: dst=0 src0=1 src1=0 src2=0
	ds_load_b128 v[6:9], v17 /*v273*/ offset:64
	;; [unrolled: 11-line block ×3, first 2 shown]
	ds_load_b128 v[10:13], v17 /*v273*/ offset:112
	s_wait_dscnt 0x1
	s_set_vgpr_msb 0                        ;  msbs: dst=0 src0=0 src1=0 src2=0
	v_add_f64_e32 v[6:7], v[14:15], v[6:7]
	v_add_f64_e32 v[8:9], v[16:17], v[8:9]
	s_wait_dscnt 0x0
	s_delay_alu instid0(VALU_DEP_2) | instskip(NEXT) | instid1(VALU_DEP_2)
	v_add_f64_e32 v[6:7], v[6:7], v[10:11]
	v_add_f64_e32 v[8:9], v[8:9], v[12:13]
.LBB48_106:                             ;   in Loop: Header=BB48_4 Depth=1
	s_or_b32 exec_lo, exec_lo, s22
	s_mul_u64 s[22:23], s[52:53], s[34:35]
	s_and_not1_b32 vcc_lo, exec_lo, s45
	s_lshl_b64 s[22:23], s[22:23], 4
	s_delay_alu instid0(SALU_CYCLE_1)
	s_add_nc_u64 s[22:23], s[54:55], s[22:23]
	s_barrier_signal -1
	s_barrier_wait -1
	s_cbranch_vccnz .LBB48_164
; %bb.107:                              ;   in Loop: Header=BB48_4 Depth=1
	v_add_nc_u64_e32 v[228:229], v[4:5], v[192:193]
	v_add_nc_u64_e32 v[230:231], v[4:5], v[194:195]
	;; [unrolled: 1-line block ×14, first 2 shown]
	s_set_vgpr_msb 64                       ;  msbs: dst=1 src0=0 src1=0 src2=0
	v_add_nc_u64_e32 v[0:1] /*v[256:257]*/, v[4:5], v[220:221]
	v_add_nc_u64_e32 v[2:3] /*v[258:259]*/, v[4:5], v[222:223]
	v_lshl_add_u64 v[4:5] /*v[260:261]*/, s[66:67], 4, v[42:43]
	s_mov_b32 s78, s84
	s_mov_b32 s85, s48
	s_delay_alu instid0(SALU_CYCLE_1)
	s_cmp_eq_u32 s49, s85
	s_cselect_b32 s86, s80, 0
	s_and_saveexec_b32 s87, s0
	s_set_vgpr_msb 0                        ;  msbs: dst=0 src0=0 src1=0 src2=0
	s_cbranch_execz .LBB48_112
.LBB48_108:                             ;   in Loop: Header=BB48_4 Depth=1
	s_set_vgpr_msb 4                        ;  msbs: dst=0 src0=0 src1=1 src2=0
	v_cmp_le_i32_e32 vcc_lo, s86, v6 /*v262*/
	s_cmp_lg_u32 s86, 0
	s_cselect_b32 s79, -1, 0
	s_delay_alu instid0(SALU_CYCLE_1) | instskip(NEXT) | instid1(SALU_CYCLE_1)
	s_and_b32 s79, s79, vcc_lo
	s_and_saveexec_b32 s88, s79
	s_delay_alu instid0(SALU_CYCLE_1)
	s_xor_b32 s79, exec_lo, s88
; %bb.109:                              ;   in Loop: Header=BB48_4 Depth=1
	v_dual_mov_b32 v3, v2 :: v_dual_mov_b32 v4, v2
	v_mov_b32_e32 v5, v2
	s_set_vgpr_msb 1                        ;  msbs: dst=0 src0=1 src1=0 src2=0
	ds_store_b128 v32 /*v288*/, v[2:5]
; %bb.110:                              ;   in Loop: Header=BB48_4 Depth=1
	s_and_not1_saveexec_b32 s79, s79
	s_set_vgpr_msb 0                        ;  msbs: dst=0 src0=0 src1=0 src2=0
	s_cbranch_execz .LBB48_112
; %bb.111:                              ;   in Loop: Header=BB48_4 Depth=1
	s_ashr_i32 s79, s78, 31
	s_delay_alu instid0(SALU_CYCLE_1)
	s_mul_u64 s[88:89], s[46:47], s[78:79]
	s_set_vgpr_msb 16                       ;  msbs: dst=0 src0=0 src1=0 src2=1
	v_lshl_add_u64 v[4:5], s[88:89], 4, v[4:5] /*v[260:261]*/
	flat_load_b128 v[10:13], v[4:5]
	s_wait_loadcnt_dscnt 0x0
	s_set_vgpr_msb 1                        ;  msbs: dst=0 src0=1 src1=0 src2=0
	ds_store_2addr_b64 v32 /*v288*/, v[10:11], v[12:13] offset1:1
.LBB48_112:                             ;   Parent Loop BB48_4 Depth=1
                                        ; =>  This Inner Loop Header: Depth=2
	s_wait_xcnt 0x0
	s_or_b32 exec_lo, exec_lo, s87
	s_cmp_eq_u32 s86, 0
	s_set_vgpr_msb 0                        ;  msbs: dst=0 src0=0 src1=0 src2=0
	v_add_nc_u64_e32 v[4:5], v[236:237], v[188:189]
	s_cselect_b32 s79, -1, 0
	s_cmp_lg_u32 s86, 0
	s_wait_dscnt 0x0
	s_cselect_b32 s87, -1, 0
	s_barrier_signal -1
	s_and_b32 vcc_lo, exec_lo, s87
	s_barrier_wait -1
	s_cbranch_vccz .LBB48_120
; %bb.113:                              ;   in Loop: Header=BB48_112 Depth=2
	v_mov_b64_e32 v[10:11], 0
	v_mov_b64_e32 v[14:15], 0
	;; [unrolled: 1-line block ×3, first 2 shown]
	s_mov_b32 s88, exec_lo
	s_set_vgpr_msb 4                        ;  msbs: dst=0 src0=0 src1=1 src2=0
	v_cmpx_gt_i32_e64 s86, v19 /*v275*/
	s_set_vgpr_msb 0                        ;  msbs: dst=0 src0=0 src1=0 src2=0
	s_cbranch_execz .LBB48_115
; %bb.114:                              ;   in Loop: Header=BB48_112 Depth=2
	flat_load_b128 v[14:17], v[4:5]
.LBB48_115:                             ;   in Loop: Header=BB48_112 Depth=2
	s_wait_xcnt 0x0
	s_or_b32 exec_lo, exec_lo, s88
	v_mov_b64_e32 v[12:13], 0
	s_mov_b32 s88, exec_lo
	s_set_vgpr_msb 4                        ;  msbs: dst=0 src0=0 src1=1 src2=0
	v_cmpx_gt_i32_e64 s86, v33 /*v289*/
	s_set_vgpr_msb 0                        ;  msbs: dst=0 src0=0 src1=0 src2=0
	s_cbranch_execz .LBB48_117
; %bb.116:                              ;   in Loop: Header=BB48_112 Depth=2
	v_add_nc_u64_e32 v[10:11], v[232:233], v[188:189]
	flat_load_b128 v[10:13], v[10:11]
.LBB48_117:                             ;   in Loop: Header=BB48_112 Depth=2
	s_wait_xcnt 0x0
	s_or_b32 exec_lo, exec_lo, s88
	v_mov_b64_e32 v[18:19], 0
	v_mov_b64_e32 v[20:21], 0
	s_mov_b32 s88, exec_lo
	s_set_vgpr_msb 4                        ;  msbs: dst=0 src0=0 src1=1 src2=0
	v_cmpx_gt_i32_e64 s86, v34 /*v290*/
	s_set_vgpr_msb 0                        ;  msbs: dst=0 src0=0 src1=0 src2=0
	s_cbranch_execz .LBB48_119
; %bb.118:                              ;   in Loop: Header=BB48_112 Depth=2
	v_add_nc_u64_e32 v[18:19], v[228:229], v[188:189]
	flat_load_b128 v[18:21], v[18:19] offset:-8
.LBB48_119:                             ;   in Loop: Header=BB48_112 Depth=2
	s_wait_xcnt 0x0
	s_or_b32 exec_lo, exec_lo, s88
	s_set_vgpr_msb 4                        ;  msbs: dst=0 src0=0 src1=1 src2=0
	v_cmp_gt_i32_e64 s88, s86, v35 /*v291*/
	s_set_vgpr_msb 0                        ;  msbs: dst=0 src0=0 src1=0 src2=0
	s_branch .LBB48_122
.LBB48_120:                             ;   in Loop: Header=BB48_112 Depth=2
	s_mov_b32 s88, 0
                                        ; implicit-def: $vgpr20_vgpr21
                                        ; implicit-def: $vgpr12_vgpr13
                                        ; implicit-def: $vgpr16_vgpr17
	s_cbranch_execz .LBB48_122
; %bb.121:                              ;   in Loop: Header=BB48_112 Depth=2
	s_wait_loadcnt_dscnt 0x0
	v_add_nc_u64_e32 v[10:11], v[232:233], v[188:189]
	v_add_nc_u64_e32 v[18:19], v[228:229], v[188:189]
	s_or_b32 s88, s88, exec_lo
	flat_load_b128 v[14:17], v[4:5]
	flat_load_b128 v[10:13], v[10:11]
	flat_load_b128 v[18:21], v[18:19] offset:-8
.LBB48_122:                             ;   in Loop: Header=BB48_112 Depth=2
	v_mov_b64_e32 v[22:23], 0
	v_mov_b64_e32 v[24:25], 0
	s_wait_xcnt 0x0
	s_and_saveexec_b32 s89, s88
	s_cbranch_execz .LBB48_124
; %bb.123:                              ;   in Loop: Header=BB48_112 Depth=2
	v_add_nc_u64_e32 v[4:5], v[240:241], v[188:189]
	flat_load_b128 v[22:25], v[4:5]
.LBB48_124:                             ;   in Loop: Header=BB48_112 Depth=2
	s_wait_xcnt 0x0
	s_or_b32 exec_lo, exec_lo, s89
	s_set_vgpr_msb 1                        ;  msbs: dst=0 src0=1 src1=0 src2=0
	ds_load_b128 v[30:33], v25 /*v281*/
	ds_load_b128 v[26:29], v10 /*v266*/
	v_cndmask_b32_e64 v3, 0, 1, s87
	s_and_not1_b32 vcc_lo, exec_lo, s87
	s_wait_loadcnt_dscnt 0x1
	s_set_vgpr_msb 0                        ;  msbs: dst=0 src0=0 src1=0 src2=0
	v_mul_f64_e32 v[42:43], v[16:17], v[32:33]
	v_mul_f64_e32 v[4:5], v[16:17], v[30:31]
	;; [unrolled: 1-line block ×8, first 2 shown]
	v_fmac_f64_e32 v[42:43], v[14:15], v[30:31]
	v_fma_f64 v[44:45], v[14:15], v[32:33], -v[4:5]
	v_fmac_f64_e32 v[46:47], v[10:11], v[30:31]
	v_fma_f64 v[48:49], v[10:11], v[32:33], -v[34:35]
	;; [unrolled: 2-line block ×4, first 2 shown]
	s_set_vgpr_msb 1                        ;  msbs: dst=0 src0=1 src1=0 src2=0
	ds_load_b128 v[38:41], v10 /*v266*/ offset:16
	ds_load_b128 v[34:37], v10 /*v266*/ offset:32
	;; [unrolled: 1-line block ×3, first 2 shown]
	s_set_vgpr_msb 0                        ;  msbs: dst=0 src0=0 src1=0 src2=0
	v_add_nc_u64_e32 v[4:5], v[252:253], v[188:189]
	s_set_vgpr_msb 1                        ;  msbs: dst=0 src0=1 src1=0 src2=0
	ds_store_b128 v20 /*v276*/, v[42:45]
	ds_store_b128 v20 /*v276*/, v[46:49] offset:1072
	ds_store_b128 v20 /*v276*/, v[50:53] offset:2144
	;; [unrolled: 1-line block ×3, first 2 shown]
	s_wait_dscnt 0x0
	s_barrier_signal -1
	s_barrier_wait -1
	ds_load_b128 v[98:101], v11 /*v267*/
	ds_load_b128 v[94:97], v11 /*v267*/ offset:16
	ds_load_b128 v[90:93], v11 /*v267*/ offset:32
	;; [unrolled: 1-line block ×3, first 2 shown]
	s_wait_dscnt 0x0
	s_barrier_signal -1
	s_barrier_wait -1
	s_set_vgpr_msb 0                        ;  msbs: dst=0 src0=0 src1=0 src2=0
	s_cbranch_vccnz .LBB48_132
; %bb.125:                              ;   in Loop: Header=BB48_112 Depth=2
	v_mov_b64_e32 v[42:43], 0
	v_mov_b64_e32 v[46:47], 0
	;; [unrolled: 1-line block ×3, first 2 shown]
	s_mov_b32 s87, exec_lo
	s_set_vgpr_msb 4                        ;  msbs: dst=0 src0=0 src1=1 src2=0
	v_cmpx_gt_i32_e64 s86, v36 /*v292*/
	s_set_vgpr_msb 0                        ;  msbs: dst=0 src0=0 src1=0 src2=0
	s_cbranch_execz .LBB48_127
; %bb.126:                              ;   in Loop: Header=BB48_112 Depth=2
	flat_load_b128 v[46:49], v[4:5]
.LBB48_127:                             ;   in Loop: Header=BB48_112 Depth=2
	s_wait_xcnt 0x0
	s_or_b32 exec_lo, exec_lo, s87
	v_mov_b64_e32 v[44:45], 0
	s_mov_b32 s87, exec_lo
	s_set_vgpr_msb 4                        ;  msbs: dst=0 src0=0 src1=1 src2=0
	v_cmpx_gt_i32_e64 s86, v37 /*v293*/
	s_set_vgpr_msb 0                        ;  msbs: dst=0 src0=0 src1=0 src2=0
	s_cbranch_execz .LBB48_129
; %bb.128:                              ;   in Loop: Header=BB48_112 Depth=2
	v_add_nc_u64_e32 v[42:43], v[248:249], v[188:189]
	flat_load_b128 v[42:45], v[42:43]
.LBB48_129:                             ;   in Loop: Header=BB48_112 Depth=2
	s_wait_xcnt 0x0
	s_or_b32 exec_lo, exec_lo, s87
	v_mov_b64_e32 v[50:51], 0
	v_mov_b64_e32 v[52:53], 0
	s_mov_b32 s87, exec_lo
	s_set_vgpr_msb 4                        ;  msbs: dst=0 src0=0 src1=1 src2=0
	v_cmpx_gt_i32_e64 s86, v38 /*v294*/
	s_set_vgpr_msb 0                        ;  msbs: dst=0 src0=0 src1=0 src2=0
	s_cbranch_execz .LBB48_131
; %bb.130:                              ;   in Loop: Header=BB48_112 Depth=2
	v_add_nc_u64_e32 v[50:51], v[244:245], v[188:189]
	flat_load_b128 v[50:53], v[50:51] offset:-8
.LBB48_131:                             ;   in Loop: Header=BB48_112 Depth=2
	s_wait_xcnt 0x0
	s_or_b32 exec_lo, exec_lo, s87
	s_set_vgpr_msb 4                        ;  msbs: dst=0 src0=0 src1=1 src2=0
	v_cmp_gt_i32_e64 s87, s86, v39 /*v295*/
	s_set_vgpr_msb 0                        ;  msbs: dst=0 src0=0 src1=0 src2=0
	s_branch .LBB48_134
.LBB48_132:                             ;   in Loop: Header=BB48_112 Depth=2
	s_mov_b32 s87, 0
                                        ; implicit-def: $vgpr52_vgpr53
                                        ; implicit-def: $vgpr44_vgpr45
                                        ; implicit-def: $vgpr48_vgpr49
	s_cbranch_execz .LBB48_134
; %bb.133:                              ;   in Loop: Header=BB48_112 Depth=2
	s_wait_loadcnt_dscnt 0x0
	v_add_nc_u64_e32 v[42:43], v[248:249], v[188:189]
	v_add_nc_u64_e32 v[50:51], v[244:245], v[188:189]
	s_or_b32 s87, s87, exec_lo
	flat_load_b128 v[46:49], v[4:5]
	flat_load_b128 v[42:45], v[42:43]
	flat_load_b128 v[50:53], v[50:51] offset:-8
.LBB48_134:                             ;   in Loop: Header=BB48_112 Depth=2
	v_mov_b64_e32 v[54:55], 0
	v_mov_b64_e32 v[56:57], 0
	s_wait_xcnt 0x0
	s_and_saveexec_b32 s88, s87
	s_cbranch_execz .LBB48_136
; %bb.135:                              ;   in Loop: Header=BB48_112 Depth=2
	s_set_vgpr_msb 1                        ;  msbs: dst=0 src0=1 src1=0 src2=0
	v_add_nc_u64_e32 v[4:5], v[0:1] /*v[256:257]*/, v[188:189]
	s_set_vgpr_msb 0                        ;  msbs: dst=0 src0=0 src1=0 src2=0
	flat_load_b128 v[54:57], v[4:5]
.LBB48_136:                             ;   in Loop: Header=BB48_112 Depth=2
	s_wait_xcnt 0x0
	s_or_b32 exec_lo, exec_lo, s88
	s_set_vgpr_msb 1                        ;  msbs: dst=0 src0=1 src1=0 src2=0
	ds_load_b128 v[62:65], v25 /*v281*/
	ds_load_b128 v[58:61], v10 /*v266*/ offset:256
	v_cmp_ne_u32_e32 vcc_lo, 1, v3
	s_and_b32 vcc_lo, exec_lo, vcc_lo
	s_wait_loadcnt_dscnt 0x1
	s_set_vgpr_msb 0                        ;  msbs: dst=0 src0=0 src1=0 src2=0
	v_mul_f64_e32 v[70:71], v[48:49], v[64:65]
	v_mul_f64_e32 v[4:5], v[48:49], v[62:63]
	;; [unrolled: 1-line block ×8, first 2 shown]
	v_fmac_f64_e32 v[70:71], v[46:47], v[62:63]
	v_fma_f64 v[72:73], v[46:47], v[64:65], -v[4:5]
	v_fmac_f64_e32 v[78:79], v[42:43], v[62:63]
	v_fma_f64 v[80:81], v[42:43], v[64:65], -v[66:67]
	;; [unrolled: 2-line block ×4, first 2 shown]
	s_set_vgpr_msb 1                        ;  msbs: dst=0 src0=1 src1=0 src2=0
	ds_load_b128 v[74:77], v10 /*v266*/ offset:272
	ds_load_b128 v[66:69], v10 /*v266*/ offset:288
	;; [unrolled: 1-line block ×3, first 2 shown]
	s_set_vgpr_msb 0                        ;  msbs: dst=0 src0=0 src1=0 src2=0
	v_add_nc_u64_e32 v[4:5], v[250:251], v[188:189]
	s_set_vgpr_msb 1                        ;  msbs: dst=0 src0=1 src1=0 src2=0
	ds_store_b128 v20 /*v276*/, v[70:73]
	ds_store_b128 v20 /*v276*/, v[78:81] offset:1072
	ds_store_b128 v20 /*v276*/, v[82:85] offset:2144
	;; [unrolled: 1-line block ×3, first 2 shown]
	s_wait_dscnt 0x0
	s_barrier_signal -1
	s_barrier_wait -1
	ds_load_b128 v[150:153], v11 /*v267*/
	ds_load_b128 v[146:149], v11 /*v267*/ offset:16
	ds_load_b128 v[138:141], v11 /*v267*/ offset:32
	;; [unrolled: 1-line block ×3, first 2 shown]
	s_wait_dscnt 0x0
	s_barrier_signal -1
	s_barrier_wait -1
	s_set_vgpr_msb 0                        ;  msbs: dst=0 src0=0 src1=0 src2=0
	s_cbranch_vccnz .LBB48_144
; %bb.137:                              ;   in Loop: Header=BB48_112 Depth=2
	v_mov_b64_e32 v[70:71], 0
	v_mov_b64_e32 v[78:79], 0
	;; [unrolled: 1-line block ×3, first 2 shown]
	s_mov_b32 s87, exec_lo
	s_set_vgpr_msb 4                        ;  msbs: dst=0 src0=0 src1=1 src2=0
	v_cmpx_gt_i32_e64 s86, v40 /*v296*/
	s_set_vgpr_msb 0                        ;  msbs: dst=0 src0=0 src1=0 src2=0
	s_cbranch_execz .LBB48_139
; %bb.138:                              ;   in Loop: Header=BB48_112 Depth=2
	flat_load_b128 v[78:81], v[4:5] offset:-8
.LBB48_139:                             ;   in Loop: Header=BB48_112 Depth=2
	s_wait_xcnt 0x0
	s_or_b32 exec_lo, exec_lo, s87
	v_mov_b64_e32 v[72:73], 0
	s_mov_b32 s87, exec_lo
	s_set_vgpr_msb 4                        ;  msbs: dst=0 src0=0 src1=1 src2=0
	v_cmpx_gt_i32_e64 s86, v41 /*v297*/
	s_set_vgpr_msb 0                        ;  msbs: dst=0 src0=0 src1=0 src2=0
	s_cbranch_execz .LBB48_141
; %bb.140:                              ;   in Loop: Header=BB48_112 Depth=2
	v_add_nc_u64_e32 v[70:71], v[254:255], v[188:189]
	flat_load_b128 v[70:73], v[70:71] offset:-8
.LBB48_141:                             ;   in Loop: Header=BB48_112 Depth=2
	s_wait_xcnt 0x0
	s_or_b32 exec_lo, exec_lo, s87
	v_mov_b64_e32 v[82:83], 0
	v_mov_b64_e32 v[84:85], 0
	s_mov_b32 s87, exec_lo
	s_set_vgpr_msb 4                        ;  msbs: dst=0 src0=0 src1=1 src2=0
	v_cmpx_gt_i32_e64 s86, v42 /*v298*/
	s_set_vgpr_msb 0                        ;  msbs: dst=0 src0=0 src1=0 src2=0
	s_cbranch_execz .LBB48_143
; %bb.142:                              ;   in Loop: Header=BB48_112 Depth=2
	s_set_vgpr_msb 1                        ;  msbs: dst=0 src0=1 src1=0 src2=0
	v_add_nc_u64_e32 v[82:83], v[2:3] /*v[258:259]*/, v[188:189]
	s_set_vgpr_msb 0                        ;  msbs: dst=0 src0=0 src1=0 src2=0
	flat_load_b128 v[82:85], v[82:83] offset:-8
.LBB48_143:                             ;   in Loop: Header=BB48_112 Depth=2
	s_wait_xcnt 0x0
	s_or_b32 exec_lo, exec_lo, s87
	s_set_vgpr_msb 4                        ;  msbs: dst=0 src0=0 src1=1 src2=0
	v_cmp_gt_i32_e64 s87, s86, v43 /*v299*/
	s_set_vgpr_msb 0                        ;  msbs: dst=0 src0=0 src1=0 src2=0
	s_branch .LBB48_146
.LBB48_144:                             ;   in Loop: Header=BB48_112 Depth=2
	s_mov_b32 s87, 0
                                        ; implicit-def: $vgpr84_vgpr85
                                        ; implicit-def: $vgpr72_vgpr73
                                        ; implicit-def: $vgpr80_vgpr81
	s_cbranch_execz .LBB48_146
; %bb.145:                              ;   in Loop: Header=BB48_112 Depth=2
	s_wait_loadcnt_dscnt 0x0
	v_add_nc_u64_e32 v[70:71], v[254:255], v[188:189]
	s_set_vgpr_msb 1                        ;  msbs: dst=0 src0=1 src1=0 src2=0
	v_add_nc_u64_e32 v[82:83], v[2:3] /*v[258:259]*/, v[188:189]
	s_or_b32 s87, s87, exec_lo
	s_set_vgpr_msb 0                        ;  msbs: dst=0 src0=0 src1=0 src2=0
	flat_load_b128 v[78:81], v[4:5] offset:-8
	flat_load_b128 v[70:73], v[70:71] offset:-8
	;; [unrolled: 1-line block ×3, first 2 shown]
.LBB48_146:                             ;   in Loop: Header=BB48_112 Depth=2
	v_mov_b64_e32 v[102:103], 0
	v_mov_b64_e32 v[104:105], 0
	s_wait_xcnt 0x0
	s_and_saveexec_b32 s88, s87
	s_cbranch_execz .LBB48_148
; %bb.147:                              ;   in Loop: Header=BB48_112 Depth=2
	v_add_nc_u64_e32 v[4:5], v[246:247], v[188:189]
	flat_load_b128 v[102:105], v[4:5] offset:-8
.LBB48_148:                             ;   in Loop: Header=BB48_112 Depth=2
	s_wait_xcnt 0x0
	s_or_b32 exec_lo, exec_lo, s88
	s_set_vgpr_msb 1                        ;  msbs: dst=0 src0=1 src1=0 src2=0
	ds_load_b128 v[106:109], v25 /*v281*/
	v_cmp_ne_u32_e32 vcc_lo, 1, v3
	s_and_b32 vcc_lo, exec_lo, vcc_lo
	s_wait_loadcnt_dscnt 0x0
	s_set_vgpr_msb 0                        ;  msbs: dst=0 src0=0 src1=0 src2=0
	v_mul_f64_e32 v[118:119], v[80:81], v[108:109]
	v_mul_f64_e32 v[4:5], v[80:81], v[106:107]
	;; [unrolled: 1-line block ×8, first 2 shown]
	v_fmac_f64_e32 v[118:119], v[78:79], v[106:107]
	v_fma_f64 v[120:121], v[78:79], v[108:109], -v[4:5]
	v_fmac_f64_e32 v[126:127], v[70:71], v[106:107]
	v_fma_f64 v[128:129], v[70:71], v[108:109], -v[110:111]
	;; [unrolled: 2-line block ×4, first 2 shown]
	s_set_vgpr_msb 1                        ;  msbs: dst=0 src0=1 src1=0 src2=0
	ds_load_b128 v[122:125], v10 /*v266*/ offset:512
	ds_load_b128 v[114:117], v10 /*v266*/ offset:528
	ds_load_b128 v[110:113], v10 /*v266*/ offset:544
	ds_load_b128 v[106:109], v10 /*v266*/ offset:560
	s_set_vgpr_msb 0                        ;  msbs: dst=0 src0=0 src1=0 src2=0
	v_add_nc_u64_e32 v[4:5], v[234:235], v[188:189]
	s_set_vgpr_msb 1                        ;  msbs: dst=0 src0=1 src1=0 src2=0
	ds_store_b128 v20 /*v276*/, v[118:121]
	ds_store_b128 v20 /*v276*/, v[126:129] offset:1072
	ds_store_b128 v20 /*v276*/, v[130:133] offset:2144
	ds_store_b128 v20 /*v276*/, v[142:145] offset:3216
	s_wait_dscnt 0x0
	s_barrier_signal -1
	s_barrier_wait -1
	ds_load_b128 v[182:185], v11 /*v267*/
	ds_load_b128 v[178:181], v11 /*v267*/ offset:16
	ds_load_b128 v[174:177], v11 /*v267*/ offset:32
	;; [unrolled: 1-line block ×3, first 2 shown]
	s_wait_dscnt 0x0
	s_barrier_signal -1
	s_barrier_wait -1
	s_set_vgpr_msb 0                        ;  msbs: dst=0 src0=0 src1=0 src2=0
	s_cbranch_vccnz .LBB48_156
; %bb.149:                              ;   in Loop: Header=BB48_112 Depth=2
	v_mov_b64_e32 v[118:119], 0
	v_mov_b64_e32 v[126:127], 0
	;; [unrolled: 1-line block ×3, first 2 shown]
	s_mov_b32 s87, exec_lo
	s_set_vgpr_msb 4                        ;  msbs: dst=0 src0=0 src1=1 src2=0
	v_cmpx_gt_i32_e64 s86, v44 /*v300*/
	s_set_vgpr_msb 0                        ;  msbs: dst=0 src0=0 src1=0 src2=0
	s_cbranch_execz .LBB48_151
; %bb.150:                              ;   in Loop: Header=BB48_112 Depth=2
	flat_load_b128 v[126:129], v[4:5] offset:-8
.LBB48_151:                             ;   in Loop: Header=BB48_112 Depth=2
	s_wait_xcnt 0x0
	s_or_b32 exec_lo, exec_lo, s87
	v_mov_b64_e32 v[120:121], 0
	s_mov_b32 s87, exec_lo
	s_set_vgpr_msb 4                        ;  msbs: dst=0 src0=0 src1=1 src2=0
	v_cmpx_gt_i32_e64 s86, v45 /*v301*/
	s_set_vgpr_msb 0                        ;  msbs: dst=0 src0=0 src1=0 src2=0
	s_cbranch_execz .LBB48_153
; %bb.152:                              ;   in Loop: Header=BB48_112 Depth=2
	v_add_nc_u64_e32 v[118:119], v[238:239], v[188:189]
	flat_load_b128 v[118:121], v[118:119] offset:-8
.LBB48_153:                             ;   in Loop: Header=BB48_112 Depth=2
	s_wait_xcnt 0x0
	s_or_b32 exec_lo, exec_lo, s87
	v_mov_b64_e32 v[130:131], 0
	v_mov_b64_e32 v[132:133], 0
	s_mov_b32 s87, exec_lo
	s_set_vgpr_msb 4                        ;  msbs: dst=0 src0=0 src1=1 src2=0
	v_cmpx_gt_i32_e64 s86, v46 /*v302*/
	s_set_vgpr_msb 0                        ;  msbs: dst=0 src0=0 src1=0 src2=0
	s_cbranch_execz .LBB48_155
; %bb.154:                              ;   in Loop: Header=BB48_112 Depth=2
	v_add_nc_u64_e32 v[130:131], v[242:243], v[188:189]
	flat_load_b128 v[130:133], v[130:131]
.LBB48_155:                             ;   in Loop: Header=BB48_112 Depth=2
	s_wait_xcnt 0x0
	s_or_b32 exec_lo, exec_lo, s87
	s_set_vgpr_msb 4                        ;  msbs: dst=0 src0=0 src1=1 src2=0
	v_cmp_gt_i32_e64 s87, s86, v47 /*v303*/
	s_set_vgpr_msb 0                        ;  msbs: dst=0 src0=0 src1=0 src2=0
	s_branch .LBB48_158
.LBB48_156:                             ;   in Loop: Header=BB48_112 Depth=2
	s_mov_b32 s87, 0
                                        ; implicit-def: $vgpr132_vgpr133
                                        ; implicit-def: $vgpr120_vgpr121
                                        ; implicit-def: $vgpr128_vgpr129
	s_cbranch_execz .LBB48_158
; %bb.157:                              ;   in Loop: Header=BB48_112 Depth=2
	s_wait_loadcnt_dscnt 0x0
	v_add_nc_u64_e32 v[118:119], v[238:239], v[188:189]
	v_add_nc_u64_e32 v[130:131], v[242:243], v[188:189]
	s_or_b32 s87, s87, exec_lo
	flat_load_b128 v[126:129], v[4:5] offset:-8
	flat_load_b128 v[118:121], v[118:119] offset:-8
	flat_load_b128 v[130:133], v[130:131]
.LBB48_158:                             ;   in Loop: Header=BB48_112 Depth=2
	v_mov_b64_e32 v[142:143], 0
	v_mov_b64_e32 v[144:145], 0
	s_wait_xcnt 0x0
	s_and_saveexec_b32 s88, s87
	s_cbranch_execz .LBB48_160
; %bb.159:                              ;   in Loop: Header=BB48_112 Depth=2
	v_add_nc_u64_e32 v[4:5], v[230:231], v[188:189]
	flat_load_b128 v[142:145], v[4:5] offset:-8
.LBB48_160:                             ;   in Loop: Header=BB48_112 Depth=2
	s_wait_xcnt 0x0
	s_or_b32 exec_lo, exec_lo, s88
	s_set_vgpr_msb 1                        ;  msbs: dst=0 src0=1 src1=0 src2=0
	ds_load_b128 v[158:161], v25 /*v281*/
	ds_load_b128 v[154:157], v10 /*v266*/ offset:768
	v_add_f64_e32 v[150:151], 0, v[150:151]
	v_add_f64_e32 v[152:153], 0, v[152:153]
	s_set_vgpr_msb 4                        ;  msbs: dst=0 src0=0 src1=1 src2=0
	v_cmp_gt_i32_e32 vcc_lo, s86, v6 /*v262*/
	s_or_b32 s79, s79, vcc_lo
	s_delay_alu instid0(SALU_CYCLE_1)
	s_and_b32 s86, s18, s79
	s_wait_loadcnt_dscnt 0x1
	s_set_vgpr_msb 64                       ;  msbs: dst=1 src0=0 src1=0 src2=0
	v_mul_f64_e32 v[48:49] /*v[304:305]*/, v[128:129], v[160:161]
	s_set_vgpr_msb 0                        ;  msbs: dst=0 src0=0 src1=0 src2=0
	v_mul_f64_e32 v[4:5], v[128:129], v[158:159]
	s_set_vgpr_msb 64                       ;  msbs: dst=1 src0=0 src1=0 src2=0
	v_mul_f64_e32 v[52:53] /*v[308:309]*/, v[120:121], v[160:161]
	s_set_vgpr_msb 0                        ;  msbs: dst=0 src0=0 src1=0 src2=0
	v_mul_f64_e32 v[162:163], v[120:121], v[158:159]
	;; [unrolled: 4-line block ×4, first 2 shown]
	v_add_f64_e32 v[146:147], v[150:151], v[146:147]
	v_add_f64_e32 v[148:149], v[152:153], v[148:149]
	s_set_vgpr_msb 64                       ;  msbs: dst=1 src0=0 src1=0 src2=0
	v_fmac_f64_e32 v[48:49] /*v[304:305]*/, v[126:127], v[158:159]
	v_fma_f64 v[50:51] /*v[306:307]*/, v[126:127], v[160:161], -v[4:5]
	v_fmac_f64_e32 v[52:53] /*v[308:309]*/, v[118:119], v[158:159]
	v_fma_f64 v[54:55] /*v[310:311]*/, v[118:119], v[160:161], -v[162:163]
	;; [unrolled: 2-line block ×4, first 2 shown]
	s_set_vgpr_msb 1                        ;  msbs: dst=0 src0=1 src1=0 src2=0
	ds_load_b128 v[166:169], v10 /*v266*/ offset:784
	ds_load_b128 v[162:165], v10 /*v266*/ offset:800
	;; [unrolled: 1-line block ×3, first 2 shown]
	v_add_f64_e32 v[4:5], 0, v[182:183]
	v_add_f64_e32 v[182:183], 0, v[184:185]
	;; [unrolled: 1-line block ×3, first 2 shown]
	s_set_vgpr_msb 5                        ;  msbs: dst=0 src0=1 src1=1 src2=0
	ds_store_b128 v20 /*v276*/, v[48:51] /*v[304:307]*/
	ds_store_b128 v20 /*v276*/, v[52:55] /*v[308:311]*/ offset:1072
	ds_store_b128 v20 /*v276*/, v[56:59] /*v[312:315]*/ offset:2144
	;; [unrolled: 1-line block ×3, first 2 shown]
	s_wait_dscnt 0x0
	s_barrier_signal -1
	s_barrier_wait -1
	s_set_vgpr_msb 0x41                     ;  msbs: dst=1 src0=1 src1=0 src2=0
	ds_load_b128 v[48:51] /*v[304:307]*/, v11 /*v267*/
	v_add_f64_e32 v[52:53] /*v[308:309]*/, 0, v[100:101]
	s_set_vgpr_msb 1                        ;  msbs: dst=0 src0=1 src1=0 src2=0
	ds_load_b128 v[98:101], v11 /*v267*/ offset:16
	s_set_vgpr_msb 0                        ;  msbs: dst=0 src0=0 src1=0 src2=0
	v_add_f64_e32 v[150:151], v[184:185], v[94:95]
	v_add_f64_e32 v[4:5], v[4:5], v[178:179]
	;; [unrolled: 1-line block ×5, first 2 shown]
	s_wait_dscnt 0x1
	s_set_vgpr_msb 0x44                     ;  msbs: dst=1 src0=0 src1=1 src2=0
	v_add_f64_e32 v[48:49] /*v[304:305]*/, 0, v[48:49] /*v[304:305]*/
	v_add_f64_e32 v[50:51] /*v[306:307]*/, 0, v[50:51] /*v[306:307]*/
	s_set_vgpr_msb 1                        ;  msbs: dst=0 src0=1 src1=0 src2=0
	v_add_f64_e32 v[152:153], v[52:53] /*v[308:309]*/, v[96:97]
	ds_load_b128 v[94:97], v11 /*v267*/ offset:32
	s_set_vgpr_msb 0                        ;  msbs: dst=0 src0=0 src1=0 src2=0
	v_add_f64_e32 v[146:147], v[150:151], v[90:91]
	v_add_f64_e32 v[4:5], v[4:5], v[174:175]
	;; [unrolled: 1-line block ×3, first 2 shown]
	s_wait_dscnt 0x1
	s_set_vgpr_msb 1                        ;  msbs: dst=0 src0=1 src1=0 src2=0
	v_add_f64_e32 v[98:99], v[48:49] /*v[304:305]*/, v[98:99]
	v_add_f64_e32 v[100:101], v[50:51] /*v[306:307]*/, v[100:101]
	s_set_vgpr_msb 0                        ;  msbs: dst=0 src0=0 src1=0 src2=0
	v_add_f64_e32 v[148:149], v[152:153], v[92:93]
	s_set_vgpr_msb 1                        ;  msbs: dst=0 src0=1 src1=0 src2=0
	ds_load_b128 v[90:93], v11 /*v267*/ offset:48
	s_set_vgpr_msb 0                        ;  msbs: dst=0 src0=0 src1=0 src2=0
	v_add_f64_e32 v[86:87], v[146:147], v[86:87]
	s_wait_dscnt 0x0
	s_barrier_signal -1
	s_barrier_wait -1
	v_add_f64_e32 v[150:151], v[98:99], v[94:95]
	v_add_f64_e32 v[152:153], v[100:101], v[96:97]
	;; [unrolled: 1-line block ×9, first 2 shown]
	s_set_vgpr_msb 1                        ;  msbs: dst=0 src0=1 src1=0 src2=0
	ds_store_b128 v24 /*v280*/, v[86:89]
	ds_store_b128 v24 /*v280*/, v[98:101] offset:256
	ds_store_b128 v24 /*v280*/, v[94:97] offset:512
	;; [unrolled: 1-line block ×3, first 2 shown]
	s_wait_dscnt 0x0
	s_barrier_signal -1
	s_barrier_wait -1
	s_and_saveexec_b32 s79, s86
	s_set_vgpr_msb 0                        ;  msbs: dst=0 src0=0 src1=0 src2=0
	s_cbranch_execz .LBB48_162
; %bb.161:                              ;   in Loop: Header=BB48_112 Depth=2
	s_set_vgpr_msb 1                        ;  msbs: dst=0 src0=1 src1=0 src2=0
	ds_load_b128 v[86:89], v12 /*v268*/
	ds_load_b128 v[90:93], v12 /*v268*/ offset:16
	s_set_vgpr_msb 4                        ;  msbs: dst=0 src0=0 src1=1 src2=0
	v_add_nc_u32_e32 v3, s78, v6 /*v262*/
	s_wait_dscnt 0x0
	s_set_vgpr_msb 0                        ;  msbs: dst=0 src0=0 src1=0 src2=0
	v_add_f64_e32 v[4:5], v[90:91], v[86:87]
	v_add_f64_e32 v[94:95], v[92:93], v[88:89]
	s_set_vgpr_msb 1                        ;  msbs: dst=0 src0=1 src1=0 src2=0
	ds_load_b128 v[86:89], v12 /*v268*/ offset:32
	ds_load_b128 v[90:93], v12 /*v268*/ offset:48
	s_wait_dscnt 0x1
	s_set_vgpr_msb 0                        ;  msbs: dst=0 src0=0 src1=0 src2=0
	v_add_f64_e32 v[4:5], v[4:5], v[86:87]
	v_add_f64_e32 v[86:87], v[94:95], v[88:89]
	s_wait_dscnt 0x0
	s_delay_alu instid0(VALU_DEP_2) | instskip(NEXT) | instid1(VALU_DEP_2)
	v_add_f64_e32 v[4:5], v[4:5], v[90:91]
	v_add_f64_e32 v[94:95], v[86:87], v[92:93]
	s_set_vgpr_msb 1                        ;  msbs: dst=0 src0=1 src1=0 src2=0
	ds_load_b128 v[86:89], v12 /*v268*/ offset:64
	ds_load_b128 v[90:93], v12 /*v268*/ offset:80
	s_wait_dscnt 0x1
	s_set_vgpr_msb 0                        ;  msbs: dst=0 src0=0 src1=0 src2=0
	v_add_f64_e32 v[4:5], v[4:5], v[86:87]
	v_add_f64_e32 v[86:87], v[94:95], v[88:89]
	s_wait_dscnt 0x0
	s_delay_alu instid0(VALU_DEP_2) | instskip(NEXT) | instid1(VALU_DEP_2)
	;; [unrolled: 11-line block ×6, first 2 shown]
	v_add_f64_e32 v[4:5], v[4:5], v[90:91]
	v_add_f64_e32 v[94:95], v[86:87], v[92:93]
	s_set_vgpr_msb 1                        ;  msbs: dst=0 src0=1 src1=0 src2=0
	ds_load_b128 v[86:89], v12 /*v268*/ offset:224
	ds_load_b128 v[90:93], v13 /*v269*/
	s_wait_dscnt 0x1
	s_set_vgpr_msb 0                        ;  msbs: dst=0 src0=0 src1=0 src2=0
	v_add_f64_e32 v[4:5], v[4:5], v[86:87]
	v_add_f64_e32 v[88:89], v[94:95], v[88:89]
	s_wait_dscnt 0x0
	s_delay_alu instid0(VALU_DEP_2) | instskip(NEXT) | instid1(VALU_DEP_2)
	v_add_f64_e32 v[86:87], v[4:5], v[90:91]
	v_add_f64_e32 v[88:89], v[88:89], v[92:93]
	global_store_b128 v3, v[86:89], s[22:23] scale_offset
.LBB48_162:                             ;   in Loop: Header=BB48_112 Depth=2
	s_wait_xcnt 0x0
	s_or_b32 exec_lo, exec_lo, s79
	v_mul_f64_e32 v[4:5], v[16:17], v[28:29]
	v_mul_f64_e32 v[28:29], v[14:15], v[28:29]
	;; [unrolled: 1-line block ×4, first 2 shown]
	v_add_nc_u64_e32 v[228:229], s[70:71], v[228:229]
	v_add_nc_u64_e32 v[230:231], s[70:71], v[230:231]
	;; [unrolled: 1-line block ×14, first 2 shown]
	s_set_vgpr_msb 0x44                     ;  msbs: dst=1 src0=0 src1=1 src2=0
	v_add_nc_u64_e32 v[0:1] /*v[256:257]*/, s[70:71], v[0:1] /*v[256:257]*/
	v_add_nc_u64_e32 v[2:3] /*v[258:259]*/, s[70:71], v[2:3] /*v[258:259]*/
	s_add_co_i32 s79, s85, 1
	s_add_co_i32 s85, s85, 2
	;; [unrolled: 1-line block ×3, first 2 shown]
	s_cmp_ge_u32 s85, s44
	s_wait_storecnt 0x0
	s_barrier_signal -1
	s_barrier_wait -1
	s_set_vgpr_msb 0                        ;  msbs: dst=0 src0=0 src1=0 src2=0
	v_fma_f64 v[4:5], v[14:15], v[26:27], -v[4:5]
	v_fmac_f64_e32 v[28:29], v[16:17], v[26:27]
	v_mul_f64_e32 v[14:15], v[20:21], v[36:37]
	v_mul_f64_e32 v[16:17], v[18:19], v[36:37]
	v_fma_f64 v[10:11], v[10:11], v[38:39], -v[86:87]
	v_fmac_f64_e32 v[40:41], v[12:13], v[38:39]
	v_mul_f64_e32 v[12:13], v[22:23], v[32:33]
	v_add_f64_e32 v[4:5], v[6:7], v[4:5]
	v_add_f64_e32 v[6:7], v[8:9], v[28:29]
	v_mul_f64_e32 v[8:9], v[24:25], v[32:33]
	v_fma_f64 v[14:15], v[18:19], v[34:35], -v[14:15]
	v_fmac_f64_e32 v[16:17], v[20:21], v[34:35]
	v_mul_f64_e32 v[18:19], v[46:47], v[60:61]
	v_fmac_f64_e32 v[12:13], v[24:25], v[30:31]
	v_add_f64_e32 v[4:5], v[4:5], v[10:11]
	v_add_f64_e32 v[6:7], v[6:7], v[40:41]
	v_mul_f64_e32 v[10:11], v[48:49], v[60:61]
	v_fma_f64 v[8:9], v[22:23], v[30:31], -v[8:9]
	v_fmac_f64_e32 v[18:19], v[48:49], v[58:59]
	v_add_f64_e32 v[4:5], v[4:5], v[14:15]
	v_add_f64_e32 v[6:7], v[6:7], v[16:17]
	v_mul_f64_e32 v[14:15], v[44:45], v[76:77]
	v_mul_f64_e32 v[16:17], v[42:43], v[76:77]
	v_fma_f64 v[10:11], v[46:47], v[58:59], -v[10:11]
	v_add_f64_e32 v[4:5], v[4:5], v[8:9]
	v_add_f64_e32 v[6:7], v[6:7], v[12:13]
	v_mul_f64_e32 v[8:9], v[52:53], v[68:69]
	v_mul_f64_e32 v[12:13], v[50:51], v[68:69]
	v_fma_f64 v[14:15], v[42:43], v[74:75], -v[14:15]
	v_fmac_f64_e32 v[16:17], v[44:45], v[74:75]
	v_add_f64_e32 v[4:5], v[4:5], v[10:11]
	v_add_f64_e32 v[6:7], v[6:7], v[18:19]
	v_mul_f64_e32 v[10:11], v[56:57], v[64:65]
	v_mul_f64_e32 v[18:19], v[54:55], v[64:65]
	v_fma_f64 v[8:9], v[50:51], v[66:67], -v[8:9]
	v_fmac_f64_e32 v[12:13], v[52:53], v[66:67]
	v_add_f64_e32 v[4:5], v[4:5], v[14:15]
	v_add_f64_e32 v[6:7], v[6:7], v[16:17]
	v_mul_f64_e32 v[14:15], v[80:81], v[124:125]
	v_mul_f64_e32 v[16:17], v[78:79], v[124:125]
	v_fma_f64 v[10:11], v[54:55], v[62:63], -v[10:11]
	v_fmac_f64_e32 v[18:19], v[56:57], v[62:63]
	v_add_f64_e32 v[4:5], v[4:5], v[8:9]
	v_add_f64_e32 v[6:7], v[6:7], v[12:13]
	v_mul_f64_e32 v[8:9], v[72:73], v[116:117]
	v_mul_f64_e32 v[12:13], v[70:71], v[116:117]
	v_fma_f64 v[14:15], v[78:79], v[122:123], -v[14:15]
	v_fmac_f64_e32 v[16:17], v[80:81], v[122:123]
	v_add_f64_e32 v[4:5], v[4:5], v[10:11]
	v_add_f64_e32 v[6:7], v[6:7], v[18:19]
	v_mul_f64_e32 v[10:11], v[84:85], v[112:113]
	v_mul_f64_e32 v[18:19], v[82:83], v[112:113]
	v_fma_f64 v[8:9], v[70:71], v[114:115], -v[8:9]
	v_fmac_f64_e32 v[12:13], v[72:73], v[114:115]
	v_add_f64_e32 v[4:5], v[4:5], v[14:15]
	v_add_f64_e32 v[6:7], v[6:7], v[16:17]
	v_mul_f64_e32 v[14:15], v[104:105], v[108:109]
	v_mul_f64_e32 v[16:17], v[102:103], v[108:109]
	v_fma_f64 v[10:11], v[82:83], v[110:111], -v[10:11]
	v_fmac_f64_e32 v[18:19], v[84:85], v[110:111]
	v_add_f64_e32 v[4:5], v[4:5], v[8:9]
	v_add_f64_e32 v[6:7], v[6:7], v[12:13]
	v_mul_f64_e32 v[8:9], v[128:129], v[156:157]
	v_mul_f64_e32 v[12:13], v[126:127], v[156:157]
	v_fma_f64 v[14:15], v[102:103], v[106:107], -v[14:15]
	v_fmac_f64_e32 v[16:17], v[104:105], v[106:107]
	v_add_f64_e32 v[4:5], v[4:5], v[10:11]
	v_add_f64_e32 v[6:7], v[6:7], v[18:19]
	v_mul_f64_e32 v[10:11], v[120:121], v[168:169]
	v_mul_f64_e32 v[18:19], v[118:119], v[168:169]
	v_fma_f64 v[8:9], v[126:127], v[154:155], -v[8:9]
	v_fmac_f64_e32 v[12:13], v[128:129], v[154:155]
	v_add_f64_e32 v[4:5], v[4:5], v[14:15]
	v_add_f64_e32 v[6:7], v[6:7], v[16:17]
	v_mul_f64_e32 v[14:15], v[132:133], v[164:165]
	v_mul_f64_e32 v[16:17], v[130:131], v[164:165]
	v_fma_f64 v[10:11], v[118:119], v[166:167], -v[10:11]
	v_fmac_f64_e32 v[18:19], v[120:121], v[166:167]
	v_add_f64_e32 v[4:5], v[4:5], v[8:9]
	v_add_f64_e32 v[6:7], v[6:7], v[12:13]
	v_mul_f64_e32 v[8:9], v[144:145], v[160:161]
	v_mul_f64_e32 v[12:13], v[142:143], v[160:161]
	v_fma_f64 v[14:15], v[130:131], v[162:163], -v[14:15]
	v_fmac_f64_e32 v[16:17], v[132:133], v[162:163]
	v_add_f64_e32 v[4:5], v[4:5], v[10:11]
	v_add_f64_e32 v[6:7], v[6:7], v[18:19]
	v_fma_f64 v[8:9], v[142:143], v[158:159], -v[8:9]
	v_fmac_f64_e32 v[12:13], v[144:145], v[158:159]
	s_delay_alu instid0(VALU_DEP_4) | instskip(NEXT) | instid1(VALU_DEP_4)
	v_add_f64_e32 v[4:5], v[4:5], v[14:15]
	v_add_f64_e32 v[10:11], v[6:7], v[16:17]
	s_delay_alu instid0(VALU_DEP_2) | instskip(NEXT) | instid1(VALU_DEP_2)
	v_add_f64_e32 v[6:7], v[4:5], v[8:9]
	v_add_f64_e32 v[8:9], v[10:11], v[12:13]
	s_cbranch_scc1 .LBB48_164
; %bb.163:                              ;   in Loop: Header=BB48_112 Depth=2
	s_mov_b32 s85, s79
	s_delay_alu instid0(SALU_CYCLE_1)
	s_cmp_eq_u32 s49, s85
	s_cselect_b32 s86, s80, 0
	s_and_saveexec_b32 s87, s0
	s_cbranch_execnz .LBB48_108
	s_branch .LBB48_112
.LBB48_164:                             ;   in Loop: Header=BB48_4 Depth=1
	s_set_vgpr_msb 1                        ;  msbs: dst=0 src0=1 src1=0 src2=0
	ds_store_b128 v21 /*v277*/, v[6:9]
	s_wait_dscnt 0x0
	s_barrier_signal -1
	s_barrier_wait -1
	s_and_saveexec_b32 s78, s83
	s_set_vgpr_msb 0                        ;  msbs: dst=0 src0=0 src1=0 src2=0
	s_cbranch_execz .LBB48_2
; %bb.165:                              ;   in Loop: Header=BB48_4 Depth=1
	ds_load_b128 v[4:7], v188 offset:1072
	ds_load_b128 v[8:11], v188
	s_wait_dscnt 0x0
	v_add_f64_e32 v[12:13], v[4:5], v[8:9]
	v_add_f64_e32 v[14:15], v[6:7], v[10:11]
	ds_load_b128 v[4:7], v188 offset:2144
	ds_load_b128 v[8:11], v188 offset:3216
	s_wait_dscnt 0x1
	v_add_f64_e32 v[4:5], v[12:13], v[4:5]
	v_add_f64_e32 v[6:7], v[14:15], v[6:7]
	s_wait_dscnt 0x0
	s_delay_alu instid0(VALU_DEP_2) | instskip(NEXT) | instid1(VALU_DEP_2)
	v_add_f64_e32 v[4:5], v[4:5], v[8:9]
	v_add_f64_e32 v[6:7], v[6:7], v[10:11]
	v_lshl_add_u64 v[8:9], v[186:187], 4, s[22:23]
	global_store_b128 v[8:9], v[4:7], off
	s_branch .LBB48_2
.LBB48_166:                             ;   in Loop: Header=BB48_4 Depth=1
	s_set_vgpr_msb 1                        ;  msbs: dst=0 src0=1 src1=0 src2=0
	ds_load_b128 v[4:7], v16 /*v272*/
	s_mov_b32 s22, exec_lo
	s_wait_dscnt 0x0
	v_xor_b32_e32 v7, 0x80000000, v7
	ds_store_b64 v29 /*v285*/, v[4:5]
	s_or_saveexec_b32 s23, s23
	v_mov_b32_e32 v3, v29 /*v285*/
	s_xor_b32 exec_lo, exec_lo, s23
	s_set_vgpr_msb 0                        ;  msbs: dst=0 src0=0 src1=0 src2=0
	s_cbranch_execz .LBB48_34
.LBB48_167:                             ;   in Loop: Header=BB48_4 Depth=1
	v_mov_b64_e32 v[6:7], 0
	s_set_vgpr_msb 1                        ;  msbs: dst=0 src0=1 src1=0 src2=0
	v_mov_b32_e32 v3, v8 /*v264*/
	s_and_not1_b32 s22, s22, exec_lo
	s_and_b32 s78, s19, exec_lo
	s_delay_alu instid0(SALU_CYCLE_1)
	s_or_b32 s22, s22, s78
	s_or_b32 exec_lo, exec_lo, s23
	s_and_saveexec_b32 s23, s22
	s_set_vgpr_msb 0                        ;  msbs: dst=0 src0=0 src1=0 src2=0
	s_cbranch_execnz .LBB48_35
	s_branch .LBB48_36
.LBB48_168:                             ;   in Loop: Header=BB48_4 Depth=1
	s_set_vgpr_msb 1                        ;  msbs: dst=0 src0=1 src1=0 src2=0
	ds_load_b128 v[10:13], v16 /*v272*/
	s_mov_b32 s22, exec_lo
	s_wait_dscnt 0x0
	v_xor_b32_e32 v13, 0x80000000, v13
	ds_store_b64 v29 /*v285*/, v[10:11]
	s_or_saveexec_b32 s23, s23
	v_mov_b32_e32 v3, v29 /*v285*/
	s_xor_b32 exec_lo, exec_lo, s23
	s_set_vgpr_msb 0                        ;  msbs: dst=0 src0=0 src1=0 src2=0
	s_cbranch_execz .LBB48_72
.LBB48_169:                             ;   in Loop: Header=BB48_4 Depth=1
	v_mov_b64_e32 v[12:13], 0
	s_set_vgpr_msb 1                        ;  msbs: dst=0 src0=1 src1=0 src2=0
	v_mov_b32_e32 v3, v8 /*v264*/
	s_and_not1_b32 s22, s22, exec_lo
	s_and_b32 s78, s19, exec_lo
	s_delay_alu instid0(SALU_CYCLE_1)
	s_or_b32 s22, s22, s78
	s_or_b32 exec_lo, exec_lo, s23
	s_and_saveexec_b32 s23, s22
	s_set_vgpr_msb 0                        ;  msbs: dst=0 src0=0 src1=0 src2=0
	s_cbranch_execnz .LBB48_73
	s_branch .LBB48_74
.LBB48_170:                             ;   in Loop: Header=BB48_4 Depth=1
	flat_load_b128 v[10:13], v[8:9]
	s_wait_loadcnt_dscnt 0x0
	s_set_vgpr_msb 1                        ;  msbs: dst=0 src0=1 src1=0 src2=0
	ds_store_2addr_b64 v7 /*v263*/, v[10:11], v[12:13] offset1:1
	s_wait_xcnt 0x0
	s_or_b32 exec_lo, exec_lo, s22
	s_and_saveexec_b32 s22, s3
	s_delay_alu instid0(SALU_CYCLE_1)
	s_xor_b32 s22, exec_lo, s22
	s_set_vgpr_msb 0                        ;  msbs: dst=0 src0=0 src1=0 src2=0
	s_cbranch_execz .LBB48_17
.LBB48_171:                             ;   in Loop: Header=BB48_4 Depth=1
	v_dual_mov_b32 v3, v2 :: v_dual_mov_b32 v4, v2
	v_mov_b32_e32 v5, v2
	s_set_vgpr_msb 1                        ;  msbs: dst=0 src0=1 src1=0 src2=0
	ds_store_b128 v26 /*v282*/, v[2:5]
	s_and_not1_saveexec_b32 s22, s22
	s_set_vgpr_msb 0                        ;  msbs: dst=0 src0=0 src1=0 src2=0
	s_cbranch_execz .LBB48_18
.LBB48_172:                             ;   in Loop: Header=BB48_4 Depth=1
	v_add_nc_u64_e32 v[4:5], s[58:59], v[8:9]
	flat_load_b128 v[10:13], v[4:5]
	s_wait_loadcnt_dscnt 0x0
	s_set_vgpr_msb 1                        ;  msbs: dst=0 src0=1 src1=0 src2=0
	ds_store_2addr_b64 v26 /*v282*/, v[10:11], v[12:13] offset1:1
	s_wait_xcnt 0x0
	s_or_b32 exec_lo, exec_lo, s22
	s_and_saveexec_b32 s22, s4
	s_delay_alu instid0(SALU_CYCLE_1)
	s_xor_b32 s22, exec_lo, s22
	s_set_vgpr_msb 0                        ;  msbs: dst=0 src0=0 src1=0 src2=0
	s_cbranch_execz .LBB48_19
.LBB48_173:                             ;   in Loop: Header=BB48_4 Depth=1
	v_dual_mov_b32 v3, v2 :: v_dual_mov_b32 v4, v2
	v_mov_b32_e32 v5, v2
	s_set_vgpr_msb 1                        ;  msbs: dst=0 src0=1 src1=0 src2=0
	ds_store_b128 v27 /*v283*/, v[2:5]
	s_and_not1_saveexec_b32 s22, s22
	s_set_vgpr_msb 0                        ;  msbs: dst=0 src0=0 src1=0 src2=0
	s_cbranch_execz .LBB48_20
.LBB48_174:                             ;   in Loop: Header=BB48_4 Depth=1
	v_add_nc_u64_e32 v[4:5], s[60:61], v[8:9]
	flat_load_b128 v[10:13], v[4:5]
	s_wait_loadcnt_dscnt 0x0
	s_set_vgpr_msb 1                        ;  msbs: dst=0 src0=1 src1=0 src2=0
	ds_store_2addr_b64 v27 /*v283*/, v[10:11], v[12:13] offset1:1
	s_wait_xcnt 0x0
	s_or_b32 exec_lo, exec_lo, s22
	s_and_saveexec_b32 s22, s5
	s_delay_alu instid0(SALU_CYCLE_1)
	s_xor_b32 s22, exec_lo, s22
	s_set_vgpr_msb 0                        ;  msbs: dst=0 src0=0 src1=0 src2=0
	s_cbranch_execz .LBB48_21
.LBB48_175:                             ;   in Loop: Header=BB48_4 Depth=1
	v_dual_mov_b32 v3, v2 :: v_dual_mov_b32 v4, v2
	v_mov_b32_e32 v5, v2
	s_set_vgpr_msb 1                        ;  msbs: dst=0 src0=1 src1=0 src2=0
	ds_store_b128 v28 /*v284*/, v[2:5]
	s_and_not1_saveexec_b32 s22, s22
	s_set_vgpr_msb 0                        ;  msbs: dst=0 src0=0 src1=0 src2=0
	s_cbranch_execnz .LBB48_22
	s_branch .LBB48_23
.LBB48_176:                             ;   in Loop: Header=BB48_4 Depth=1
	flat_load_b128 v[16:19], v[14:15]
	s_wait_loadcnt_dscnt 0x0
	s_set_vgpr_msb 1                        ;  msbs: dst=0 src0=1 src1=0 src2=0
	ds_store_2addr_b64 v7 /*v263*/, v[16:17], v[18:19] offset1:1
	s_wait_xcnt 0x0
	s_or_b32 exec_lo, exec_lo, s22
	s_and_saveexec_b32 s22, s13
	s_delay_alu instid0(SALU_CYCLE_1)
	s_xor_b32 s22, exec_lo, s22
	s_set_vgpr_msb 0                        ;  msbs: dst=0 src0=0 src1=0 src2=0
	s_cbranch_execz .LBB48_55
.LBB48_177:                             ;   in Loop: Header=BB48_4 Depth=1
	v_dual_mov_b32 v3, v2 :: v_dual_mov_b32 v4, v2
	v_mov_b32_e32 v5, v2
	s_set_vgpr_msb 1                        ;  msbs: dst=0 src0=1 src1=0 src2=0
	ds_store_b128 v26 /*v282*/, v[2:5]
	s_and_not1_saveexec_b32 s22, s22
	s_set_vgpr_msb 0                        ;  msbs: dst=0 src0=0 src1=0 src2=0
	s_cbranch_execz .LBB48_56
.LBB48_178:                             ;   in Loop: Header=BB48_4 Depth=1
	v_add_nc_u64_e32 v[4:5], s[58:59], v[14:15]
	flat_load_b128 v[16:19], v[4:5]
	s_wait_loadcnt_dscnt 0x0
	s_set_vgpr_msb 1                        ;  msbs: dst=0 src0=1 src1=0 src2=0
	ds_store_2addr_b64 v26 /*v282*/, v[16:17], v[18:19] offset1:1
	s_wait_xcnt 0x0
	s_or_b32 exec_lo, exec_lo, s22
	s_and_saveexec_b32 s22, s16
	s_delay_alu instid0(SALU_CYCLE_1)
	s_xor_b32 s22, exec_lo, s22
	s_set_vgpr_msb 0                        ;  msbs: dst=0 src0=0 src1=0 src2=0
	s_cbranch_execz .LBB48_57
.LBB48_179:                             ;   in Loop: Header=BB48_4 Depth=1
	v_dual_mov_b32 v3, v2 :: v_dual_mov_b32 v4, v2
	v_mov_b32_e32 v5, v2
	s_set_vgpr_msb 1                        ;  msbs: dst=0 src0=1 src1=0 src2=0
	ds_store_b128 v27 /*v283*/, v[2:5]
	s_and_not1_saveexec_b32 s22, s22
	s_set_vgpr_msb 0                        ;  msbs: dst=0 src0=0 src1=0 src2=0
	s_cbranch_execz .LBB48_58
.LBB48_180:                             ;   in Loop: Header=BB48_4 Depth=1
	v_add_nc_u64_e32 v[4:5], s[60:61], v[14:15]
	flat_load_b128 v[16:19], v[4:5]
	s_wait_loadcnt_dscnt 0x0
	s_set_vgpr_msb 1                        ;  msbs: dst=0 src0=1 src1=0 src2=0
	ds_store_2addr_b64 v27 /*v283*/, v[16:17], v[18:19] offset1:1
	s_wait_xcnt 0x0
	s_or_b32 exec_lo, exec_lo, s22
	s_and_saveexec_b32 s22, s17
	s_delay_alu instid0(SALU_CYCLE_1)
	s_xor_b32 s22, exec_lo, s22
	s_set_vgpr_msb 0                        ;  msbs: dst=0 src0=0 src1=0 src2=0
	s_cbranch_execz .LBB48_59
.LBB48_181:                             ;   in Loop: Header=BB48_4 Depth=1
	v_dual_mov_b32 v3, v2 :: v_dual_mov_b32 v4, v2
	v_mov_b32_e32 v5, v2
	s_set_vgpr_msb 1                        ;  msbs: dst=0 src0=1 src1=0 src2=0
	ds_store_b128 v28 /*v284*/, v[2:5]
	s_and_not1_saveexec_b32 s22, s22
	s_set_vgpr_msb 0                        ;  msbs: dst=0 src0=0 src1=0 src2=0
	s_cbranch_execnz .LBB48_60
	s_branch .LBB48_61
.LBB48_182:                             ;   in Loop: Header=BB48_4 Depth=1
	flat_load_b128 v[16:19], v[12:13]
	s_wait_loadcnt_dscnt 0x0
	s_set_vgpr_msb 1                        ;  msbs: dst=0 src0=1 src1=0 src2=0
	ds_store_2addr_b64 v7 /*v263*/, v[16:17], v[18:19] offset1:1
	s_wait_xcnt 0x0
	s_or_b32 exec_lo, exec_lo, s22
	s_and_saveexec_b32 s22, s13
	s_delay_alu instid0(SALU_CYCLE_1)
	s_xor_b32 s22, exec_lo, s22
	s_set_vgpr_msb 0                        ;  msbs: dst=0 src0=0 src1=0 src2=0
	s_cbranch_execz .LBB48_93
.LBB48_183:                             ;   in Loop: Header=BB48_4 Depth=1
	v_dual_mov_b32 v3, v2 :: v_dual_mov_b32 v4, v2
	v_mov_b32_e32 v5, v2
	s_set_vgpr_msb 1                        ;  msbs: dst=0 src0=1 src1=0 src2=0
	ds_store_b128 v26 /*v282*/, v[2:5]
	s_and_not1_saveexec_b32 s22, s22
	s_set_vgpr_msb 0                        ;  msbs: dst=0 src0=0 src1=0 src2=0
	s_cbranch_execz .LBB48_94
.LBB48_184:                             ;   in Loop: Header=BB48_4 Depth=1
	v_add_nc_u64_e32 v[4:5], s[58:59], v[12:13]
	flat_load_b128 v[16:19], v[4:5]
	s_wait_loadcnt_dscnt 0x0
	s_set_vgpr_msb 1                        ;  msbs: dst=0 src0=1 src1=0 src2=0
	ds_store_2addr_b64 v26 /*v282*/, v[16:17], v[18:19] offset1:1
	s_wait_xcnt 0x0
	s_or_b32 exec_lo, exec_lo, s22
	s_and_saveexec_b32 s22, s16
	s_delay_alu instid0(SALU_CYCLE_1)
	s_xor_b32 s22, exec_lo, s22
	s_set_vgpr_msb 0                        ;  msbs: dst=0 src0=0 src1=0 src2=0
	s_cbranch_execz .LBB48_95
.LBB48_185:                             ;   in Loop: Header=BB48_4 Depth=1
	v_dual_mov_b32 v3, v2 :: v_dual_mov_b32 v4, v2
	v_mov_b32_e32 v5, v2
	s_set_vgpr_msb 1                        ;  msbs: dst=0 src0=1 src1=0 src2=0
	ds_store_b128 v27 /*v283*/, v[2:5]
	s_and_not1_saveexec_b32 s22, s22
	s_set_vgpr_msb 0                        ;  msbs: dst=0 src0=0 src1=0 src2=0
	s_cbranch_execz .LBB48_96
.LBB48_186:                             ;   in Loop: Header=BB48_4 Depth=1
	v_add_nc_u64_e32 v[4:5], s[60:61], v[12:13]
	flat_load_b128 v[16:19], v[4:5]
	s_wait_loadcnt_dscnt 0x0
	s_set_vgpr_msb 1                        ;  msbs: dst=0 src0=1 src1=0 src2=0
	ds_store_2addr_b64 v27 /*v283*/, v[16:17], v[18:19] offset1:1
	s_wait_xcnt 0x0
	s_or_b32 exec_lo, exec_lo, s22
	s_and_saveexec_b32 s22, s17
	s_delay_alu instid0(SALU_CYCLE_1)
	s_xor_b32 s22, exec_lo, s22
	s_set_vgpr_msb 0                        ;  msbs: dst=0 src0=0 src1=0 src2=0
	s_cbranch_execz .LBB48_97
.LBB48_187:                             ;   in Loop: Header=BB48_4 Depth=1
	v_dual_mov_b32 v3, v2 :: v_dual_mov_b32 v4, v2
	v_mov_b32_e32 v5, v2
	s_set_vgpr_msb 1                        ;  msbs: dst=0 src0=1 src1=0 src2=0
	ds_store_b128 v28 /*v284*/, v[2:5]
	s_and_not1_saveexec_b32 s22, s22
	s_set_vgpr_msb 0                        ;  msbs: dst=0 src0=0 src1=0 src2=0
	s_cbranch_execnz .LBB48_98
	s_branch .LBB48_99
.LBB48_188:
	s_sendmsg sendmsg(MSG_DEALLOC_VGPRS)
	s_endpgm
	.section	.rodata,"a",@progbits
	.p2align	6, 0x0
	.amdhsa_kernel _ZL26rocblas_hemvn_kernel_upperILb1ELi64ELi4ELi33ELi32ELi16ElPK19rocblas_complex_numIdEPKS3_PS1_EviT6_lT7_lT5_lS8_lS9_lS7_lT8_i
		.amdhsa_group_segment_fixed_size 19200
		.amdhsa_private_segment_fixed_size 0
		.amdhsa_kernarg_size 376
		.amdhsa_user_sgpr_count 2
		.amdhsa_user_sgpr_dispatch_ptr 0
		.amdhsa_user_sgpr_queue_ptr 0
		.amdhsa_user_sgpr_kernarg_segment_ptr 1
		.amdhsa_user_sgpr_dispatch_id 0
		.amdhsa_user_sgpr_kernarg_preload_length 0
		.amdhsa_user_sgpr_kernarg_preload_offset 0
		.amdhsa_user_sgpr_private_segment_size 0
		.amdhsa_wavefront_size32 1
		.amdhsa_uses_dynamic_stack 0
		.amdhsa_enable_private_segment 0
		.amdhsa_system_sgpr_workgroup_id_x 1
		.amdhsa_system_sgpr_workgroup_id_y 0
		.amdhsa_system_sgpr_workgroup_id_z 1
		.amdhsa_system_sgpr_workgroup_info 0
		.amdhsa_system_vgpr_workitem_id 1
		.amdhsa_next_free_vgpr 320
		.amdhsa_next_free_sgpr 90
		.amdhsa_named_barrier_count 0
		.amdhsa_reserve_vcc 1
		.amdhsa_float_round_mode_32 0
		.amdhsa_float_round_mode_16_64 0
		.amdhsa_float_denorm_mode_32 3
		.amdhsa_float_denorm_mode_16_64 3
		.amdhsa_fp16_overflow 0
		.amdhsa_memory_ordered 1
		.amdhsa_forward_progress 1
		.amdhsa_inst_pref_size 87
		.amdhsa_round_robin_scheduling 0
		.amdhsa_exception_fp_ieee_invalid_op 0
		.amdhsa_exception_fp_denorm_src 0
		.amdhsa_exception_fp_ieee_div_zero 0
		.amdhsa_exception_fp_ieee_overflow 0
		.amdhsa_exception_fp_ieee_underflow 0
		.amdhsa_exception_fp_ieee_inexact 0
		.amdhsa_exception_int_div_zero 0
	.end_amdhsa_kernel
	.section	.text._ZL26rocblas_hemvn_kernel_upperILb1ELi64ELi4ELi33ELi32ELi16ElPK19rocblas_complex_numIdEPKS3_PS1_EviT6_lT7_lT5_lS8_lS9_lS7_lT8_i,"axG",@progbits,_ZL26rocblas_hemvn_kernel_upperILb1ELi64ELi4ELi33ELi32ELi16ElPK19rocblas_complex_numIdEPKS3_PS1_EviT6_lT7_lT5_lS8_lS9_lS7_lT8_i,comdat
.Lfunc_end48:
	.size	_ZL26rocblas_hemvn_kernel_upperILb1ELi64ELi4ELi33ELi32ELi16ElPK19rocblas_complex_numIdEPKS3_PS1_EviT6_lT7_lT5_lS8_lS9_lS7_lT8_i, .Lfunc_end48-_ZL26rocblas_hemvn_kernel_upperILb1ELi64ELi4ELi33ELi32ELi16ElPK19rocblas_complex_numIdEPKS3_PS1_EviT6_lT7_lT5_lS8_lS9_lS7_lT8_i
                                        ; -- End function
	.set _ZL26rocblas_hemvn_kernel_upperILb1ELi64ELi4ELi33ELi32ELi16ElPK19rocblas_complex_numIdEPKS3_PS1_EviT6_lT7_lT5_lS8_lS9_lS7_lT8_i.num_vgpr, 320
	.set _ZL26rocblas_hemvn_kernel_upperILb1ELi64ELi4ELi33ELi32ELi16ElPK19rocblas_complex_numIdEPKS3_PS1_EviT6_lT7_lT5_lS8_lS9_lS7_lT8_i.num_agpr, 0
	.set _ZL26rocblas_hemvn_kernel_upperILb1ELi64ELi4ELi33ELi32ELi16ElPK19rocblas_complex_numIdEPKS3_PS1_EviT6_lT7_lT5_lS8_lS9_lS7_lT8_i.numbered_sgpr, 90
	.set _ZL26rocblas_hemvn_kernel_upperILb1ELi64ELi4ELi33ELi32ELi16ElPK19rocblas_complex_numIdEPKS3_PS1_EviT6_lT7_lT5_lS8_lS9_lS7_lT8_i.num_named_barrier, 0
	.set _ZL26rocblas_hemvn_kernel_upperILb1ELi64ELi4ELi33ELi32ELi16ElPK19rocblas_complex_numIdEPKS3_PS1_EviT6_lT7_lT5_lS8_lS9_lS7_lT8_i.private_seg_size, 0
	.set _ZL26rocblas_hemvn_kernel_upperILb1ELi64ELi4ELi33ELi32ELi16ElPK19rocblas_complex_numIdEPKS3_PS1_EviT6_lT7_lT5_lS8_lS9_lS7_lT8_i.uses_vcc, 1
	.set _ZL26rocblas_hemvn_kernel_upperILb1ELi64ELi4ELi33ELi32ELi16ElPK19rocblas_complex_numIdEPKS3_PS1_EviT6_lT7_lT5_lS8_lS9_lS7_lT8_i.uses_flat_scratch, 0
	.set _ZL26rocblas_hemvn_kernel_upperILb1ELi64ELi4ELi33ELi32ELi16ElPK19rocblas_complex_numIdEPKS3_PS1_EviT6_lT7_lT5_lS8_lS9_lS7_lT8_i.has_dyn_sized_stack, 0
	.set _ZL26rocblas_hemvn_kernel_upperILb1ELi64ELi4ELi33ELi32ELi16ElPK19rocblas_complex_numIdEPKS3_PS1_EviT6_lT7_lT5_lS8_lS9_lS7_lT8_i.has_recursion, 0
	.set _ZL26rocblas_hemvn_kernel_upperILb1ELi64ELi4ELi33ELi32ELi16ElPK19rocblas_complex_numIdEPKS3_PS1_EviT6_lT7_lT5_lS8_lS9_lS7_lT8_i.has_indirect_call, 0
	.section	.AMDGPU.csdata,"",@progbits
; Kernel info:
; codeLenInByte = 11028
; TotalNumSgprs: 92
; NumVgprs: 320
; ScratchSize: 0
; MemoryBound: 1
; FloatMode: 240
; IeeeMode: 1
; LDSByteSize: 19200 bytes/workgroup (compile time only)
; SGPRBlocks: 0
; VGPRBlocks: 19
; NumSGPRsForWavesPerEU: 92
; NumVGPRsForWavesPerEU: 320
; NamedBarCnt: 0
; Occupancy: 3
; WaveLimiterHint : 0
; COMPUTE_PGM_RSRC2:SCRATCH_EN: 0
; COMPUTE_PGM_RSRC2:USER_SGPR: 2
; COMPUTE_PGM_RSRC2:TRAP_HANDLER: 0
; COMPUTE_PGM_RSRC2:TGID_X_EN: 1
; COMPUTE_PGM_RSRC2:TGID_Y_EN: 0
; COMPUTE_PGM_RSRC2:TGID_Z_EN: 1
; COMPUTE_PGM_RSRC2:TIDIG_COMP_CNT: 1
	.section	.text._ZL36rocblas_hemvn_kernel_upper_block_sumILi64ElPK19rocblas_complex_numIdEPKPS1_S1_EviT1_lS7_lT2_lT0_lPT3_i,"axG",@progbits,_ZL36rocblas_hemvn_kernel_upper_block_sumILi64ElPK19rocblas_complex_numIdEPKPS1_S1_EviT1_lS7_lT2_lT0_lPT3_i,comdat
	.globl	_ZL36rocblas_hemvn_kernel_upper_block_sumILi64ElPK19rocblas_complex_numIdEPKPS1_S1_EviT1_lS7_lT2_lT0_lPT3_i ; -- Begin function _ZL36rocblas_hemvn_kernel_upper_block_sumILi64ElPK19rocblas_complex_numIdEPKPS1_S1_EviT1_lS7_lT2_lT0_lPT3_i
	.p2align	8
	.type	_ZL36rocblas_hemvn_kernel_upper_block_sumILi64ElPK19rocblas_complex_numIdEPKPS1_S1_EviT1_lS7_lT2_lT0_lPT3_i,@function
_ZL36rocblas_hemvn_kernel_upper_block_sumILi64ElPK19rocblas_complex_numIdEPKPS1_S1_EviT1_lS7_lT2_lT0_lPT3_i: ; @_ZL36rocblas_hemvn_kernel_upper_block_sumILi64ElPK19rocblas_complex_numIdEPKPS1_S1_EviT1_lS7_lT2_lT0_lPT3_i
; %bb.0:
	s_load_b32 s3, s[0:1], 0x50
	s_bfe_u32 s2, ttmp6, 0x40014
	s_lshr_b32 s4, ttmp7, 16
	s_add_co_i32 s2, s2, 1
	s_bfe_u32 s6, ttmp6, 0x40008
	s_mul_i32 s5, s4, s2
	s_getreg_b32 s2, hwreg(HW_REG_IB_STS2, 6, 4)
	s_add_co_i32 s6, s6, s5
	s_cmp_eq_u32 s2, 0
	s_mov_b32 s13, 0
	s_cselect_b32 s12, s4, s6
	s_wait_kmcnt 0x0
	s_cmp_ge_u32 s12, s3
	s_cbranch_scc1 .LBB49_26
; %bb.1:
	s_bfe_u32 s4, ttmp6, 0x4000c
	s_load_b128 s[20:23], s[0:1], 0x30
	s_add_co_i32 s4, s4, 1
	s_and_b32 s5, ttmp6, 15
	s_mul_i32 s4, ttmp9, s4
	s_clause 0x1
	s_load_b32 s18, s[0:1], 0x0
	s_load_b64 s[16:17], s[0:1], 0x48
	s_add_co_i32 s5, s5, s4
	s_cmp_eq_u32 s2, 0
	v_mov_b32_e32 v18, 0
	s_cselect_b32 s24, ttmp9, s5
	s_clause 0x1
	s_load_b64 s[14:15], s[0:1], 0x28
	s_load_b256 s[4:11], s[0:1], 0x8
	v_lshl_or_b32 v0, s24, 6, v0
	s_delay_alu instid0(VALU_DEP_1) | instskip(SKIP_1) | instid1(VALU_DEP_1)
	v_ashrrev_i32_e32 v1, 31, v0
	s_wait_kmcnt 0x0
	v_mul_u64_e32 v[12:13], s[22:23], v[0:1]
	v_cmp_gt_i32_e64 s2, s18, v0
	v_lshl_add_u64 v[2:3], v[0:1], 4, s[16:17]
	s_ashr_i32 s19, s18, 31
	s_cmp_gt_i32 s24, -1
	s_add_nc_u64 s[16:17], s[0:1], 0x58
	s_cselect_b32 s1, -1, 0
	v_add_nc_u64_e32 v[14:15], 8, v[2:3]
	s_add_co_i32 s24, s24, 1
	s_lshl_b64 s[18:19], s[18:19], 4
	s_lshl_b64 s[20:21], s[20:21], 4
	s_branch .LBB49_4
.LBB49_2:                               ;   in Loop: Header=BB49_4 Depth=1
	s_wait_xcnt 0x0
	s_or_b32 exec_lo, exec_lo, s0
.LBB49_3:                               ;   in Loop: Header=BB49_4 Depth=1
	s_add_co_i32 s12, s12, 0x10000
	s_delay_alu instid0(SALU_CYCLE_1)
	s_cmp_lt_u32 s12, s3
	s_cbranch_scc0 .LBB49_26
.LBB49_4:                               ; =>This Loop Header: Depth=1
                                        ;     Child Loop BB49_17 Depth 2
	s_mul_u64 s[22:23], s[6:7], s[12:13]
	s_delay_alu instid0(SALU_CYCLE_1) | instskip(NEXT) | instid1(SALU_CYCLE_1)
	s_lshl_b64 s[22:23], s[22:23], 4
	s_add_nc_u64 s[22:23], s[4:5], s[22:23]
	global_load_b128 v[4:7], v18, s[22:23]
	s_wait_xcnt 0x0
	s_mul_u64 s[22:23], s[10:11], s[12:13]
	s_delay_alu instid0(SALU_CYCLE_1) | instskip(NEXT) | instid1(SALU_CYCLE_1)
	s_lshl_b64 s[22:23], s[22:23], 4
	s_add_nc_u64 s[22:23], s[8:9], s[22:23]
	s_wait_loadcnt 0x1
	global_load_b128 v[0:3], v18, s[22:23]
	s_wait_loadcnt 0x1
	v_cmp_neq_f64_e32 vcc_lo, 0, v[4:5]
	v_cmp_neq_f64_e64 s0, 0, v[6:7]
	s_wait_xcnt 0x0
	s_or_b32 s22, vcc_lo, s0
	s_mov_b32 s0, -1
	s_and_b32 vcc_lo, exec_lo, s22
	s_cbranch_vccz .LBB49_6
; %bb.5:                                ;   in Loop: Header=BB49_4 Depth=1
	s_and_not1_b32 vcc_lo, exec_lo, s0
	s_cbranch_vccnz .LBB49_3
	s_branch .LBB49_7
.LBB49_6:                               ;   in Loop: Header=BB49_4 Depth=1
	s_wait_loadcnt 0x0
	v_cmp_neq_f64_e32 vcc_lo, 1.0, v[0:1]
	v_cmp_neq_f64_e64 s0, 0, v[2:3]
	s_or_b32 s0, vcc_lo, s0
	s_delay_alu instid0(SALU_CYCLE_1)
	s_and_not1_b32 vcc_lo, exec_lo, s0
	s_cbranch_vccnz .LBB49_3
.LBB49_7:                               ;   in Loop: Header=BB49_4 Depth=1
	s_lshl_b64 s[26:27], s[12:13], 3
	s_xor_b32 s0, s22, -1
	s_add_nc_u64 s[26:27], s[14:15], s[26:27]
	s_and_not1_b32 vcc_lo, exec_lo, s0
	s_load_b64 s[26:27], s[26:27], 0x0
	s_wait_kmcnt 0x0
	s_add_nc_u64 s[22:23], s[26:27], s[20:21]
	s_cbranch_vccnz .LBB49_12
; %bb.8:                                ;   in Loop: Header=BB49_4 Depth=1
	s_wait_xcnt 0x0
	s_mov_b32 s26, 0
	s_mov_b32 s25, 0
                                        ; implicit-def: $vgpr10_vgpr11
	s_and_saveexec_b32 s27, s2
	s_cbranch_execz .LBB49_13
; %bb.9:                                ;   in Loop: Header=BB49_4 Depth=1
	s_wait_loadcnt 0x0
	v_cmp_neq_f64_e32 vcc_lo, 0, v[0:1]
	v_cmp_neq_f64_e64 s0, 0, v[2:3]
	v_mov_b64_e32 v[10:11], 0
	v_mov_b64_e32 v[8:9], 0
	s_or_b32 s0, vcc_lo, s0
	s_delay_alu instid0(SALU_CYCLE_1)
	s_and_not1_b32 vcc_lo, exec_lo, s0
	s_cbranch_vccnz .LBB49_11
; %bb.10:                               ;   in Loop: Header=BB49_4 Depth=1
	v_lshl_add_u64 v[8:9], v[12:13], 4, s[22:23]
	flat_load_b128 v[20:23], v[8:9]
	s_wait_loadcnt_dscnt 0x0
	s_wait_xcnt 0x0
	v_mul_f64_e32 v[8:9], v[2:3], v[22:23]
	v_mul_f64_e32 v[10:11], v[0:1], v[22:23]
	s_delay_alu instid0(VALU_DEP_2) | instskip(NEXT) | instid1(VALU_DEP_2)
	v_fma_f64 v[8:9], v[0:1], v[20:21], -v[8:9]
	v_fmac_f64_e32 v[10:11], v[2:3], v[20:21]
.LBB49_11:                              ;   in Loop: Header=BB49_4 Depth=1
	s_mov_b32 s25, exec_lo
	s_or_b32 exec_lo, exec_lo, s27
	s_delay_alu instid0(SALU_CYCLE_1)
	s_and_b32 vcc_lo, exec_lo, s26
	s_cbranch_vccnz .LBB49_14
	s_branch .LBB49_24
.LBB49_12:                              ;   in Loop: Header=BB49_4 Depth=1
	s_wait_xcnt 0x0
	s_mov_b32 s25, 0
                                        ; implicit-def: $vgpr10_vgpr11
	s_cbranch_execnz .LBB49_14
	s_branch .LBB49_24
.LBB49_13:                              ;   in Loop: Header=BB49_4 Depth=1
	s_or_b32 exec_lo, exec_lo, s27
	s_delay_alu instid0(SALU_CYCLE_1)
	s_and_b32 vcc_lo, exec_lo, s26
	s_cbranch_vccz .LBB49_24
.LBB49_14:                              ;   in Loop: Header=BB49_4 Depth=1
                                        ; implicit-def: $vgpr10_vgpr11
	s_and_saveexec_b32 s26, s2
	s_cbranch_execz .LBB49_23
; %bb.15:                               ;   in Loop: Header=BB49_4 Depth=1
	v_mov_b64_e32 v[8:9], 0
	v_mov_b64_e32 v[16:17], 0
	s_and_not1_b32 vcc_lo, exec_lo, s1
	s_cbranch_vccnz .LBB49_18
; %bb.16:                               ;   in Loop: Header=BB49_4 Depth=1
	s_load_b32 s28, s[16:17], 0x0
	s_mov_b32 s29, s13
	v_mov_b64_e32 v[8:9], 0
	v_mov_b64_e32 v[16:17], 0
	s_mov_b32 s0, s24
	s_wait_kmcnt 0x0
	s_mul_u64 s[28:29], s[18:19], s[28:29]
	s_delay_alu instid0(SALU_CYCLE_1) | instskip(NEXT) | instid1(VALU_DEP_1)
	v_mad_nc_u64_u32 v[10:11], s28, s12, v[14:15]
	v_mad_u32 v11, s29, s12, v11
.LBB49_17:                              ;   Parent Loop BB49_4 Depth=1
                                        ; =>  This Inner Loop Header: Depth=2
	global_load_b128 v[20:23], v[10:11], off offset:-8
	s_wait_xcnt 0x0
	v_add_nc_u64_e32 v[10:11], s[18:19], v[10:11]
	s_add_co_i32 s0, s0, -1
	s_delay_alu instid0(SALU_CYCLE_1)
	s_cmp_eq_u32 s0, 0
	s_wait_loadcnt 0x0
	v_add_f64_e32 v[16:17], v[16:17], v[20:21]
	v_add_f64_e32 v[8:9], v[8:9], v[22:23]
	s_cbranch_scc0 .LBB49_17
.LBB49_18:                              ;   in Loop: Header=BB49_4 Depth=1
	s_delay_alu instid0(VALU_DEP_1) | instskip(SKIP_4) | instid1(VALU_DEP_4)
	v_mul_f64_e32 v[20:21], v[6:7], v[8:9]
	v_mul_f64_e32 v[10:11], v[4:5], v[8:9]
	s_wait_loadcnt 0x0
	v_cmp_neq_f64_e32 vcc_lo, 0, v[0:1]
	v_cmp_neq_f64_e64 s0, 0, v[2:3]
	v_fma_f64 v[8:9], v[4:5], v[16:17], -v[20:21]
	s_delay_alu instid0(VALU_DEP_4) | instskip(SKIP_1) | instid1(SALU_CYCLE_1)
	v_fmac_f64_e32 v[10:11], v[6:7], v[16:17]
	s_or_b32 s0, vcc_lo, s0
	s_and_not1_b32 vcc_lo, exec_lo, s0
	s_mov_b32 s0, -1
	s_cbranch_vccz .LBB49_20
; %bb.19:                               ;   in Loop: Header=BB49_4 Depth=1
	s_mov_b32 s0, 0
.LBB49_20:                              ;   in Loop: Header=BB49_4 Depth=1
	s_delay_alu instid0(SALU_CYCLE_1)
	s_and_not1_b32 vcc_lo, exec_lo, s0
	s_cbranch_vccnz .LBB49_22
; %bb.21:                               ;   in Loop: Header=BB49_4 Depth=1
	v_lshl_add_u64 v[4:5], v[12:13], 4, s[22:23]
	flat_load_b128 v[4:7], v[4:5]
	s_wait_loadcnt_dscnt 0x0
	v_mul_f64_e32 v[16:17], v[2:3], v[6:7]
	v_mul_f64_e32 v[6:7], v[0:1], v[6:7]
	s_delay_alu instid0(VALU_DEP_2) | instskip(NEXT) | instid1(VALU_DEP_2)
	v_fma_f64 v[0:1], v[0:1], v[4:5], -v[16:17]
	v_fmac_f64_e32 v[6:7], v[2:3], v[4:5]
	s_delay_alu instid0(VALU_DEP_2) | instskip(NEXT) | instid1(VALU_DEP_2)
	v_add_f64_e32 v[8:9], v[8:9], v[0:1]
	v_add_f64_e32 v[10:11], v[10:11], v[6:7]
.LBB49_22:                              ;   in Loop: Header=BB49_4 Depth=1
	s_or_b32 s25, s25, exec_lo
.LBB49_23:                              ;   in Loop: Header=BB49_4 Depth=1
	s_wait_xcnt 0x0
	s_or_b32 exec_lo, exec_lo, s26
.LBB49_24:                              ;   in Loop: Header=BB49_4 Depth=1
	s_and_saveexec_b32 s0, s25
	s_cbranch_execz .LBB49_2
; %bb.25:                               ;   in Loop: Header=BB49_4 Depth=1
	s_wait_loadcnt 0x0
	v_lshl_add_u64 v[0:1], v[12:13], 4, s[22:23]
	flat_store_b128 v[0:1], v[8:11]
	s_branch .LBB49_2
.LBB49_26:
	s_endpgm
	.section	.rodata,"a",@progbits
	.p2align	6, 0x0
	.amdhsa_kernel _ZL36rocblas_hemvn_kernel_upper_block_sumILi64ElPK19rocblas_complex_numIdEPKPS1_S1_EviT1_lS7_lT2_lT0_lPT3_i
		.amdhsa_group_segment_fixed_size 0
		.amdhsa_private_segment_fixed_size 0
		.amdhsa_kernarg_size 344
		.amdhsa_user_sgpr_count 2
		.amdhsa_user_sgpr_dispatch_ptr 0
		.amdhsa_user_sgpr_queue_ptr 0
		.amdhsa_user_sgpr_kernarg_segment_ptr 1
		.amdhsa_user_sgpr_dispatch_id 0
		.amdhsa_user_sgpr_kernarg_preload_length 0
		.amdhsa_user_sgpr_kernarg_preload_offset 0
		.amdhsa_user_sgpr_private_segment_size 0
		.amdhsa_wavefront_size32 1
		.amdhsa_uses_dynamic_stack 0
		.amdhsa_enable_private_segment 0
		.amdhsa_system_sgpr_workgroup_id_x 1
		.amdhsa_system_sgpr_workgroup_id_y 0
		.amdhsa_system_sgpr_workgroup_id_z 1
		.amdhsa_system_sgpr_workgroup_info 0
		.amdhsa_system_vgpr_workitem_id 0
		.amdhsa_next_free_vgpr 24
		.amdhsa_next_free_sgpr 30
		.amdhsa_named_barrier_count 0
		.amdhsa_reserve_vcc 1
		.amdhsa_float_round_mode_32 0
		.amdhsa_float_round_mode_16_64 0
		.amdhsa_float_denorm_mode_32 3
		.amdhsa_float_denorm_mode_16_64 3
		.amdhsa_fp16_overflow 0
		.amdhsa_memory_ordered 1
		.amdhsa_forward_progress 1
		.amdhsa_inst_pref_size 8
		.amdhsa_round_robin_scheduling 0
		.amdhsa_exception_fp_ieee_invalid_op 0
		.amdhsa_exception_fp_denorm_src 0
		.amdhsa_exception_fp_ieee_div_zero 0
		.amdhsa_exception_fp_ieee_overflow 0
		.amdhsa_exception_fp_ieee_underflow 0
		.amdhsa_exception_fp_ieee_inexact 0
		.amdhsa_exception_int_div_zero 0
	.end_amdhsa_kernel
	.section	.text._ZL36rocblas_hemvn_kernel_upper_block_sumILi64ElPK19rocblas_complex_numIdEPKPS1_S1_EviT1_lS7_lT2_lT0_lPT3_i,"axG",@progbits,_ZL36rocblas_hemvn_kernel_upper_block_sumILi64ElPK19rocblas_complex_numIdEPKPS1_S1_EviT1_lS7_lT2_lT0_lPT3_i,comdat
.Lfunc_end49:
	.size	_ZL36rocblas_hemvn_kernel_upper_block_sumILi64ElPK19rocblas_complex_numIdEPKPS1_S1_EviT1_lS7_lT2_lT0_lPT3_i, .Lfunc_end49-_ZL36rocblas_hemvn_kernel_upper_block_sumILi64ElPK19rocblas_complex_numIdEPKPS1_S1_EviT1_lS7_lT2_lT0_lPT3_i
                                        ; -- End function
	.set _ZL36rocblas_hemvn_kernel_upper_block_sumILi64ElPK19rocblas_complex_numIdEPKPS1_S1_EviT1_lS7_lT2_lT0_lPT3_i.num_vgpr, 24
	.set _ZL36rocblas_hemvn_kernel_upper_block_sumILi64ElPK19rocblas_complex_numIdEPKPS1_S1_EviT1_lS7_lT2_lT0_lPT3_i.num_agpr, 0
	.set _ZL36rocblas_hemvn_kernel_upper_block_sumILi64ElPK19rocblas_complex_numIdEPKPS1_S1_EviT1_lS7_lT2_lT0_lPT3_i.numbered_sgpr, 30
	.set _ZL36rocblas_hemvn_kernel_upper_block_sumILi64ElPK19rocblas_complex_numIdEPKPS1_S1_EviT1_lS7_lT2_lT0_lPT3_i.num_named_barrier, 0
	.set _ZL36rocblas_hemvn_kernel_upper_block_sumILi64ElPK19rocblas_complex_numIdEPKPS1_S1_EviT1_lS7_lT2_lT0_lPT3_i.private_seg_size, 0
	.set _ZL36rocblas_hemvn_kernel_upper_block_sumILi64ElPK19rocblas_complex_numIdEPKPS1_S1_EviT1_lS7_lT2_lT0_lPT3_i.uses_vcc, 1
	.set _ZL36rocblas_hemvn_kernel_upper_block_sumILi64ElPK19rocblas_complex_numIdEPKPS1_S1_EviT1_lS7_lT2_lT0_lPT3_i.uses_flat_scratch, 0
	.set _ZL36rocblas_hemvn_kernel_upper_block_sumILi64ElPK19rocblas_complex_numIdEPKPS1_S1_EviT1_lS7_lT2_lT0_lPT3_i.has_dyn_sized_stack, 0
	.set _ZL36rocblas_hemvn_kernel_upper_block_sumILi64ElPK19rocblas_complex_numIdEPKPS1_S1_EviT1_lS7_lT2_lT0_lPT3_i.has_recursion, 0
	.set _ZL36rocblas_hemvn_kernel_upper_block_sumILi64ElPK19rocblas_complex_numIdEPKPS1_S1_EviT1_lS7_lT2_lT0_lPT3_i.has_indirect_call, 0
	.section	.AMDGPU.csdata,"",@progbits
; Kernel info:
; codeLenInByte = 920
; TotalNumSgprs: 32
; NumVgprs: 24
; ScratchSize: 0
; MemoryBound: 0
; FloatMode: 240
; IeeeMode: 1
; LDSByteSize: 0 bytes/workgroup (compile time only)
; SGPRBlocks: 0
; VGPRBlocks: 1
; NumSGPRsForWavesPerEU: 32
; NumVGPRsForWavesPerEU: 24
; NamedBarCnt: 0
; Occupancy: 16
; WaveLimiterHint : 1
; COMPUTE_PGM_RSRC2:SCRATCH_EN: 0
; COMPUTE_PGM_RSRC2:USER_SGPR: 2
; COMPUTE_PGM_RSRC2:TRAP_HANDLER: 0
; COMPUTE_PGM_RSRC2:TGID_X_EN: 1
; COMPUTE_PGM_RSRC2:TGID_Y_EN: 0
; COMPUTE_PGM_RSRC2:TGID_Z_EN: 1
; COMPUTE_PGM_RSRC2:TIDIG_COMP_CNT: 0
	.section	.text._ZL26rocblas_hemvn_kernel_upperILb1ELi64ELi4ELi33ELi32ELi16EiPK19rocblas_complex_numIdEPKS3_PS1_EviT6_lT7_lT5_lS8_lS9_lS7_lT8_i,"axG",@progbits,_ZL26rocblas_hemvn_kernel_upperILb1ELi64ELi4ELi33ELi32ELi16EiPK19rocblas_complex_numIdEPKS3_PS1_EviT6_lT7_lT5_lS8_lS9_lS7_lT8_i,comdat
	.globl	_ZL26rocblas_hemvn_kernel_upperILb1ELi64ELi4ELi33ELi32ELi16EiPK19rocblas_complex_numIdEPKS3_PS1_EviT6_lT7_lT5_lS8_lS9_lS7_lT8_i ; -- Begin function _ZL26rocblas_hemvn_kernel_upperILb1ELi64ELi4ELi33ELi32ELi16EiPK19rocblas_complex_numIdEPKS3_PS1_EviT6_lT7_lT5_lS8_lS9_lS7_lT8_i
	.p2align	8
	.type	_ZL26rocblas_hemvn_kernel_upperILb1ELi64ELi4ELi33ELi32ELi16EiPK19rocblas_complex_numIdEPKS3_PS1_EviT6_lT7_lT5_lS8_lS9_lS7_lT8_i,@function
_ZL26rocblas_hemvn_kernel_upperILb1ELi64ELi4ELi33ELi32ELi16EiPK19rocblas_complex_numIdEPKS3_PS1_EviT6_lT7_lT5_lS8_lS9_lS7_lT8_i: ; @_ZL26rocblas_hemvn_kernel_upperILb1ELi64ELi4ELi33ELi32ELi16EiPK19rocblas_complex_numIdEPKS3_PS1_EviT6_lT7_lT5_lS8_lS9_lS7_lT8_i
; %bb.0:
	s_clause 0x1
	s_load_b64 s[2:3], s[0:1], 0x84
	s_load_b32 s33, s[0:1], 0x70
	s_bfe_u32 s4, ttmp6, 0x40014
	s_lshr_b32 s5, ttmp7, 16
	s_add_co_i32 s4, s4, 1
	s_bfe_u32 s6, ttmp6, 0x40008
	s_mul_i32 s7, s5, s4
	s_getreg_b32 s4, hwreg(HW_REG_IB_STS2, 6, 4)
	s_add_co_i32 s6, s6, s7
	s_mov_b32 s35, 0
	s_wait_kmcnt 0x0
	s_lshr_b32 s7, s2, 16
	s_and_b32 s2, s2, 0xffff
	s_and_b32 s3, s3, 0xffff
	s_mul_i32 s2, s7, s2
	s_cmp_eq_u32 s4, 0
	s_mul_i32 s2, s2, s3
	s_cselect_b32 s34, s5, s6
	s_cmp_lg_u32 s2, 0x100
	s_cselect_b32 s2, -1, 0
	s_cmp_ge_u32 s34, s33
	s_cselect_b32 s3, -1, 0
	s_delay_alu instid0(SALU_CYCLE_1) | instskip(NEXT) | instid1(SALU_CYCLE_1)
	s_or_b32 s2, s2, s3
	s_and_b32 vcc_lo, exec_lo, s2
	s_cbranch_vccnz .LBB50_188
; %bb.1:
	s_clause 0x1
	s_load_b32 s2, s[0:1], 0x0
	s_load_b32 s70, s[0:1], 0x28
	s_add_nc_u64 s[6:7], s[0:1], 0x78
	s_load_b32 s44, s[6:7], 0x0
	s_clause 0x3
	s_load_b256 s[24:31], s[0:1], 0x8
	s_load_b128 s[36:39], s[0:1], 0x38
	s_load_b32 s72, s[0:1], 0x48
	s_load_b64 s[8:9], s[0:1], 0x68
	s_bfe_u32 s5, ttmp6, 0x4000c
	v_bfe_u32 v3, v0, 10, 10
	s_add_co_i32 s5, s5, 1
	s_and_b32 s3, ttmp6, 15
	s_mul_i32 s5, ttmp9, s5
	s_set_vgpr_msb 64                       ;  msbs: dst=1 src0=0 src1=0 src2=0
	v_and_b32_e32 v22 /*v278*/, 0x3ff, v0
	s_set_vgpr_msb 0                        ;  msbs: dst=0 src0=0 src1=0 src2=0
	v_dual_lshlrev_b32 v1, 6, v3 :: v_dual_bitop2_b32 v4, 31, v0 bitop3:0x40
	s_add_co_i32 s5, s3, s5
	s_load_b128 s[40:43], s[0:1], 0x58
	s_mov_b32 s45, s35
	s_set_vgpr_msb 0x44                     ;  msbs: dst=1 src0=0 src1=1 src2=0
	v_lshlrev_b32_e32 v23 /*v279*/, 4, v22 /*v278*/
	s_set_vgpr_msb 64                       ;  msbs: dst=1 src0=0 src1=0 src2=0
	v_add_nc_u32_e32 v32 /*v288*/, 0x4300, v1
	s_wait_xcnt 0x0
	v_cmp_eq_u32_e64 s0, 0, v3
	s_set_vgpr_msb 0                        ;  msbs: dst=0 src0=0 src1=0 src2=0
	v_mov_b32_e32 v2, 0
	s_wait_kmcnt 0x0
	s_ashr_i32 s3, s2, 31
	s_ashr_i32 s71, s70, 31
	s_cmp_eq_u32 s4, 0
	v_dual_mov_b32 v5, v2 :: v_dual_lshlrev_b32 v12, 4, v4
	s_cselect_b32 s46, ttmp9, s5
	s_lshr_b32 s4, s3, 26
	s_lshl_b32 s22, s46, 6
	s_set_vgpr_msb 4                        ;  msbs: dst=0 src0=0 src1=1 src2=0
	v_dual_add_nc_u32 v8, v1, v22 /*v278*/ :: v_dual_add_nc_u32 v186, s22, v22 /*v278*/
	s_add_co_i32 s4, s2, s4
	s_add_co_i32 s5, s44, -1
	s_and_not1_b32 s4, s4, 63
	s_set_vgpr_msb 0                        ;  msbs: dst=0 src0=0 src1=0 src2=0
	v_lshrrev_b32_e32 v7, 5, v8
	s_sub_co_i32 s80, s2, s4
	s_cmp_eq_u32 s46, s5
	v_lshl_or_b32 v13, v4, 9, v12
	s_cselect_b32 s48, s80, 0
	v_dual_add_nc_u32 v10, 24, v7 :: v_dual_lshlrev_b32 v11, 2, v7
	s_cmp_lg_u32 s48, 0
	v_dual_add_nc_u32 v6, 8, v7 :: v_dual_add_nc_u32 v9, 16, v7
	s_cselect_b32 s81, -1, 0
	s_cmp_eq_u32 s48, 0
	v_mul_u32_u24_e32 v16, 0x840, v7
	s_cselect_b32 s1, -1, 0
	s_ashr_i32 s47, s46, 31
	s_set_vgpr_msb 64                       ;  msbs: dst=1 src0=0 src1=0 src2=0
	v_lshlrev_b32_e32 v30 /*v286*/, 2, v3
	s_set_vgpr_msb 0                        ;  msbs: dst=0 src0=0 src1=0 src2=0
	v_lshlrev_b32_e32 v14, 6, v7
	v_or_b32_e32 v15, 1, v11
	s_mul_u64 s[4:5], s[2:3], s[46:47]
	s_sub_co_i32 s19, s48, 32
	s_lshl_b64 s[4:5], s[4:5], 4
	s_mul_u64 s[50:51], s[44:45], s[2:3]
	v_cmp_le_i32_e64 s3, s48, v6
	v_cmp_le_i32_e64 s17, s19, v6
	s_set_vgpr_msb 64                       ;  msbs: dst=1 src0=0 src1=0 src2=0
	v_add_nc_u32_e32 v39 /*v295*/, v12, v16
	s_set_vgpr_msb 20                       ;  msbs: dst=0 src0=0 src1=1 src2=1
	v_mad_u32 v6, s70, v30 /*v286*/, v22 /*v278*/
	s_add_nc_u64 s[52:53], s[8:9], s[4:5]
	s_set_vgpr_msb 0                        ;  msbs: dst=0 src0=0 src1=0 src2=0
	v_cmp_le_i32_e64 s4, s48, v9
	v_cmp_le_u32_e64 s6, v11, v4
	v_cmp_eq_u32_e64 s7, v11, v4
	v_cmp_ge_u32_e64 s8, v11, v4
	v_cmp_le_i32_e64 s18, s19, v9
	v_lshrrev_b32_e32 v9, 4, v8
	v_mul_u32_u24_e32 v17, 0x210, v15
	v_cmp_eq_u32_e64 s9, v15, v4
	v_mul_u32_u24_e32 v15, 33, v4
	s_set_vgpr_msb 64                       ;  msbs: dst=1 src0=0 src1=0 src2=0
	v_add_nc_u32_e32 v26 /*v282*/, v13, v14
	s_set_vgpr_msb 0                        ;  msbs: dst=0 src0=0 src1=0 src2=0
	v_or_b32_e32 v13, 2, v11
	v_dual_ashrrev_i32 v187, 31, v186 :: v_dual_bitop2_b32 v11, 3, v11 bitop3:0x54
	v_mad_u32 v190, s70, v7, v4
	v_cmp_le_i32_e64 s2, s48, v7
	s_set_vgpr_msb 64                       ;  msbs: dst=1 src0=0 src1=0 src2=0
	v_mad_u32_u24 v24 /*v280*/, 0x210, v7, v12
	v_cmp_le_u32_e64 s12, v11, v4
	v_cmp_eq_u32_e64 s13, v11, v4
	s_set_vgpr_msb 0                        ;  msbs: dst=0 src0=0 src1=0 src2=0
	v_dual_lshlrev_b32 v232, 4, v4 :: v_dual_bitop2_b32 v11, 32, v4 bitop3:0x54
	v_cmp_le_i32_e64 s5, s48, v10
	v_cmp_le_u32_e64 s10, v13, v4
	v_cmp_eq_u32_e64 s11, v13, v4
	v_lshlrev_b32_e32 v13, 4, v7
	v_cmp_gt_i32_e64 s15, s48, v11
	v_cmp_le_i32_e64 s16, s19, v7
	v_cmp_le_i32_e64 s19, s19, v10
	v_cmp_eq_u32_e64 s20, 1, v7
	s_set_vgpr_msb 64                       ;  msbs: dst=1 src0=0 src1=0 src2=0
	v_mul_i32_i24_e32 v31 /*v287*/, 0xffffffd0, v7
	s_set_vgpr_msb 0                        ;  msbs: dst=0 src0=0 src1=0 src2=0
	v_dual_lshlrev_b32 v11, 6, v9 :: v_dual_bitop2_b32 v10, 15, v0 bitop3:0x40
	v_dual_ashrrev_i32 v7, 31, v6 :: v_dual_bitop2_b32 v0, 48, v0 bitop3:0x40
	s_lshl_b32 s62, s70, 5
	s_set_vgpr_msb 64                       ;  msbs: dst=1 src0=0 src1=0 src2=0
	v_lshlrev_b32_e32 v27 /*v283*/, 4, v15
	s_ashr_i32 s63, s62, 31
	v_mad_u32_u24 v34 /*v290*/, 0x430, v10, v11
	s_set_vgpr_msb 0                        ;  msbs: dst=0 src0=0 src1=0 src2=0
	v_lshlrev_b32_e32 v11, 4, v0
	v_add_nc_u64_e32 v[0:1], s[62:63], v[6:7]
	v_cmp_gt_u32_e64 s14, 32, v8
	v_mul_i32_i24_e32 v15, 0xffffffd0, v9
	v_cmp_gt_u32_e64 s21, 64, v8
	s_set_vgpr_msb 4                        ;  msbs: dst=0 src0=0 src1=1 src2=0
	v_cmp_gt_i32_e32 vcc_lo, s48, v22 /*v278*/
	s_lshl_b32 s58, s70, 4
	s_set_vgpr_msb 0                        ;  msbs: dst=0 src0=0 src1=0 src2=0
	v_mul_lo_u32 v188, s72, v186
	v_lshlrev_b64_e32 v[8:9], 4, v[0:1]
	s_mul_i32 s54, s70, s22
	s_or_b32 s66, s1, vcc_lo
	s_lshl_b32 s56, s70, 3
	s_mul_i32 s60, s70, 24
	s_mul_i32 s64, s72, s22
	s_add_co_i32 s73, s46, 1
	v_mad_nc_i64_i32 v[0:1], s58, 48, v[8:9]
	s_xor_b32 s82, s66, -1
	s_ashr_i32 s23, s22, 31
	s_ashr_i32 s55, s54, 31
	;; [unrolled: 1-line block ×7, first 2 shown]
	s_cmp_lt_u32 s73, s44
	s_mul_i32 s78, s70, 3
	s_cselect_b32 s45, -1, 0
	s_ashr_i32 s79, s78, 31
	s_lshl_b32 s83, s72, 6
	s_lshl_b32 s74, s70, 1
	s_lshl_b64 s[68:69], s[70:71], 7
	v_lshlrev_b64_e32 v[6:7], 4, v[6:7]
	s_lshl_b64 s[76:77], s[70:71], 4
	s_lshl_b64 s[86:87], s[70:71], 5
	s_mul_i32 s70, s72, s73
	s_lshl_b64 s[72:73], s[78:79], 4
	s_lshl_b64 s[88:89], s[62:63], 4
	s_mul_u64 s[78:79], s[58:59], 48
	v_add_nc_u64_e32 v[194:195], s[72:73], v[0:1]
	s_ashr_i32 s75, s74, 31
	s_add_nc_u64 s[90:91], s[86:87], s[88:89]
	s_add_nc_u64 s[78:79], s[78:79], s[86:87]
	s_lshl_b64 s[86:87], s[58:59], 4
	s_lshl_b64 s[94:95], s[58:59], 5
	v_dual_ashrrev_i32 v189, 31, v188 :: v_dual_ashrrev_i32 v191, 31, v190
	s_set_vgpr_msb 64                       ;  msbs: dst=1 src0=0 src1=0 src2=0
	v_add_nc_u32_e32 v28 /*v284*/, 0x4700, v14
	s_set_vgpr_msb 4                        ;  msbs: dst=0 src0=0 src1=1 src2=0
	v_or_b32_e32 v14, 0xf0, v23 /*v279*/
	s_lshl_b64 s[74:75], s[74:75], 4
	s_add_nc_u64 s[96:97], s[90:91], s[86:87]
	s_add_nc_u64 s[98:99], s[94:95], s[88:89]
	;; [unrolled: 1-line block ×3, first 2 shown]
	s_set_vgpr_msb 0                        ;  msbs: dst=0 src0=0 src1=0 src2=0
	v_add_nc_u64_e32 v[204:205], s[96:97], v[6:7]
	s_add_nc_u64 s[96:97], s[98:99], s[72:73]
	v_add_nc_u64_e32 v[206:207], s[78:79], v[8:9]
	s_add_nc_u64 s[78:79], s[98:99], s[74:75]
	s_set_vgpr_msb 64                       ;  msbs: dst=1 src0=0 src1=0 src2=0
	v_mad_u32_u24 v36 /*v292*/, 0x430, v10, v14
	s_set_vgpr_msb 0                        ;  msbs: dst=0 src0=0 src1=0 src2=0
	v_or_b32_e32 v194, 8, v194
	s_set_vgpr_msb 64                       ;  msbs: dst=1 src0=0 src1=0 src2=0
	v_mad_u32_u24 v35 /*v291*/, 0x430, v10, v11
	s_set_vgpr_msb 0                        ;  msbs: dst=0 src0=0 src1=0 src2=0
	v_lshlrev_b64_e32 v[10:11], 4, v[190:191]
	v_add_nc_u64_e32 v[200:201], s[92:93], v[6:7]
	v_add_nc_u64_e32 v[202:203], s[88:89], v[6:7]
	;; [unrolled: 1-line block ×3, first 2 shown]
	s_add_nc_u64 s[96:97], s[88:89], s[74:75]
	v_add_nc_u64_e32 v[210:211], s[78:79], v[6:7]
	s_add_nc_u64 s[78:79], s[88:89], s[72:73]
	v_add_nc_u64_e32 v[212:213], s[98:99], v[6:7]
	s_add_nc_u64 s[98:99], s[98:99], s[76:77]
	s_add_nc_u64 s[92:93], s[92:93], s[86:87]
	;; [unrolled: 1-line block ×4, first 2 shown]
	v_add_nc_u64_e32 v[192:193], s[90:91], v[6:7]
	v_add_nc_u64_e32 v[198:199], s[74:75], v[0:1]
	v_or_b32_e32 v0, 8, v0
	v_add_nc_u64_e32 v[214:215], s[98:99], v[6:7]
	v_add_nc_u64_e32 v[216:217], s[88:89], v[6:7]
	s_add_nc_u64 s[74:75], s[86:87], s[74:75]
	s_add_nc_u64 s[72:73], s[86:87], s[72:73]
	v_sub_nc_u64_e32 v[196:197], 0, v[10:11]
	v_add_nc_u64_e32 v[218:219], s[96:97], v[6:7]
	v_add_nc_u64_e32 v[220:221], s[78:79], v[6:7]
	;; [unrolled: 1-line block ×6, first 2 shown]
	v_sub_nc_u64_e32 v[230:231], 0, v[4:5]
	v_add_nc_u64_e32 v[234:235], s[76:77], v[0:1]
	v_cmp_gt_i32_e64 s1, s48, v4
	s_set_vgpr_msb 0x41                     ;  msbs: dst=1 src0=1 src1=0 src2=0
	v_mad_u32_u24 v25 /*v281*/, 0x210, v4, v12
	v_dual_add_nc_u32 v29 /*v285*/, v27 /*v283*/, v13 :: v_dual_add_nc_u32 v41 /*v297*/, v34 /*v290*/, v15
	s_set_vgpr_msb 0x50                     ;  msbs: dst=1 src0=0 src1=0 src2=1
	v_mad_u32_u24 v33 /*v289*/, 0x10c0, v3, v23 /*v279*/
	v_mad_u32_u24 v37 /*v293*/, 0x430, v3, v23 /*v279*/
	v_add_nc_u32_e32 v38 /*v294*/, 0x4700, v13
	s_set_vgpr_msb 0                        ;  msbs: dst=0 src0=0 src1=0 src2=0
	v_or_b32_e32 v192, 8, v192
	v_or_b32_e32 v198, 8, v198
	;; [unrolled: 1-line block ×3, first 2 shown]
	s_set_vgpr_msb 64                       ;  msbs: dst=1 src0=0 src1=0 src2=0
	v_dual_add_nc_u32 v40 /*v296*/, v12, v17 :: v_dual_add_nc_u32 v65 /*v321*/, 64, v186
	s_set_vgpr_msb 0                        ;  msbs: dst=0 src0=0 src1=0 src2=0
	v_or_b32_e32 v208, 8, v208
	v_or_b32_e32 v210, 8, v210
	;; [unrolled: 1-line block ×5, first 2 shown]
	s_set_vgpr_msb 0x44                     ;  msbs: dst=1 src0=0 src1=1 src2=0
	v_add_nc_u32_e32 v42 /*v298*/, 0x4700, v23 /*v279*/
	v_add_nc_u32_e32 v43 /*v299*/, 0x1080, v24 /*v280*/
	;; [unrolled: 1-line block ×4, first 2 shown]
	v_dual_add_nc_u32 v46 /*v302*/, 16, v26 /*v282*/ :: v_dual_add_nc_u32 v47 /*v303*/, 32, v26 /*v282*/
	v_add_nc_u32_e32 v48 /*v304*/, 48, v26 /*v282*/
	v_add_nc_u32_e32 v49 /*v305*/, 0x4300, v23 /*v279*/
	v_dual_add_nc_u32 v53 /*v309*/, 16, v30 /*v286*/ :: v_dual_bitop2_b32 v50 /*v306*/, 1, v30 /*v286*/ bitop3:0x54
	v_dual_add_nc_u32 v54 /*v310*/, 17, v30 /*v286*/ :: v_dual_bitop2_b32 v51 /*v307*/, 2, v30 /*v286*/ bitop3:0x54
	;; [unrolled: 1-line block ×3, first 2 shown]
	v_dual_add_nc_u32 v56 /*v312*/, 19, v30 /*v286*/ :: v_dual_add_nc_u32 v57 /*v313*/, 32, v30 /*v286*/
	v_dual_add_nc_u32 v58 /*v314*/, 33, v30 /*v286*/ :: v_dual_add_nc_u32 v59 /*v315*/, 34, v30 /*v286*/
	;; [unrolled: 1-line block ×4, first 2 shown]
	v_add_nc_u32_e32 v64 /*v320*/, 51, v30 /*v286*/
	s_sub_nc_u64 s[64:65], 0, s[64:65]
	s_add_co_i32 s47, s44, -2
	s_and_b32 s84, s0, s66
	s_sub_nc_u64 s[66:67], 0, s[48:49]
	s_lshl_b32 s85, s70, 6
	s_lshl_b64 s[70:71], s[58:59], 6
	s_mov_b64 s[72:73], 0xfffffffffffffe00
	s_mov_b64 s[74:75], 0xfffffffffffffdf0
	s_lshl_b64 s[38:39], s[38:39], 4
	s_lshl_b64 s[30:31], s[30:31], 4
	;; [unrolled: 1-line block ×3, first 2 shown]
	s_set_vgpr_msb 0                        ;  msbs: dst=0 src0=0 src1=0 src2=0
	s_branch .LBB50_4
.LBB50_2:                               ;   in Loop: Header=BB50_4 Depth=1
	s_wait_xcnt 0x0
	s_or_b32 exec_lo, exec_lo, s78
.LBB50_3:                               ;   in Loop: Header=BB50_4 Depth=1
	s_add_co_i32 s34, s34, 0x10000
	s_delay_alu instid0(SALU_CYCLE_1)
	s_cmp_lt_u32 s34, s33
	s_cbranch_scc0 .LBB50_188
.LBB50_4:                               ; =>This Loop Header: Depth=1
                                        ;     Child Loop BB50_112 Depth 2
	s_mul_u64 s[22:23], s[26:27], s[34:35]
	s_delay_alu instid0(SALU_CYCLE_1) | instskip(NEXT) | instid1(SALU_CYCLE_1)
	s_lshl_b64 s[22:23], s[22:23], 4
	s_add_nc_u64 s[22:23], s[24:25], s[22:23]
	global_load_b128 v[4:7], v2, s[22:23]
	s_wait_loadcnt 0x0
	v_cmp_neq_f64_e32 vcc_lo, 0, v[4:5]
	s_wait_xcnt 0x0
	v_cmp_neq_f64_e64 s22, 0, v[6:7]
	s_or_b32 s22, vcc_lo, s22
	s_delay_alu instid0(SALU_CYCLE_1)
	s_and_b32 vcc_lo, exec_lo, s22
	s_mov_b32 s22, -1
	s_cbranch_vccz .LBB50_6
; %bb.5:                                ;   in Loop: Header=BB50_4 Depth=1
	s_and_not1_b32 vcc_lo, exec_lo, s22
	s_cbranch_vccnz .LBB50_3
	s_branch .LBB50_7
.LBB50_6:                               ;   in Loop: Header=BB50_4 Depth=1
	s_mul_u64 s[22:23], s[42:43], s[34:35]
	s_delay_alu instid0(SALU_CYCLE_1) | instskip(NEXT) | instid1(SALU_CYCLE_1)
	s_lshl_b64 s[22:23], s[22:23], 4
	s_add_nc_u64 s[22:23], s[40:41], s[22:23]
	global_load_b128 v[4:7], v2, s[22:23]
	s_wait_loadcnt 0x0
	v_cmp_eq_f64_e32 vcc_lo, 1.0, v[4:5]
	s_wait_xcnt 0x0
	v_cmp_eq_f64_e64 s22, 0, v[6:7]
	s_and_b32 s22, vcc_lo, s22
	s_delay_alu instid0(SALU_CYCLE_1)
	s_and_not1_b32 vcc_lo, exec_lo, s22
	s_cbranch_execnz .LBB50_3
.LBB50_7:                               ;   in Loop: Header=BB50_4 Depth=1
	s_lshl_b64 s[22:23], s[34:35], 3
	s_delay_alu instid0(SALU_CYCLE_1)
	s_add_nc_u64 s[78:79], s[36:37], s[22:23]
	s_add_nc_u64 s[22:23], s[28:29], s[22:23]
	s_clause 0x1
	global_load_b64 v[4:5], v2, s[78:79]
	global_load_b64 v[6:7], v2, s[22:23]
	s_wait_loadcnt 0x1
	v_add_nc_u64_e32 v[4:5], s[38:39], v[4:5]
	s_delay_alu instid0(VALU_DEP_1)
	v_lshl_add_u64 v[42:43], v[188:189], 4, v[4:5]
	s_wait_xcnt 0x0
	s_and_saveexec_b32 s22, s0
	s_cbranch_execz .LBB50_12
; %bb.8:                                ;   in Loop: Header=BB50_4 Depth=1
	s_and_saveexec_b32 s23, s82
	s_delay_alu instid0(SALU_CYCLE_1)
	s_xor_b32 s23, exec_lo, s23
; %bb.9:                                ;   in Loop: Header=BB50_4 Depth=1
	v_dual_mov_b32 v3, v2 :: v_dual_mov_b32 v4, v2
	v_mov_b32_e32 v5, v2
	s_set_vgpr_msb 1                        ;  msbs: dst=0 src0=1 src1=0 src2=0
	ds_store_b128 v42 /*v298*/, v[2:5]
; %bb.10:                               ;   in Loop: Header=BB50_4 Depth=1
	s_and_not1_saveexec_b32 s23, s23
	s_set_vgpr_msb 0                        ;  msbs: dst=0 src0=0 src1=0 src2=0
	s_cbranch_execz .LBB50_12
; %bb.11:                               ;   in Loop: Header=BB50_4 Depth=1
	flat_load_b128 v[8:11], v[42:43]
	s_wait_loadcnt_dscnt 0x0
	s_set_vgpr_msb 1                        ;  msbs: dst=0 src0=1 src1=0 src2=0
	ds_store_2addr_b64 v42 /*v298*/, v[8:9], v[10:11] offset1:1
.LBB50_12:                              ;   in Loop: Header=BB50_4 Depth=1
	s_wait_xcnt 0x0
	s_or_b32 exec_lo, exec_lo, s22
	s_wait_loadcnt 0x0
	s_set_vgpr_msb 0                        ;  msbs: dst=0 src0=0 src1=0 src2=0
	v_add_nc_u64_e32 v[4:5], s[30:31], v[6:7]
	s_and_b32 vcc_lo, exec_lo, s81
	s_mov_b32 s22, -1
                                        ; implicit-def: $vgpr10_vgpr11
	s_delay_alu instid0(VALU_DEP_1) | instskip(NEXT) | instid1(VALU_DEP_1)
	v_add_nc_u64_e32 v[4:5], s[76:77], v[4:5]
	v_lshl_add_u64 v[4:5], v[190:191], 4, v[4:5]
	s_delay_alu instid0(VALU_DEP_1)
	v_lshl_add_u64 v[6:7], s[54:55], 4, v[4:5]
	s_cbranch_vccz .LBB50_24
; %bb.13:                               ;   in Loop: Header=BB50_4 Depth=1
	s_and_saveexec_b32 s22, s2
	s_delay_alu instid0(SALU_CYCLE_1)
	s_xor_b32 s22, exec_lo, s22
; %bb.14:                               ;   in Loop: Header=BB50_4 Depth=1
	v_dual_mov_b32 v3, v2 :: v_dual_mov_b32 v4, v2
	v_mov_b32_e32 v5, v2
	s_set_vgpr_msb 1                        ;  msbs: dst=0 src0=1 src1=0 src2=0
	ds_store_b128 v24 /*v280*/, v[2:5]
; %bb.15:                               ;   in Loop: Header=BB50_4 Depth=1
	s_or_saveexec_b32 s22, s22
	s_set_vgpr_msb 0                        ;  msbs: dst=0 src0=0 src1=0 src2=0
	v_lshl_add_u64 v[4:5], v[230:231], 4, v[6:7]
	s_delay_alu instid0(VALU_DEP_1) | instskip(NEXT) | instid1(VALU_DEP_1)
	v_lshl_add_u64 v[4:5], s[48:49], 4, v[4:5]
	v_add_nc_u64_e32 v[4:5], -16, v[4:5]
	s_delay_alu instid0(VALU_DEP_1)
	v_dual_cndmask_b32 v9, v5, v7, s1 :: v_dual_cndmask_b32 v8, v4, v6, s1
	s_xor_b32 exec_lo, exec_lo, s22
	s_cbranch_execnz .LBB50_170
; %bb.16:                               ;   in Loop: Header=BB50_4 Depth=1
	s_or_b32 exec_lo, exec_lo, s22
	s_and_saveexec_b32 s22, s3
	s_delay_alu instid0(SALU_CYCLE_1)
	s_xor_b32 s22, exec_lo, s22
	s_cbranch_execnz .LBB50_171
.LBB50_17:                              ;   in Loop: Header=BB50_4 Depth=1
	s_and_not1_saveexec_b32 s22, s22
	s_cbranch_execnz .LBB50_172
.LBB50_18:                              ;   in Loop: Header=BB50_4 Depth=1
	s_or_b32 exec_lo, exec_lo, s22
	s_and_saveexec_b32 s22, s4
	s_delay_alu instid0(SALU_CYCLE_1)
	s_xor_b32 s22, exec_lo, s22
	s_cbranch_execnz .LBB50_173
.LBB50_19:                              ;   in Loop: Header=BB50_4 Depth=1
	s_and_not1_saveexec_b32 s22, s22
	s_cbranch_execnz .LBB50_174
.LBB50_20:                              ;   in Loop: Header=BB50_4 Depth=1
	s_or_b32 exec_lo, exec_lo, s22
	s_and_saveexec_b32 s22, s5
	s_delay_alu instid0(SALU_CYCLE_1)
	s_xor_b32 s22, exec_lo, s22
	s_cbranch_execnz .LBB50_175
.LBB50_21:                              ;   in Loop: Header=BB50_4 Depth=1
	s_and_not1_saveexec_b32 s22, s22
	s_cbranch_execz .LBB50_23
.LBB50_22:                              ;   in Loop: Header=BB50_4 Depth=1
	v_lshl_add_u64 v[4:5], s[60:61], 4, v[8:9]
	flat_load_b128 v[10:13], v[4:5]
	s_wait_loadcnt_dscnt 0x0
	s_set_vgpr_msb 1                        ;  msbs: dst=0 src0=1 src1=0 src2=0
	ds_store_2addr_b64 v45 /*v301*/, v[10:11], v[12:13] offset1:1
.LBB50_23:                              ;   in Loop: Header=BB50_4 Depth=1
	s_wait_xcnt 0x0
	s_or_b32 exec_lo, exec_lo, s22
	s_set_vgpr_msb 0                        ;  msbs: dst=0 src0=0 src1=0 src2=0
	v_mov_b32_e32 v233, v2
	s_mov_b32 s22, 0
	s_delay_alu instid0(VALU_DEP_1) | instskip(NEXT) | instid1(VALU_DEP_1)
	v_add_nc_u64_e32 v[4:5], v[8:9], v[232:233]
	v_lshl_add_u64 v[4:5], s[66:67], 4, v[4:5]
	s_delay_alu instid0(VALU_DEP_1) | instskip(NEXT) | instid1(VALU_DEP_1)
	v_add_nc_u64_e32 v[4:5], 16, v[4:5]
	v_dual_cndmask_b32 v11, v5, v7, s1 :: v_dual_cndmask_b32 v10, v4, v6, s1
.LBB50_24:                              ;   in Loop: Header=BB50_4 Depth=1
	s_and_b32 vcc_lo, exec_lo, s22
	s_cbranch_vccz .LBB50_26
; %bb.25:                               ;   in Loop: Header=BB50_4 Depth=1
	flat_load_b128 v[8:11], v[6:7]
	v_lshl_add_u64 v[4:5], s[56:57], 4, v[6:7]
	s_wait_loadcnt_dscnt 0x0
	s_set_vgpr_msb 1                        ;  msbs: dst=0 src0=1 src1=0 src2=0
	ds_store_2addr_b64 v24 /*v280*/, v[8:9], v[10:11] offset1:1
	s_set_vgpr_msb 0                        ;  msbs: dst=0 src0=0 src1=0 src2=0
	flat_load_b128 v[8:11], v[4:5]
	s_wait_xcnt 0x0
	v_add_nc_u64_e32 v[4:5], s[68:69], v[4:5]
	s_wait_loadcnt_dscnt 0x0
	s_set_vgpr_msb 1                        ;  msbs: dst=0 src0=1 src1=0 src2=0
	ds_store_2addr_b64 v43 /*v299*/, v[8:9], v[10:11] offset1:1
	s_set_vgpr_msb 0                        ;  msbs: dst=0 src0=0 src1=0 src2=0
	flat_load_b128 v[8:11], v[4:5]
	s_wait_xcnt 0x0
	v_add_nc_u64_e32 v[4:5], s[68:69], v[4:5]
	s_wait_loadcnt_dscnt 0x0
	s_set_vgpr_msb 1                        ;  msbs: dst=0 src0=1 src1=0 src2=0
	ds_store_2addr_b64 v44 /*v300*/, v[8:9], v[10:11] offset1:1
	s_set_vgpr_msb 0                        ;  msbs: dst=0 src0=0 src1=0 src2=0
	flat_load_b128 v[12:15], v[4:5]
	v_mov_b64_e32 v[10:11], v[6:7]
	s_wait_loadcnt_dscnt 0x0
	s_set_vgpr_msb 1                        ;  msbs: dst=0 src0=1 src1=0 src2=0
	ds_store_2addr_b64 v45 /*v301*/, v[12:13], v[14:15] offset1:1
.LBB50_26:                              ;   in Loop: Header=BB50_4 Depth=1
	s_mov_b32 s22, 0
	s_wait_dscnt 0x0
	s_barrier_signal -1
	s_barrier_wait -1
	s_wait_xcnt 0x0
	s_and_saveexec_b32 s23, s6
	s_delay_alu instid0(SALU_CYCLE_1)
	s_xor_b32 s23, exec_lo, s23
; %bb.27:                               ;   in Loop: Header=BB50_4 Depth=1
	s_and_b32 s22, s7, exec_lo
; %bb.28:                               ;   in Loop: Header=BB50_4 Depth=1
	s_or_saveexec_b32 s23, s23
	s_set_vgpr_msb 1                        ;  msbs: dst=0 src0=1 src1=0 src2=0
	v_mov_b64_e32 v[6:7], 0
	v_mov_b32_e32 v3, v25 /*v281*/
	s_xor_b32 exec_lo, exec_lo, s23
	s_set_vgpr_msb 0                        ;  msbs: dst=0 src0=0 src1=0 src2=0
	s_cbranch_execz .LBB50_30
; %bb.29:                               ;   in Loop: Header=BB50_4 Depth=1
	s_set_vgpr_msb 1                        ;  msbs: dst=0 src0=1 src1=0 src2=0
	ds_load_b128 v[4:7], v39 /*v295*/
	v_mov_b32_e32 v3, v26 /*v282*/
	s_or_b32 s22, s22, exec_lo
	s_wait_dscnt 0x0
	v_xor_b32_e32 v7, 0x80000000, v7
	ds_store_b64 v26 /*v282*/, v[4:5]
.LBB50_30:                              ;   in Loop: Header=BB50_4 Depth=1
	s_or_b32 exec_lo, exec_lo, s23
	s_and_saveexec_b32 s23, s22
; %bb.31:                               ;   in Loop: Header=BB50_4 Depth=1
	s_set_vgpr_msb 0                        ;  msbs: dst=0 src0=0 src1=0 src2=0
	ds_store_b64 v3, v[6:7] offset:8
; %bb.32:                               ;   in Loop: Header=BB50_4 Depth=1
	s_or_b32 exec_lo, exec_lo, s23
	s_mov_b32 s22, 0
                                        ; implicit-def: $vgpr6_vgpr7
	s_and_saveexec_b32 s23, s8
	s_delay_alu instid0(SALU_CYCLE_1)
	s_xor_b32 s23, exec_lo, s23
	s_cbranch_execnz .LBB50_166
; %bb.33:                               ;   in Loop: Header=BB50_4 Depth=1
	s_or_saveexec_b32 s23, s23
	s_set_vgpr_msb 1                        ;  msbs: dst=0 src0=1 src1=0 src2=0
	v_mov_b32_e32 v3, v46 /*v302*/
	s_xor_b32 exec_lo, exec_lo, s23
	s_set_vgpr_msb 0                        ;  msbs: dst=0 src0=0 src1=0 src2=0
	s_cbranch_execnz .LBB50_167
.LBB50_34:                              ;   in Loop: Header=BB50_4 Depth=1
	s_or_b32 exec_lo, exec_lo, s23
	s_and_saveexec_b32 s23, s22
.LBB50_35:                              ;   in Loop: Header=BB50_4 Depth=1
	ds_store_b64 v3, v[6:7] offset:8
.LBB50_36:                              ;   in Loop: Header=BB50_4 Depth=1
	s_or_b32 exec_lo, exec_lo, s23
	s_mov_b32 s22, 0
	s_and_saveexec_b32 s23, s10
	s_delay_alu instid0(SALU_CYCLE_1)
	s_xor_b32 s23, exec_lo, s23
; %bb.37:                               ;   in Loop: Header=BB50_4 Depth=1
	s_and_b32 s22, s11, exec_lo
; %bb.38:                               ;   in Loop: Header=BB50_4 Depth=1
	s_or_saveexec_b32 s23, s23
	v_mov_b64_e32 v[6:7], 0
	s_set_vgpr_msb 1                        ;  msbs: dst=0 src0=1 src1=0 src2=0
	v_mov_b32_e32 v3, v25 /*v281*/
	s_xor_b32 exec_lo, exec_lo, s23
	s_set_vgpr_msb 0                        ;  msbs: dst=0 src0=0 src1=0 src2=0
	s_cbranch_execz .LBB50_40
; %bb.39:                               ;   in Loop: Header=BB50_4 Depth=1
	s_set_vgpr_msb 1                        ;  msbs: dst=0 src0=1 src1=0 src2=0
	ds_load_b128 v[4:7], v40 /*v296*/ offset:528
	v_mov_b32_e32 v3, v47 /*v303*/
	s_or_b32 s22, s22, exec_lo
	s_wait_dscnt 0x0
	v_xor_b32_e32 v7, 0x80000000, v7
	ds_store_b64 v47 /*v303*/, v[4:5]
.LBB50_40:                              ;   in Loop: Header=BB50_4 Depth=1
	s_or_b32 exec_lo, exec_lo, s23
	s_and_saveexec_b32 s23, s22
; %bb.41:                               ;   in Loop: Header=BB50_4 Depth=1
	s_set_vgpr_msb 0                        ;  msbs: dst=0 src0=0 src1=0 src2=0
	ds_store_b64 v3, v[6:7] offset:8
; %bb.42:                               ;   in Loop: Header=BB50_4 Depth=1
	s_or_b32 exec_lo, exec_lo, s23
	s_mov_b32 s22, 0
	s_and_saveexec_b32 s23, s12
	s_delay_alu instid0(SALU_CYCLE_1)
	s_xor_b32 s23, exec_lo, s23
; %bb.43:                               ;   in Loop: Header=BB50_4 Depth=1
	s_and_b32 s22, s13, exec_lo
; %bb.44:                               ;   in Loop: Header=BB50_4 Depth=1
	s_or_saveexec_b32 s23, s23
	v_mov_b64_e32 v[6:7], 0
	s_set_vgpr_msb 1                        ;  msbs: dst=0 src0=1 src1=0 src2=0
	v_mov_b32_e32 v3, v25 /*v281*/
	s_xor_b32 exec_lo, exec_lo, s23
	s_set_vgpr_msb 0                        ;  msbs: dst=0 src0=0 src1=0 src2=0
	s_cbranch_execz .LBB50_46
; %bb.45:                               ;   in Loop: Header=BB50_4 Depth=1
	s_set_vgpr_msb 1                        ;  msbs: dst=0 src0=1 src1=0 src2=0
	ds_load_b128 v[4:7], v40 /*v296*/ offset:1056
	v_mov_b32_e32 v3, v48 /*v304*/
	s_or_b32 s22, s22, exec_lo
	s_wait_dscnt 0x0
	v_xor_b32_e32 v7, 0x80000000, v7
	ds_store_b64 v48 /*v304*/, v[4:5]
.LBB50_46:                              ;   in Loop: Header=BB50_4 Depth=1
	s_or_b32 exec_lo, exec_lo, s23
	s_and_saveexec_b32 s23, s22
; %bb.47:                               ;   in Loop: Header=BB50_4 Depth=1
	s_set_vgpr_msb 0                        ;  msbs: dst=0 src0=0 src1=0 src2=0
	ds_store_b64 v3, v[6:7] offset:8
; %bb.48:                               ;   in Loop: Header=BB50_4 Depth=1
	s_or_b32 exec_lo, exec_lo, s23
	s_wait_dscnt 0x0
	s_barrier_signal -1
	s_barrier_wait -1
	s_set_vgpr_msb 1                        ;  msbs: dst=0 src0=1 src1=0 src2=0
	ds_load_b128 v[4:7], v39 /*v295*/
	ds_load_b128 v[12:15], v28 /*v284*/
	ds_load_b128 v[16:19], v28 /*v284*/ offset:16
	ds_load_b128 v[20:23], v40 /*v296*/
	s_wait_dscnt 0x2
	s_set_vgpr_msb 0                        ;  msbs: dst=0 src0=0 src1=0 src2=0
	v_mul_f64_e32 v[8:9], v[14:15], v[6:7]
	v_mul_f64_e32 v[30:31], v[12:13], v[6:7]
	s_wait_dscnt 0x0
	v_mul_f64_e32 v[32:33], v[18:19], v[22:23]
	v_mul_f64_e32 v[34:35], v[16:17], v[22:23]
	s_delay_alu instid0(VALU_DEP_4) | instskip(NEXT) | instid1(VALU_DEP_4)
	v_fma_f64 v[8:9], v[12:13], v[4:5], -v[8:9]
	v_fmac_f64_e32 v[30:31], v[14:15], v[4:5]
	s_set_vgpr_msb 1                        ;  msbs: dst=0 src0=1 src1=0 src2=0
	ds_load_b128 v[4:7], v40 /*v296*/ offset:528
	ds_load_b128 v[12:15], v28 /*v284*/ offset:32
	;; [unrolled: 1-line block ×4, first 2 shown]
	s_set_vgpr_msb 0                        ;  msbs: dst=0 src0=0 src1=0 src2=0
	v_fma_f64 v[16:17], v[16:17], v[20:21], -v[32:33]
	v_fmac_f64_e32 v[34:35], v[18:19], v[20:21]
	s_wait_dscnt 0x0
	s_barrier_signal -1
	s_barrier_wait -1
	v_mul_f64_e32 v[36:37], v[14:15], v[6:7]
	v_mul_f64_e32 v[6:7], v[12:13], v[6:7]
	;; [unrolled: 1-line block ×4, first 2 shown]
	v_add_f64_e32 v[8:9], 0, v[8:9]
	v_add_f64_e32 v[18:19], 0, v[30:31]
	v_fma_f64 v[12:13], v[12:13], v[4:5], -v[36:37]
	v_fmac_f64_e32 v[6:7], v[14:15], v[4:5]
	v_fma_f64 v[14:15], v[22:23], v[26:27], -v[20:21]
	v_fmac_f64_e32 v[28:29], v[24:25], v[26:27]
	v_add_f64_e32 v[4:5], v[8:9], v[16:17]
	v_add_f64_e32 v[8:9], v[18:19], v[34:35]
	s_delay_alu instid0(VALU_DEP_2) | instskip(NEXT) | instid1(VALU_DEP_2)
	v_add_f64_e32 v[4:5], v[4:5], v[12:13]
	v_add_f64_e32 v[6:7], v[8:9], v[6:7]
	v_mov_b64_e32 v[8:9], 0
	s_delay_alu instid0(VALU_DEP_3) | instskip(NEXT) | instid1(VALU_DEP_3)
	v_add_f64_e32 v[12:13], v[4:5], v[14:15]
	v_add_f64_e32 v[14:15], v[6:7], v[28:29]
	v_mov_b64_e32 v[6:7], 0
	s_set_vgpr_msb 1                        ;  msbs: dst=0 src0=1 src1=0 src2=0
	ds_store_b128 v29 /*v285*/, v[12:15]
	s_wait_dscnt 0x0
	s_barrier_signal -1
	s_barrier_wait -1
	s_and_saveexec_b32 s22, s14
	s_set_vgpr_msb 0                        ;  msbs: dst=0 src0=0 src1=0 src2=0
	s_cbranch_execz .LBB50_50
; %bb.49:                               ;   in Loop: Header=BB50_4 Depth=1
	s_set_vgpr_msb 1                        ;  msbs: dst=0 src0=1 src1=0 src2=0
	ds_load_b128 v[4:7], v27 /*v283*/
	ds_load_b128 v[12:15], v27 /*v283*/ offset:16
	s_wait_dscnt 0x0
	s_set_vgpr_msb 0                        ;  msbs: dst=0 src0=0 src1=0 src2=0
	v_add_f64_e32 v[8:9], v[12:13], v[4:5]
	v_add_f64_e32 v[16:17], v[14:15], v[6:7]
	s_set_vgpr_msb 1                        ;  msbs: dst=0 src0=1 src1=0 src2=0
	ds_load_b128 v[4:7], v27 /*v283*/ offset:32
	ds_load_b128 v[12:15], v27 /*v283*/ offset:48
	s_wait_dscnt 0x1
	s_set_vgpr_msb 0                        ;  msbs: dst=0 src0=0 src1=0 src2=0
	v_add_f64_e32 v[4:5], v[8:9], v[4:5]
	v_add_f64_e32 v[6:7], v[16:17], v[6:7]
	s_wait_dscnt 0x0
	s_delay_alu instid0(VALU_DEP_2) | instskip(NEXT) | instid1(VALU_DEP_2)
	v_add_f64_e32 v[8:9], v[4:5], v[12:13]
	v_add_f64_e32 v[16:17], v[6:7], v[14:15]
	s_set_vgpr_msb 1                        ;  msbs: dst=0 src0=1 src1=0 src2=0
	ds_load_b128 v[4:7], v27 /*v283*/ offset:64
	ds_load_b128 v[12:15], v27 /*v283*/ offset:80
	s_wait_dscnt 0x1
	s_set_vgpr_msb 0                        ;  msbs: dst=0 src0=0 src1=0 src2=0
	v_add_f64_e32 v[4:5], v[8:9], v[4:5]
	v_add_f64_e32 v[6:7], v[16:17], v[6:7]
	s_wait_dscnt 0x0
	s_delay_alu instid0(VALU_DEP_2) | instskip(NEXT) | instid1(VALU_DEP_2)
	;; [unrolled: 11-line block ×3, first 2 shown]
	v_add_f64_e32 v[6:7], v[4:5], v[12:13]
	v_add_f64_e32 v[8:9], v[8:9], v[14:15]
.LBB50_50:                              ;   in Loop: Header=BB50_4 Depth=1
	s_or_b32 exec_lo, exec_lo, s22
	v_lshl_add_u64 v[12:13], s[62:63], 4, v[10:11]
	s_and_b32 vcc_lo, exec_lo, s81
	s_mov_b32 s22, -1
	s_barrier_signal -1
	s_delay_alu instid0(VALU_DEP_1)
	v_add_nc_u64_e32 v[10:11], 0x200, v[12:13]
	s_barrier_wait -1
                                        ; implicit-def: $vgpr14_vgpr15
	s_cbranch_vccz .LBB50_62
; %bb.51:                               ;   in Loop: Header=BB50_4 Depth=1
	s_and_saveexec_b32 s22, s16
	s_delay_alu instid0(SALU_CYCLE_1)
	s_xor_b32 s22, exec_lo, s22
; %bb.52:                               ;   in Loop: Header=BB50_4 Depth=1
	v_dual_mov_b32 v3, v2 :: v_dual_mov_b32 v4, v2
	v_mov_b32_e32 v5, v2
	s_set_vgpr_msb 1                        ;  msbs: dst=0 src0=1 src1=0 src2=0
	ds_store_b128 v24 /*v280*/, v[2:5]
; %bb.53:                               ;   in Loop: Header=BB50_4 Depth=1
	s_or_saveexec_b32 s22, s22
	s_set_vgpr_msb 0                        ;  msbs: dst=0 src0=0 src1=0 src2=0
	v_lshl_add_u64 v[4:5], v[230:231], 4, v[12:13]
	s_delay_alu instid0(VALU_DEP_1) | instskip(NEXT) | instid1(VALU_DEP_1)
	v_lshl_add_u64 v[4:5], s[48:49], 4, v[4:5]
	v_add_nc_u64_e32 v[4:5], -16, v[4:5]
	s_delay_alu instid0(VALU_DEP_1)
	v_dual_cndmask_b32 v15, v5, v11, s15 :: v_dual_cndmask_b32 v14, v4, v10, s15
	s_xor_b32 exec_lo, exec_lo, s22
	s_cbranch_execnz .LBB50_176
; %bb.54:                               ;   in Loop: Header=BB50_4 Depth=1
	s_or_b32 exec_lo, exec_lo, s22
	s_and_saveexec_b32 s22, s17
	s_delay_alu instid0(SALU_CYCLE_1)
	s_xor_b32 s22, exec_lo, s22
	s_cbranch_execnz .LBB50_177
.LBB50_55:                              ;   in Loop: Header=BB50_4 Depth=1
	s_and_not1_saveexec_b32 s22, s22
	s_cbranch_execnz .LBB50_178
.LBB50_56:                              ;   in Loop: Header=BB50_4 Depth=1
	s_or_b32 exec_lo, exec_lo, s22
	s_and_saveexec_b32 s22, s18
	s_delay_alu instid0(SALU_CYCLE_1)
	s_xor_b32 s22, exec_lo, s22
	s_cbranch_execnz .LBB50_179
.LBB50_57:                              ;   in Loop: Header=BB50_4 Depth=1
	s_and_not1_saveexec_b32 s22, s22
	s_cbranch_execnz .LBB50_180
.LBB50_58:                              ;   in Loop: Header=BB50_4 Depth=1
	s_or_b32 exec_lo, exec_lo, s22
	s_and_saveexec_b32 s22, s19
	s_delay_alu instid0(SALU_CYCLE_1)
	s_xor_b32 s22, exec_lo, s22
	s_cbranch_execnz .LBB50_181
.LBB50_59:                              ;   in Loop: Header=BB50_4 Depth=1
	s_and_not1_saveexec_b32 s22, s22
	s_cbranch_execz .LBB50_61
.LBB50_60:                              ;   in Loop: Header=BB50_4 Depth=1
	v_lshl_add_u64 v[4:5], s[60:61], 4, v[14:15]
	flat_load_b128 v[16:19], v[4:5]
	s_wait_loadcnt_dscnt 0x0
	s_set_vgpr_msb 1                        ;  msbs: dst=0 src0=1 src1=0 src2=0
	ds_store_2addr_b64 v45 /*v301*/, v[16:17], v[18:19] offset1:1
.LBB50_61:                              ;   in Loop: Header=BB50_4 Depth=1
	s_wait_xcnt 0x0
	s_or_b32 exec_lo, exec_lo, s22
	s_set_vgpr_msb 0                        ;  msbs: dst=0 src0=0 src1=0 src2=0
	v_mov_b32_e32 v233, v2
	s_mov_b32 s22, 0
	s_delay_alu instid0(VALU_DEP_1) | instskip(NEXT) | instid1(VALU_DEP_1)
	v_add_nc_u64_e32 v[4:5], v[14:15], v[232:233]
	v_lshl_add_u64 v[4:5], s[66:67], 4, v[4:5]
	s_delay_alu instid0(VALU_DEP_1) | instskip(NEXT) | instid1(VALU_DEP_1)
	v_add_nc_u64_e32 v[4:5], 0x210, v[4:5]
	v_dual_cndmask_b32 v15, v5, v11, s15 :: v_dual_cndmask_b32 v14, v4, v10, s15
.LBB50_62:                              ;   in Loop: Header=BB50_4 Depth=1
	s_and_b32 vcc_lo, exec_lo, s22
	s_cbranch_vccz .LBB50_64
; %bb.63:                               ;   in Loop: Header=BB50_4 Depth=1
	flat_load_b128 v[14:17], v[10:11]
	v_lshl_add_u64 v[4:5], s[56:57], 4, v[12:13]
	s_wait_loadcnt_dscnt 0x0
	s_set_vgpr_msb 1                        ;  msbs: dst=0 src0=1 src1=0 src2=0
	ds_store_2addr_b64 v24 /*v280*/, v[14:15], v[16:17] offset1:1
	s_set_vgpr_msb 0                        ;  msbs: dst=0 src0=0 src1=0 src2=0
	flat_load_b128 v[12:15], v[4:5] offset:512
	s_wait_xcnt 0x0
	v_add_nc_u64_e32 v[4:5], s[68:69], v[4:5]
	s_wait_loadcnt_dscnt 0x0
	s_set_vgpr_msb 1                        ;  msbs: dst=0 src0=1 src1=0 src2=0
	ds_store_2addr_b64 v43 /*v299*/, v[12:13], v[14:15] offset1:1
	s_set_vgpr_msb 0                        ;  msbs: dst=0 src0=0 src1=0 src2=0
	flat_load_b128 v[12:15], v[4:5] offset:512
	s_wait_xcnt 0x0
	v_add_nc_u64_e32 v[4:5], s[68:69], v[4:5]
	s_wait_loadcnt_dscnt 0x0
	s_set_vgpr_msb 1                        ;  msbs: dst=0 src0=1 src1=0 src2=0
	ds_store_2addr_b64 v44 /*v300*/, v[12:13], v[14:15] offset1:1
	s_set_vgpr_msb 0                        ;  msbs: dst=0 src0=0 src1=0 src2=0
	flat_load_b128 v[16:19], v[4:5] offset:512
	v_mov_b64_e32 v[14:15], v[10:11]
	s_wait_loadcnt_dscnt 0x0
	s_set_vgpr_msb 1                        ;  msbs: dst=0 src0=1 src1=0 src2=0
	ds_store_2addr_b64 v45 /*v301*/, v[16:17], v[18:19] offset1:1
.LBB50_64:                              ;   in Loop: Header=BB50_4 Depth=1
	s_mov_b32 s22, 0
	s_wait_dscnt 0x0
	s_barrier_signal -1
	s_barrier_wait -1
	s_wait_xcnt 0x0
	s_and_saveexec_b32 s23, s6
	s_delay_alu instid0(SALU_CYCLE_1)
	s_xor_b32 s23, exec_lo, s23
; %bb.65:                               ;   in Loop: Header=BB50_4 Depth=1
	s_and_b32 s22, s7, exec_lo
; %bb.66:                               ;   in Loop: Header=BB50_4 Depth=1
	s_or_saveexec_b32 s23, s23
	s_set_vgpr_msb 1                        ;  msbs: dst=0 src0=1 src1=0 src2=0
	v_mov_b64_e32 v[12:13], 0
	v_mov_b32_e32 v3, v25 /*v281*/
	s_xor_b32 exec_lo, exec_lo, s23
	s_set_vgpr_msb 0                        ;  msbs: dst=0 src0=0 src1=0 src2=0
	s_cbranch_execz .LBB50_68
; %bb.67:                               ;   in Loop: Header=BB50_4 Depth=1
	s_set_vgpr_msb 1                        ;  msbs: dst=0 src0=1 src1=0 src2=0
	ds_load_b128 v[10:13], v39 /*v295*/
	v_mov_b32_e32 v3, v26 /*v282*/
	s_or_b32 s22, s22, exec_lo
	s_wait_dscnt 0x0
	v_xor_b32_e32 v13, 0x80000000, v13
	ds_store_b64 v26 /*v282*/, v[10:11]
.LBB50_68:                              ;   in Loop: Header=BB50_4 Depth=1
	s_or_b32 exec_lo, exec_lo, s23
	s_and_saveexec_b32 s23, s22
; %bb.69:                               ;   in Loop: Header=BB50_4 Depth=1
	s_set_vgpr_msb 0                        ;  msbs: dst=0 src0=0 src1=0 src2=0
	ds_store_b64 v3, v[12:13] offset:8
; %bb.70:                               ;   in Loop: Header=BB50_4 Depth=1
	s_or_b32 exec_lo, exec_lo, s23
	s_mov_b32 s22, 0
                                        ; implicit-def: $vgpr12_vgpr13
	s_and_saveexec_b32 s23, s8
	s_delay_alu instid0(SALU_CYCLE_1)
	s_xor_b32 s23, exec_lo, s23
	s_cbranch_execnz .LBB50_168
; %bb.71:                               ;   in Loop: Header=BB50_4 Depth=1
	s_or_saveexec_b32 s23, s23
	s_set_vgpr_msb 1                        ;  msbs: dst=0 src0=1 src1=0 src2=0
	v_mov_b32_e32 v3, v46 /*v302*/
	s_xor_b32 exec_lo, exec_lo, s23
	s_set_vgpr_msb 0                        ;  msbs: dst=0 src0=0 src1=0 src2=0
	s_cbranch_execnz .LBB50_169
.LBB50_72:                              ;   in Loop: Header=BB50_4 Depth=1
	s_or_b32 exec_lo, exec_lo, s23
	s_and_saveexec_b32 s23, s22
.LBB50_73:                              ;   in Loop: Header=BB50_4 Depth=1
	ds_store_b64 v3, v[12:13] offset:8
.LBB50_74:                              ;   in Loop: Header=BB50_4 Depth=1
	s_or_b32 exec_lo, exec_lo, s23
	s_mov_b32 s22, 0
	s_and_saveexec_b32 s23, s10
	s_delay_alu instid0(SALU_CYCLE_1)
	s_xor_b32 s23, exec_lo, s23
; %bb.75:                               ;   in Loop: Header=BB50_4 Depth=1
	s_and_b32 s22, s11, exec_lo
; %bb.76:                               ;   in Loop: Header=BB50_4 Depth=1
	s_or_saveexec_b32 s23, s23
	v_mov_b64_e32 v[12:13], 0
	s_set_vgpr_msb 1                        ;  msbs: dst=0 src0=1 src1=0 src2=0
	v_mov_b32_e32 v3, v25 /*v281*/
	s_xor_b32 exec_lo, exec_lo, s23
	s_set_vgpr_msb 0                        ;  msbs: dst=0 src0=0 src1=0 src2=0
	s_cbranch_execz .LBB50_78
; %bb.77:                               ;   in Loop: Header=BB50_4 Depth=1
	s_set_vgpr_msb 1                        ;  msbs: dst=0 src0=1 src1=0 src2=0
	ds_load_b128 v[10:13], v40 /*v296*/ offset:528
	v_mov_b32_e32 v3, v47 /*v303*/
	s_or_b32 s22, s22, exec_lo
	s_wait_dscnt 0x0
	v_xor_b32_e32 v13, 0x80000000, v13
	ds_store_b64 v47 /*v303*/, v[10:11]
.LBB50_78:                              ;   in Loop: Header=BB50_4 Depth=1
	s_or_b32 exec_lo, exec_lo, s23
	s_and_saveexec_b32 s23, s22
; %bb.79:                               ;   in Loop: Header=BB50_4 Depth=1
	s_set_vgpr_msb 0                        ;  msbs: dst=0 src0=0 src1=0 src2=0
	ds_store_b64 v3, v[12:13] offset:8
; %bb.80:                               ;   in Loop: Header=BB50_4 Depth=1
	s_or_b32 exec_lo, exec_lo, s23
	s_mov_b32 s22, 0
	s_and_saveexec_b32 s23, s12
	s_delay_alu instid0(SALU_CYCLE_1)
	s_xor_b32 s23, exec_lo, s23
; %bb.81:                               ;   in Loop: Header=BB50_4 Depth=1
	s_and_b32 s22, s13, exec_lo
; %bb.82:                               ;   in Loop: Header=BB50_4 Depth=1
	s_or_saveexec_b32 s23, s23
	v_mov_b64_e32 v[12:13], 0
	s_set_vgpr_msb 1                        ;  msbs: dst=0 src0=1 src1=0 src2=0
	v_mov_b32_e32 v3, v25 /*v281*/
	s_xor_b32 exec_lo, exec_lo, s23
	s_set_vgpr_msb 0                        ;  msbs: dst=0 src0=0 src1=0 src2=0
	s_cbranch_execz .LBB50_84
; %bb.83:                               ;   in Loop: Header=BB50_4 Depth=1
	s_set_vgpr_msb 1                        ;  msbs: dst=0 src0=1 src1=0 src2=0
	ds_load_b128 v[10:13], v40 /*v296*/ offset:1056
	v_mov_b32_e32 v3, v48 /*v304*/
	s_or_b32 s22, s22, exec_lo
	s_wait_dscnt 0x0
	v_xor_b32_e32 v13, 0x80000000, v13
	ds_store_b64 v48 /*v304*/, v[10:11]
.LBB50_84:                              ;   in Loop: Header=BB50_4 Depth=1
	s_or_b32 exec_lo, exec_lo, s23
	s_and_saveexec_b32 s23, s22
; %bb.85:                               ;   in Loop: Header=BB50_4 Depth=1
	s_set_vgpr_msb 0                        ;  msbs: dst=0 src0=0 src1=0 src2=0
	ds_store_b64 v3, v[12:13] offset:8
; %bb.86:                               ;   in Loop: Header=BB50_4 Depth=1
	s_or_b32 exec_lo, exec_lo, s23
	s_wait_dscnt 0x0
	s_barrier_signal -1
	s_barrier_wait -1
	s_set_vgpr_msb 1                        ;  msbs: dst=0 src0=1 src1=0 src2=0
	ds_load_b128 v[10:13], v39 /*v295*/
	ds_load_b128 v[16:19], v28 /*v284*/ offset:512
	ds_load_b128 v[20:23], v28 /*v284*/ offset:528
	ds_load_b128 v[24:27], v40 /*v296*/
	s_wait_dscnt 0x2
	s_set_vgpr_msb 0                        ;  msbs: dst=0 src0=0 src1=0 src2=0
	v_mul_f64_e32 v[4:5], v[18:19], v[12:13]
	v_mul_f64_e32 v[34:35], v[16:17], v[12:13]
	s_wait_dscnt 0x0
	v_mul_f64_e32 v[36:37], v[22:23], v[26:27]
	v_mul_f64_e32 v[38:39], v[20:21], v[26:27]
	s_delay_alu instid0(VALU_DEP_4) | instskip(NEXT) | instid1(VALU_DEP_4)
	v_fma_f64 v[4:5], v[16:17], v[10:11], -v[4:5]
	v_fmac_f64_e32 v[34:35], v[18:19], v[10:11]
	s_set_vgpr_msb 1                        ;  msbs: dst=0 src0=1 src1=0 src2=0
	ds_load_b128 v[10:13], v40 /*v296*/ offset:528
	ds_load_b128 v[16:19], v28 /*v284*/ offset:544
	ds_load_b128 v[26:29], v28 /*v284*/ offset:560
	ds_load_b128 v[30:33], v40 /*v296*/ offset:1056
	s_set_vgpr_msb 0                        ;  msbs: dst=0 src0=0 src1=0 src2=0
	v_fma_f64 v[20:21], v[20:21], v[24:25], -v[36:37]
	v_fmac_f64_e32 v[38:39], v[22:23], v[24:25]
	s_wait_dscnt 0x0
	s_barrier_signal -1
	s_barrier_wait -1
	v_mul_f64_e32 v[40:41], v[18:19], v[12:13]
	v_mul_f64_e32 v[12:13], v[16:17], v[12:13]
	;; [unrolled: 1-line block ×4, first 2 shown]
	v_add_f64_e32 v[4:5], 0, v[4:5]
	v_add_f64_e32 v[22:23], 0, v[34:35]
	v_fma_f64 v[16:17], v[16:17], v[10:11], -v[40:41]
	v_fmac_f64_e32 v[12:13], v[18:19], v[10:11]
	v_fma_f64 v[18:19], v[26:27], v[30:31], -v[24:25]
	v_fmac_f64_e32 v[32:33], v[28:29], v[30:31]
	v_add_f64_e32 v[4:5], v[4:5], v[20:21]
	v_add_f64_e32 v[10:11], v[22:23], v[38:39]
	s_delay_alu instid0(VALU_DEP_2) | instskip(NEXT) | instid1(VALU_DEP_2)
	v_add_f64_e32 v[4:5], v[4:5], v[16:17]
	v_add_f64_e32 v[12:13], v[10:11], v[12:13]
	s_delay_alu instid0(VALU_DEP_2) | instskip(NEXT) | instid1(VALU_DEP_2)
	v_add_f64_e32 v[10:11], v[4:5], v[18:19]
	v_add_f64_e32 v[12:13], v[12:13], v[32:33]
	s_set_vgpr_msb 1                        ;  msbs: dst=0 src0=1 src1=0 src2=0
	ds_store_b128 v29 /*v285*/, v[10:13]
	s_wait_dscnt 0x0
	s_barrier_signal -1
	s_barrier_wait -1
	s_and_saveexec_b32 s22, s20
	s_set_vgpr_msb 0                        ;  msbs: dst=0 src0=0 src1=0 src2=0
	s_cbranch_execz .LBB50_88
; %bb.87:                               ;   in Loop: Header=BB50_4 Depth=1
	s_set_vgpr_msb 1                        ;  msbs: dst=0 src0=1 src1=0 src2=0
	ds_load_b128 v[4:7], v27 /*v283*/
	ds_load_b128 v[8:11], v27 /*v283*/ offset:16
	s_wait_dscnt 0x0
	s_set_vgpr_msb 0                        ;  msbs: dst=0 src0=0 src1=0 src2=0
	v_add_f64_e32 v[12:13], v[8:9], v[4:5]
	v_add_f64_e32 v[16:17], v[10:11], v[6:7]
	s_set_vgpr_msb 1                        ;  msbs: dst=0 src0=1 src1=0 src2=0
	ds_load_b128 v[4:7], v27 /*v283*/ offset:32
	ds_load_b128 v[8:11], v27 /*v283*/ offset:48
	s_wait_dscnt 0x1
	s_set_vgpr_msb 0                        ;  msbs: dst=0 src0=0 src1=0 src2=0
	v_add_f64_e32 v[4:5], v[12:13], v[4:5]
	v_add_f64_e32 v[6:7], v[16:17], v[6:7]
	s_wait_dscnt 0x0
	s_delay_alu instid0(VALU_DEP_2) | instskip(NEXT) | instid1(VALU_DEP_2)
	v_add_f64_e32 v[12:13], v[4:5], v[8:9]
	v_add_f64_e32 v[16:17], v[6:7], v[10:11]
	s_set_vgpr_msb 1                        ;  msbs: dst=0 src0=1 src1=0 src2=0
	ds_load_b128 v[4:7], v27 /*v283*/ offset:64
	ds_load_b128 v[8:11], v27 /*v283*/ offset:80
	s_wait_dscnt 0x1
	s_set_vgpr_msb 0                        ;  msbs: dst=0 src0=0 src1=0 src2=0
	v_add_f64_e32 v[4:5], v[12:13], v[4:5]
	v_add_f64_e32 v[6:7], v[16:17], v[6:7]
	s_wait_dscnt 0x0
	s_delay_alu instid0(VALU_DEP_2) | instskip(NEXT) | instid1(VALU_DEP_2)
	;; [unrolled: 11-line block ×3, first 2 shown]
	v_add_f64_e32 v[6:7], v[4:5], v[8:9]
	v_add_f64_e32 v[8:9], v[12:13], v[10:11]
.LBB50_88:                              ;   in Loop: Header=BB50_4 Depth=1
	s_or_b32 exec_lo, exec_lo, s22
	v_add_nc_u64_e32 v[10:11], s[72:73], v[14:15]
	s_and_b32 vcc_lo, exec_lo, s81
	s_mov_b32 s22, -1
	s_barrier_signal -1
	s_barrier_wait -1
                                        ; implicit-def: $vgpr4_vgpr5
	s_cbranch_vccz .LBB50_100
; %bb.89:                               ;   in Loop: Header=BB50_4 Depth=1
	s_and_saveexec_b32 s22, s16
	s_delay_alu instid0(SALU_CYCLE_1)
	s_xor_b32 s22, exec_lo, s22
; %bb.90:                               ;   in Loop: Header=BB50_4 Depth=1
	v_dual_mov_b32 v3, v2 :: v_dual_mov_b32 v4, v2
	v_mov_b32_e32 v5, v2
	s_set_vgpr_msb 1                        ;  msbs: dst=0 src0=1 src1=0 src2=0
	ds_store_b128 v24 /*v280*/, v[2:5]
; %bb.91:                               ;   in Loop: Header=BB50_4 Depth=1
	s_or_saveexec_b32 s22, s22
	s_set_vgpr_msb 0                        ;  msbs: dst=0 src0=0 src1=0 src2=0
	v_lshl_add_u64 v[4:5], v[230:231], 4, v[14:15]
	s_delay_alu instid0(VALU_DEP_1) | instskip(NEXT) | instid1(VALU_DEP_1)
	v_lshl_add_u64 v[4:5], s[48:49], 4, v[4:5]
	v_add_nc_u64_e32 v[4:5], s[74:75], v[4:5]
	s_delay_alu instid0(VALU_DEP_1)
	v_dual_cndmask_b32 v13, v5, v11, s1 :: v_dual_cndmask_b32 v12, v4, v10, s1
	s_xor_b32 exec_lo, exec_lo, s22
	s_cbranch_execnz .LBB50_182
; %bb.92:                               ;   in Loop: Header=BB50_4 Depth=1
	s_or_b32 exec_lo, exec_lo, s22
	s_and_saveexec_b32 s22, s17
	s_delay_alu instid0(SALU_CYCLE_1)
	s_xor_b32 s22, exec_lo, s22
	s_cbranch_execnz .LBB50_183
.LBB50_93:                              ;   in Loop: Header=BB50_4 Depth=1
	s_and_not1_saveexec_b32 s22, s22
	s_cbranch_execnz .LBB50_184
.LBB50_94:                              ;   in Loop: Header=BB50_4 Depth=1
	s_or_b32 exec_lo, exec_lo, s22
	s_and_saveexec_b32 s22, s18
	s_delay_alu instid0(SALU_CYCLE_1)
	s_xor_b32 s22, exec_lo, s22
	s_cbranch_execnz .LBB50_185
.LBB50_95:                              ;   in Loop: Header=BB50_4 Depth=1
	s_and_not1_saveexec_b32 s22, s22
	s_cbranch_execnz .LBB50_186
.LBB50_96:                              ;   in Loop: Header=BB50_4 Depth=1
	s_or_b32 exec_lo, exec_lo, s22
	s_and_saveexec_b32 s22, s19
	s_delay_alu instid0(SALU_CYCLE_1)
	s_xor_b32 s22, exec_lo, s22
	s_cbranch_execnz .LBB50_187
.LBB50_97:                              ;   in Loop: Header=BB50_4 Depth=1
	s_and_not1_saveexec_b32 s22, s22
	s_cbranch_execz .LBB50_99
.LBB50_98:                              ;   in Loop: Header=BB50_4 Depth=1
	v_lshl_add_u64 v[4:5], s[60:61], 4, v[12:13]
	flat_load_b128 v[16:19], v[4:5]
	s_wait_loadcnt_dscnt 0x0
	s_set_vgpr_msb 1                        ;  msbs: dst=0 src0=1 src1=0 src2=0
	ds_store_2addr_b64 v45 /*v301*/, v[16:17], v[18:19] offset1:1
.LBB50_99:                              ;   in Loop: Header=BB50_4 Depth=1
	s_wait_xcnt 0x0
	s_or_b32 exec_lo, exec_lo, s22
	s_set_vgpr_msb 0                        ;  msbs: dst=0 src0=0 src1=0 src2=0
	v_mov_b32_e32 v233, v2
	s_mov_b32 s22, 0
	s_delay_alu instid0(VALU_DEP_1) | instskip(NEXT) | instid1(VALU_DEP_1)
	v_add_nc_u64_e32 v[4:5], v[12:13], v[232:233]
	v_lshl_add_u64 v[4:5], s[66:67], 4, v[4:5]
	s_delay_alu instid0(VALU_DEP_1) | instskip(NEXT) | instid1(VALU_DEP_1)
	v_add_nc_u64_e32 v[4:5], 16, v[4:5]
	v_dual_cndmask_b32 v5, v5, v11, s1 :: v_dual_cndmask_b32 v4, v4, v10, s1
.LBB50_100:                             ;   in Loop: Header=BB50_4 Depth=1
	s_and_b32 vcc_lo, exec_lo, s22
	s_cbranch_vccz .LBB50_102
; %bb.101:                              ;   in Loop: Header=BB50_4 Depth=1
	flat_load_b128 v[16:19], v[10:11]
	v_lshl_add_u64 v[4:5], s[56:57], 4, v[14:15]
	s_wait_loadcnt_dscnt 0x0
	s_set_vgpr_msb 1                        ;  msbs: dst=0 src0=1 src1=0 src2=0
	ds_store_2addr_b64 v24 /*v280*/, v[16:17], v[18:19] offset1:1
	s_set_vgpr_msb 0                        ;  msbs: dst=0 src0=0 src1=0 src2=0
	flat_load_b128 v[12:15], v[4:5] offset:-512
	s_wait_xcnt 0x0
	v_add_nc_u64_e32 v[4:5], s[68:69], v[4:5]
	s_wait_loadcnt_dscnt 0x0
	s_set_vgpr_msb 1                        ;  msbs: dst=0 src0=1 src1=0 src2=0
	ds_store_2addr_b64 v43 /*v299*/, v[12:13], v[14:15] offset1:1
	s_set_vgpr_msb 0                        ;  msbs: dst=0 src0=0 src1=0 src2=0
	flat_load_b128 v[12:15], v[4:5] offset:-512
	s_wait_xcnt 0x0
	v_add_nc_u64_e32 v[4:5], s[68:69], v[4:5]
	s_wait_loadcnt_dscnt 0x0
	s_set_vgpr_msb 1                        ;  msbs: dst=0 src0=1 src1=0 src2=0
	ds_store_2addr_b64 v44 /*v300*/, v[12:13], v[14:15] offset1:1
	s_set_vgpr_msb 0                        ;  msbs: dst=0 src0=0 src1=0 src2=0
	flat_load_b128 v[12:15], v[4:5] offset:-512
	s_wait_xcnt 0x0
	v_mov_b64_e32 v[4:5], v[10:11]
	s_wait_loadcnt_dscnt 0x0
	s_set_vgpr_msb 1                        ;  msbs: dst=0 src0=1 src1=0 src2=0
	ds_store_2addr_b64 v45 /*v301*/, v[12:13], v[14:15] offset1:1
.LBB50_102:                             ;   in Loop: Header=BB50_4 Depth=1
	s_set_vgpr_msb 5                        ;  msbs: dst=0 src0=1 src1=1 src2=0
	v_dual_add_nc_u32 v3, v28 /*v284*/, v31 /*v287*/ :: v_dual_add_nc_u32 v10, v26 /*v282*/, v31 /*v287*/
	s_wait_dscnt 0x0
	s_barrier_signal -1
	s_barrier_wait -1
	s_set_vgpr_msb 0                        ;  msbs: dst=0 src0=0 src1=0 src2=0
	ds_load_b128 v[14:17], v3
	ds_load_b128 v[22:25], v10
	s_set_vgpr_msb 1                        ;  msbs: dst=0 src0=1 src1=0 src2=0
	ds_load_b128 v[18:21], v39 /*v295*/
	ds_load_b128 v[10:13], v40 /*v296*/
	s_wait_dscnt 0x2
	s_set_vgpr_msb 0                        ;  msbs: dst=0 src0=0 src1=0 src2=0
	v_mul_f64_e32 v[40:41], v[24:25], v[16:17]
	v_mul_f64_e32 v[44:45], v[24:25], v[14:15]
	s_set_vgpr_msb 1                        ;  msbs: dst=0 src0=1 src1=0 src2=0
	ds_load_b128 v[24:27], v38 /*v294*/ offset:128
	ds_load_b128 v[28:31], v29 /*v285*/ offset:128
	ds_load_b128 v[32:35], v29 /*v285*/ offset:256
	ds_load_b128 v[36:39], v29 /*v285*/ offset:384
	s_wait_dscnt 0x2
	s_set_vgpr_msb 0                        ;  msbs: dst=0 src0=0 src1=0 src2=0
	v_mul_f64_e32 v[48:49], v[30:31], v[26:27]
	v_mul_f64_e32 v[30:31], v[30:31], v[24:25]
	v_fmac_f64_e32 v[40:41], v[22:23], v[14:15]
	v_fma_f64 v[22:23], v[22:23], v[16:17], -v[44:45]
	s_set_vgpr_msb 1                        ;  msbs: dst=0 src0=1 src1=0 src2=0
	ds_load_b128 v[14:17], v38 /*v294*/ offset:256
	ds_load_b128 v[44:47], v38 /*v294*/ offset:384
	s_set_vgpr_msb 0                        ;  msbs: dst=0 src0=0 src1=0 src2=0
	v_fmac_f64_e32 v[48:49], v[28:29], v[24:25]
	s_wait_dscnt 0x1
	v_mul_f64_e32 v[50:51], v[34:35], v[16:17]
	v_mul_f64_e32 v[34:35], v[34:35], v[14:15]
	v_fma_f64 v[24:25], v[28:29], v[26:27], -v[30:31]
	s_wait_dscnt 0x0
	v_mul_f64_e32 v[28:29], v[38:39], v[46:47]
	v_mul_f64_e32 v[30:31], v[38:39], v[44:45]
	v_add_f64_e32 v[26:27], 0, v[40:41]
	v_add_f64_e32 v[22:23], 0, v[22:23]
	v_fmac_f64_e32 v[50:51], v[32:33], v[14:15]
	v_fma_f64 v[14:15], v[32:33], v[16:17], -v[34:35]
	v_fmac_f64_e32 v[28:29], v[36:37], v[44:45]
	v_add_f64_e32 v[16:17], v[26:27], v[48:49]
	v_add_f64_e32 v[22:23], v[22:23], v[24:25]
	v_fma_f64 v[24:25], v[36:37], v[46:47], -v[30:31]
	s_delay_alu instid0(VALU_DEP_3) | instskip(NEXT) | instid1(VALU_DEP_3)
	v_add_f64_e32 v[16:17], v[16:17], v[50:51]
	v_add_f64_e32 v[14:15], v[22:23], v[14:15]
	s_delay_alu instid0(VALU_DEP_2) | instskip(NEXT) | instid1(VALU_DEP_2)
	v_add_f64_e32 v[44:45], v[16:17], v[28:29]
	v_add_f64_e32 v[46:47], v[14:15], v[24:25]
	s_set_vgpr_msb 1                        ;  msbs: dst=0 src0=1 src1=0 src2=0
	ds_load_b128 v[38:41], v28 /*v284*/ offset:512
	ds_load_b128 v[34:37], v28 /*v284*/ offset:528
	;; [unrolled: 1-line block ×6, first 2 shown]
	s_wait_dscnt 0x0
	s_barrier_signal -1
	s_barrier_wait -1
	ds_store_b128 v29 /*v285*/, v[44:47]
	s_wait_dscnt 0x0
	s_barrier_signal -1
	s_barrier_wait -1
	s_and_saveexec_b32 s22, s20
	s_set_vgpr_msb 0                        ;  msbs: dst=0 src0=0 src1=0 src2=0
	s_cbranch_execz .LBB50_104
; %bb.103:                              ;   in Loop: Header=BB50_4 Depth=1
	s_set_vgpr_msb 1                        ;  msbs: dst=0 src0=1 src1=0 src2=0
	ds_load_b128 v[44:47], v27 /*v283*/
	ds_load_b128 v[48:51], v27 /*v283*/ offset:16
	s_wait_dscnt 0x1
	s_set_vgpr_msb 0                        ;  msbs: dst=0 src0=0 src1=0 src2=0
	v_add_f64_e32 v[6:7], v[6:7], v[44:45]
	v_add_f64_e32 v[8:9], v[8:9], v[46:47]
	s_wait_dscnt 0x0
	s_delay_alu instid0(VALU_DEP_2) | instskip(NEXT) | instid1(VALU_DEP_2)
	v_add_f64_e32 v[48:49], v[6:7], v[48:49]
	v_add_f64_e32 v[50:51], v[8:9], v[50:51]
	s_set_vgpr_msb 1                        ;  msbs: dst=0 src0=1 src1=0 src2=0
	ds_load_b128 v[6:9], v27 /*v283*/ offset:32
	ds_load_b128 v[44:47], v27 /*v283*/ offset:48
	s_wait_dscnt 0x1
	s_set_vgpr_msb 0                        ;  msbs: dst=0 src0=0 src1=0 src2=0
	v_add_f64_e32 v[6:7], v[48:49], v[6:7]
	v_add_f64_e32 v[8:9], v[50:51], v[8:9]
	s_wait_dscnt 0x0
	s_delay_alu instid0(VALU_DEP_2) | instskip(NEXT) | instid1(VALU_DEP_2)
	v_add_f64_e32 v[48:49], v[6:7], v[44:45]
	v_add_f64_e32 v[50:51], v[8:9], v[46:47]
	s_set_vgpr_msb 1                        ;  msbs: dst=0 src0=1 src1=0 src2=0
	ds_load_b128 v[6:9], v27 /*v283*/ offset:64
	;; [unrolled: 11-line block ×3, first 2 shown]
	ds_load_b128 v[44:47], v27 /*v283*/ offset:112
	s_wait_dscnt 0x1
	s_set_vgpr_msb 0                        ;  msbs: dst=0 src0=0 src1=0 src2=0
	v_add_f64_e32 v[6:7], v[48:49], v[6:7]
	v_add_f64_e32 v[8:9], v[50:51], v[8:9]
	s_wait_dscnt 0x0
	s_delay_alu instid0(VALU_DEP_2) | instskip(NEXT) | instid1(VALU_DEP_2)
	v_add_f64_e32 v[6:7], v[6:7], v[44:45]
	v_add_f64_e32 v[8:9], v[8:9], v[46:47]
.LBB50_104:                             ;   in Loop: Header=BB50_4 Depth=1
	s_or_b32 exec_lo, exec_lo, s22
	v_mul_f64_e32 v[44:45], v[40:41], v[20:21]
	v_mul_f64_e32 v[20:21], v[38:39], v[20:21]
	;; [unrolled: 1-line block ×4, first 2 shown]
	s_barrier_signal -1
	s_barrier_wait -1
	s_delay_alu instid0(VALU_DEP_4) | instskip(NEXT) | instid1(VALU_DEP_4)
	v_fma_f64 v[38:39], v[38:39], v[18:19], -v[44:45]
	v_fmac_f64_e32 v[20:21], v[40:41], v[18:19]
	v_mul_f64_e32 v[18:19], v[28:29], v[32:33]
	v_mul_f64_e32 v[32:33], v[26:27], v[32:33]
	v_fma_f64 v[34:35], v[34:35], v[10:11], -v[46:47]
	v_fmac_f64_e32 v[12:13], v[36:37], v[10:11]
	v_mul_f64_e32 v[36:37], v[16:17], v[24:25]
	v_mul_f64_e32 v[24:25], v[14:15], v[24:25]
	v_add_f64_e32 v[10:11], 0, v[38:39]
	v_add_f64_e32 v[20:21], 0, v[20:21]
	v_fma_f64 v[18:19], v[26:27], v[30:31], -v[18:19]
	v_fmac_f64_e32 v[32:33], v[28:29], v[30:31]
	v_fma_f64 v[14:15], v[14:15], v[22:23], -v[36:37]
	v_fmac_f64_e32 v[24:25], v[16:17], v[22:23]
	v_add_f64_e32 v[10:11], v[10:11], v[34:35]
	v_add_f64_e32 v[12:13], v[20:21], v[12:13]
	s_delay_alu instid0(VALU_DEP_2) | instskip(NEXT) | instid1(VALU_DEP_2)
	v_add_f64_e32 v[10:11], v[10:11], v[18:19]
	v_add_f64_e32 v[12:13], v[12:13], v[32:33]
	s_delay_alu instid0(VALU_DEP_2) | instskip(NEXT) | instid1(VALU_DEP_2)
	v_add_f64_e32 v[10:11], v[10:11], v[14:15]
	v_add_f64_e32 v[12:13], v[12:13], v[24:25]
	s_set_vgpr_msb 1                        ;  msbs: dst=0 src0=1 src1=0 src2=0
	ds_store_b128 v29 /*v285*/, v[10:13]
	s_wait_dscnt 0x0
	s_barrier_signal -1
	s_barrier_wait -1
	s_and_saveexec_b32 s22, s14
	s_set_vgpr_msb 0                        ;  msbs: dst=0 src0=0 src1=0 src2=0
	s_cbranch_execz .LBB50_106
; %bb.105:                              ;   in Loop: Header=BB50_4 Depth=1
	s_set_vgpr_msb 1                        ;  msbs: dst=0 src0=1 src1=0 src2=0
	ds_load_b128 v[10:13], v27 /*v283*/
	ds_load_b128 v[14:17], v27 /*v283*/ offset:16
	s_wait_dscnt 0x1
	s_set_vgpr_msb 0                        ;  msbs: dst=0 src0=0 src1=0 src2=0
	v_add_f64_e32 v[6:7], v[6:7], v[10:11]
	v_add_f64_e32 v[8:9], v[8:9], v[12:13]
	s_wait_dscnt 0x0
	s_delay_alu instid0(VALU_DEP_2) | instskip(NEXT) | instid1(VALU_DEP_2)
	v_add_f64_e32 v[14:15], v[6:7], v[14:15]
	v_add_f64_e32 v[16:17], v[8:9], v[16:17]
	s_set_vgpr_msb 1                        ;  msbs: dst=0 src0=1 src1=0 src2=0
	ds_load_b128 v[6:9], v27 /*v283*/ offset:32
	ds_load_b128 v[10:13], v27 /*v283*/ offset:48
	s_wait_dscnt 0x1
	s_set_vgpr_msb 0                        ;  msbs: dst=0 src0=0 src1=0 src2=0
	v_add_f64_e32 v[6:7], v[14:15], v[6:7]
	v_add_f64_e32 v[8:9], v[16:17], v[8:9]
	s_wait_dscnt 0x0
	s_delay_alu instid0(VALU_DEP_2) | instskip(NEXT) | instid1(VALU_DEP_2)
	v_add_f64_e32 v[14:15], v[6:7], v[10:11]
	v_add_f64_e32 v[16:17], v[8:9], v[12:13]
	s_set_vgpr_msb 1                        ;  msbs: dst=0 src0=1 src1=0 src2=0
	ds_load_b128 v[6:9], v27 /*v283*/ offset:64
	;; [unrolled: 11-line block ×3, first 2 shown]
	ds_load_b128 v[10:13], v27 /*v283*/ offset:112
	s_wait_dscnt 0x1
	s_set_vgpr_msb 0                        ;  msbs: dst=0 src0=0 src1=0 src2=0
	v_add_f64_e32 v[6:7], v[14:15], v[6:7]
	v_add_f64_e32 v[8:9], v[16:17], v[8:9]
	s_wait_dscnt 0x0
	s_delay_alu instid0(VALU_DEP_2) | instskip(NEXT) | instid1(VALU_DEP_2)
	v_add_f64_e32 v[6:7], v[6:7], v[10:11]
	v_add_f64_e32 v[8:9], v[8:9], v[12:13]
.LBB50_106:                             ;   in Loop: Header=BB50_4 Depth=1
	s_or_b32 exec_lo, exec_lo, s22
	s_mul_u64 s[22:23], s[50:51], s[34:35]
	s_and_not1_b32 vcc_lo, exec_lo, s45
	s_lshl_b64 s[22:23], s[22:23], 4
	s_delay_alu instid0(SALU_CYCLE_1)
	s_add_nc_u64 s[22:23], s[52:53], s[22:23]
	s_barrier_signal -1
	s_barrier_wait -1
	s_cbranch_vccnz .LBB50_164
; %bb.107:                              ;   in Loop: Header=BB50_4 Depth=1
	v_add_nc_u64_e32 v[236:237], v[4:5], v[192:193]
	v_add_nc_u64_e32 v[238:239], v[4:5], v[194:195]
	;; [unrolled: 1-line block ×10, first 2 shown]
	s_set_vgpr_msb 64                       ;  msbs: dst=1 src0=0 src1=0 src2=0
	v_add_nc_u64_e32 v[0:1] /*v[256:257]*/, v[4:5], v[204:205]
	v_add_nc_u64_e32 v[2:3] /*v[258:259]*/, v[4:5], v[208:209]
	;; [unrolled: 1-line block ×10, first 2 shown]
	v_lshl_add_u64 v[20:21] /*v[276:277]*/, s[64:65], 4, v[42:43]
	s_set_vgpr_msb 1                        ;  msbs: dst=0 src0=1 src1=0 src2=0
	v_mov_b32_e32 v233, v65 /*v321*/
	s_mov_b32 s78, s85
	s_mov_b32 s86, s46
	s_delay_alu instid0(SALU_CYCLE_1)
	s_cmp_eq_u32 s47, s86
	s_cselect_b32 s87, s80, 0
	s_and_saveexec_b32 s88, s0
	s_set_vgpr_msb 0                        ;  msbs: dst=0 src0=0 src1=0 src2=0
	s_cbranch_execz .LBB50_112
.LBB50_108:                             ;   in Loop: Header=BB50_4 Depth=1
	s_set_vgpr_msb 4                        ;  msbs: dst=0 src0=0 src1=1 src2=0
	v_cmp_le_i32_e32 vcc_lo, s87, v22 /*v278*/
	s_cmp_lg_u32 s87, 0
	s_cselect_b32 s79, -1, 0
	s_delay_alu instid0(SALU_CYCLE_1) | instskip(NEXT) | instid1(SALU_CYCLE_1)
	s_and_b32 s79, s79, vcc_lo
	s_and_saveexec_b32 s89, s79
	s_delay_alu instid0(SALU_CYCLE_1)
	s_xor_b32 s79, exec_lo, s89
; %bb.109:                              ;   in Loop: Header=BB50_4 Depth=1
	v_dual_mov_b32 v3, v2 :: v_dual_mov_b32 v4, v2
	v_mov_b32_e32 v5, v2
	s_set_vgpr_msb 1                        ;  msbs: dst=0 src0=1 src1=0 src2=0
	ds_store_b128 v49 /*v305*/, v[2:5]
; %bb.110:                              ;   in Loop: Header=BB50_4 Depth=1
	s_and_not1_saveexec_b32 s79, s79
	s_set_vgpr_msb 0                        ;  msbs: dst=0 src0=0 src1=0 src2=0
	s_cbranch_execz .LBB50_112
; %bb.111:                              ;   in Loop: Header=BB50_4 Depth=1
	s_ashr_i32 s79, s78, 31
	s_set_vgpr_msb 16                       ;  msbs: dst=0 src0=0 src1=0 src2=1
	v_lshl_add_u64 v[4:5], s[78:79], 4, v[20:21] /*v[276:277]*/
	flat_load_b128 v[10:13], v[4:5]
	s_wait_loadcnt_dscnt 0x0
	s_set_vgpr_msb 1                        ;  msbs: dst=0 src0=1 src1=0 src2=0
	ds_store_2addr_b64 v49 /*v305*/, v[10:11], v[12:13] offset1:1
.LBB50_112:                             ;   Parent Loop BB50_4 Depth=1
                                        ; =>  This Inner Loop Header: Depth=2
	s_wait_xcnt 0x0
	s_or_b32 exec_lo, exec_lo, s88
	s_cmp_eq_u32 s87, 0
	s_set_vgpr_msb 0                        ;  msbs: dst=0 src0=0 src1=0 src2=0
	v_add_nc_u64_e32 v[4:5], v[244:245], v[196:197]
	s_cselect_b32 s79, -1, 0
	s_cmp_lg_u32 s87, 0
	s_wait_dscnt 0x0
	s_cselect_b32 s88, -1, 0
	s_barrier_signal -1
	s_and_b32 vcc_lo, exec_lo, s88
	s_barrier_wait -1
	s_cbranch_vccz .LBB50_120
; %bb.113:                              ;   in Loop: Header=BB50_112 Depth=2
	v_mov_b64_e32 v[10:11], 0
	v_mov_b64_e32 v[14:15], 0
	;; [unrolled: 1-line block ×3, first 2 shown]
	s_mov_b32 s89, exec_lo
	s_set_vgpr_msb 4                        ;  msbs: dst=0 src0=0 src1=1 src2=0
	v_cmpx_gt_i32_e64 s87, v30 /*v286*/
	s_set_vgpr_msb 0                        ;  msbs: dst=0 src0=0 src1=0 src2=0
	s_cbranch_execz .LBB50_115
; %bb.114:                              ;   in Loop: Header=BB50_112 Depth=2
	flat_load_b128 v[14:17], v[4:5]
.LBB50_115:                             ;   in Loop: Header=BB50_112 Depth=2
	s_wait_xcnt 0x0
	s_or_b32 exec_lo, exec_lo, s89
	v_mov_b64_e32 v[12:13], 0
	s_mov_b32 s89, exec_lo
	s_set_vgpr_msb 4                        ;  msbs: dst=0 src0=0 src1=1 src2=0
	v_cmpx_gt_i32_e64 s87, v50 /*v306*/
	s_set_vgpr_msb 0                        ;  msbs: dst=0 src0=0 src1=0 src2=0
	s_cbranch_execz .LBB50_117
; %bb.116:                              ;   in Loop: Header=BB50_112 Depth=2
	v_add_nc_u64_e32 v[10:11], v[240:241], v[196:197]
	flat_load_b128 v[10:13], v[10:11]
.LBB50_117:                             ;   in Loop: Header=BB50_112 Depth=2
	s_wait_xcnt 0x0
	s_or_b32 exec_lo, exec_lo, s89
	v_mov_b64_e32 v[18:19], 0
	v_mov_b64_e32 v[20:21], 0
	s_mov_b32 s89, exec_lo
	s_set_vgpr_msb 4                        ;  msbs: dst=0 src0=0 src1=1 src2=0
	v_cmpx_gt_i32_e64 s87, v51 /*v307*/
	s_set_vgpr_msb 0                        ;  msbs: dst=0 src0=0 src1=0 src2=0
	s_cbranch_execz .LBB50_119
; %bb.118:                              ;   in Loop: Header=BB50_112 Depth=2
	v_add_nc_u64_e32 v[18:19], v[248:249], v[196:197]
	flat_load_b128 v[18:21], v[18:19]
.LBB50_119:                             ;   in Loop: Header=BB50_112 Depth=2
	s_wait_xcnt 0x0
	s_or_b32 exec_lo, exec_lo, s89
	s_set_vgpr_msb 4                        ;  msbs: dst=0 src0=0 src1=1 src2=0
	v_cmp_gt_i32_e64 s89, s87, v52 /*v308*/
	s_set_vgpr_msb 0                        ;  msbs: dst=0 src0=0 src1=0 src2=0
	s_branch .LBB50_122
.LBB50_120:                             ;   in Loop: Header=BB50_112 Depth=2
	s_mov_b32 s89, 0
                                        ; implicit-def: $vgpr20_vgpr21
                                        ; implicit-def: $vgpr12_vgpr13
                                        ; implicit-def: $vgpr16_vgpr17
	s_cbranch_execz .LBB50_122
; %bb.121:                              ;   in Loop: Header=BB50_112 Depth=2
	s_wait_loadcnt_dscnt 0x0
	v_add_nc_u64_e32 v[10:11], v[240:241], v[196:197]
	v_add_nc_u64_e32 v[18:19], v[236:237], v[196:197]
	s_or_b32 s89, s89, exec_lo
	flat_load_b128 v[14:17], v[4:5]
	flat_load_b128 v[10:13], v[10:11]
	flat_load_b128 v[18:21], v[18:19] offset:-8
.LBB50_122:                             ;   in Loop: Header=BB50_112 Depth=2
	v_mov_b64_e32 v[22:23], 0
	v_mov_b64_e32 v[24:25], 0
	s_wait_xcnt 0x0
	s_and_saveexec_b32 s90, s89
	s_cbranch_execz .LBB50_124
; %bb.123:                              ;   in Loop: Header=BB50_112 Depth=2
	v_add_nc_u64_e32 v[4:5], v[252:253], v[196:197]
	flat_load_b128 v[22:25], v[4:5]
.LBB50_124:                             ;   in Loop: Header=BB50_112 Depth=2
	s_wait_xcnt 0x0
	s_or_b32 exec_lo, exec_lo, s90
	s_set_vgpr_msb 1                        ;  msbs: dst=0 src0=1 src1=0 src2=0
	ds_load_b128 v[30:33], v42 /*v298*/
	ds_load_b128 v[26:29], v32 /*v288*/
	v_cndmask_b32_e64 v3, 0, 1, s88
	s_and_not1_b32 vcc_lo, exec_lo, s88
	s_wait_loadcnt_dscnt 0x1
	s_set_vgpr_msb 0                        ;  msbs: dst=0 src0=0 src1=0 src2=0
	v_mul_f64_e32 v[42:43], v[16:17], v[32:33]
	v_mul_f64_e32 v[4:5], v[16:17], v[30:31]
	;; [unrolled: 1-line block ×8, first 2 shown]
	v_fmac_f64_e32 v[42:43], v[14:15], v[30:31]
	v_fma_f64 v[44:45], v[14:15], v[32:33], -v[4:5]
	v_fmac_f64_e32 v[46:47], v[10:11], v[30:31]
	v_fma_f64 v[48:49], v[10:11], v[32:33], -v[34:35]
	;; [unrolled: 2-line block ×4, first 2 shown]
	s_set_vgpr_msb 1                        ;  msbs: dst=0 src0=1 src1=0 src2=0
	ds_load_b128 v[38:41], v32 /*v288*/ offset:16
	ds_load_b128 v[34:37], v32 /*v288*/ offset:32
	;; [unrolled: 1-line block ×3, first 2 shown]
	v_add_nc_u64_e32 v[4:5], v[8:9] /*v[264:265]*/, v[196:197]
	ds_store_b128 v33 /*v289*/, v[42:45]
	ds_store_b128 v33 /*v289*/, v[46:49] offset:1072
	ds_store_b128 v33 /*v289*/, v[50:53] offset:2144
	;; [unrolled: 1-line block ×3, first 2 shown]
	s_wait_dscnt 0x0
	s_barrier_signal -1
	s_barrier_wait -1
	ds_load_b128 v[98:101], v34 /*v290*/
	ds_load_b128 v[94:97], v34 /*v290*/ offset:16
	ds_load_b128 v[90:93], v34 /*v290*/ offset:32
	;; [unrolled: 1-line block ×3, first 2 shown]
	s_wait_dscnt 0x0
	s_barrier_signal -1
	s_barrier_wait -1
	s_set_vgpr_msb 0                        ;  msbs: dst=0 src0=0 src1=0 src2=0
	s_cbranch_vccnz .LBB50_132
; %bb.125:                              ;   in Loop: Header=BB50_112 Depth=2
	v_mov_b64_e32 v[42:43], 0
	v_mov_b64_e32 v[46:47], 0
	;; [unrolled: 1-line block ×3, first 2 shown]
	s_mov_b32 s88, exec_lo
	s_set_vgpr_msb 4                        ;  msbs: dst=0 src0=0 src1=1 src2=0
	v_cmpx_gt_i32_e64 s87, v53 /*v309*/
	s_set_vgpr_msb 0                        ;  msbs: dst=0 src0=0 src1=0 src2=0
	s_cbranch_execz .LBB50_127
; %bb.126:                              ;   in Loop: Header=BB50_112 Depth=2
	flat_load_b128 v[46:49], v[4:5]
.LBB50_127:                             ;   in Loop: Header=BB50_112 Depth=2
	s_wait_xcnt 0x0
	s_or_b32 exec_lo, exec_lo, s88
	v_mov_b64_e32 v[44:45], 0
	s_mov_b32 s88, exec_lo
	s_set_vgpr_msb 4                        ;  msbs: dst=0 src0=0 src1=1 src2=0
	v_cmpx_gt_i32_e64 s87, v54 /*v310*/
	s_set_vgpr_msb 0                        ;  msbs: dst=0 src0=0 src1=0 src2=0
	s_cbranch_execz .LBB50_129
; %bb.128:                              ;   in Loop: Header=BB50_112 Depth=2
	s_set_vgpr_msb 1                        ;  msbs: dst=0 src0=1 src1=0 src2=0
	v_add_nc_u64_e32 v[42:43], v[4:5] /*v[260:261]*/, v[196:197]
	s_set_vgpr_msb 0                        ;  msbs: dst=0 src0=0 src1=0 src2=0
	flat_load_b128 v[42:45], v[42:43]
.LBB50_129:                             ;   in Loop: Header=BB50_112 Depth=2
	s_wait_xcnt 0x0
	s_or_b32 exec_lo, exec_lo, s88
	v_mov_b64_e32 v[50:51], 0
	v_mov_b64_e32 v[52:53], 0
	s_mov_b32 s88, exec_lo
	s_set_vgpr_msb 4                        ;  msbs: dst=0 src0=0 src1=1 src2=0
	v_cmpx_gt_i32_e64 s87, v55 /*v311*/
	s_set_vgpr_msb 0                        ;  msbs: dst=0 src0=0 src1=0 src2=0
	s_cbranch_execz .LBB50_131
; %bb.130:                              ;   in Loop: Header=BB50_112 Depth=2
	s_set_vgpr_msb 1                        ;  msbs: dst=0 src0=1 src1=0 src2=0
	v_add_nc_u64_e32 v[50:51], v[12:13] /*v[268:269]*/, v[196:197]
	s_set_vgpr_msb 0                        ;  msbs: dst=0 src0=0 src1=0 src2=0
	flat_load_b128 v[50:53], v[50:51]
.LBB50_131:                             ;   in Loop: Header=BB50_112 Depth=2
	s_wait_xcnt 0x0
	s_or_b32 exec_lo, exec_lo, s88
	s_set_vgpr_msb 4                        ;  msbs: dst=0 src0=0 src1=1 src2=0
	v_cmp_gt_i32_e64 s88, s87, v56 /*v312*/
	s_set_vgpr_msb 0                        ;  msbs: dst=0 src0=0 src1=0 src2=0
	s_branch .LBB50_134
.LBB50_132:                             ;   in Loop: Header=BB50_112 Depth=2
	s_mov_b32 s88, 0
                                        ; implicit-def: $vgpr52_vgpr53
                                        ; implicit-def: $vgpr44_vgpr45
                                        ; implicit-def: $vgpr48_vgpr49
	s_cbranch_execz .LBB50_134
; %bb.133:                              ;   in Loop: Header=BB50_112 Depth=2
	s_wait_loadcnt_dscnt 0x0
	s_set_vgpr_msb 1                        ;  msbs: dst=0 src0=1 src1=0 src2=0
	v_add_nc_u64_e32 v[42:43], v[4:5] /*v[260:261]*/, v[196:197]
	v_add_nc_u64_e32 v[50:51], v[0:1] /*v[256:257]*/, v[196:197]
	s_or_b32 s88, s88, exec_lo
	s_set_vgpr_msb 0                        ;  msbs: dst=0 src0=0 src1=0 src2=0
	flat_load_b128 v[46:49], v[4:5]
	flat_load_b128 v[42:45], v[42:43]
	flat_load_b128 v[50:53], v[50:51] offset:-8
.LBB50_134:                             ;   in Loop: Header=BB50_112 Depth=2
	v_mov_b64_e32 v[54:55], 0
	v_mov_b64_e32 v[56:57], 0
	s_wait_xcnt 0x0
	s_and_saveexec_b32 s89, s88
	s_cbranch_execz .LBB50_136
; %bb.135:                              ;   in Loop: Header=BB50_112 Depth=2
	s_set_vgpr_msb 1                        ;  msbs: dst=0 src0=1 src1=0 src2=0
	v_add_nc_u64_e32 v[4:5], v[16:17] /*v[272:273]*/, v[196:197]
	s_set_vgpr_msb 0                        ;  msbs: dst=0 src0=0 src1=0 src2=0
	flat_load_b128 v[54:57], v[4:5]
.LBB50_136:                             ;   in Loop: Header=BB50_112 Depth=2
	s_wait_xcnt 0x0
	s_or_b32 exec_lo, exec_lo, s89
	s_set_vgpr_msb 1                        ;  msbs: dst=0 src0=1 src1=0 src2=0
	ds_load_b128 v[62:65], v42 /*v298*/
	ds_load_b128 v[58:61], v32 /*v288*/ offset:256
	v_cmp_ne_u32_e32 vcc_lo, 1, v3
	s_and_b32 vcc_lo, exec_lo, vcc_lo
	s_wait_loadcnt_dscnt 0x1
	s_set_vgpr_msb 0                        ;  msbs: dst=0 src0=0 src1=0 src2=0
	v_mul_f64_e32 v[70:71], v[48:49], v[64:65]
	v_mul_f64_e32 v[4:5], v[48:49], v[62:63]
	;; [unrolled: 1-line block ×8, first 2 shown]
	v_fmac_f64_e32 v[70:71], v[46:47], v[62:63]
	v_fma_f64 v[72:73], v[46:47], v[64:65], -v[4:5]
	v_fmac_f64_e32 v[78:79], v[42:43], v[62:63]
	v_fma_f64 v[80:81], v[42:43], v[64:65], -v[66:67]
	;; [unrolled: 2-line block ×4, first 2 shown]
	s_set_vgpr_msb 1                        ;  msbs: dst=0 src0=1 src1=0 src2=0
	ds_load_b128 v[74:77], v32 /*v288*/ offset:272
	ds_load_b128 v[66:69], v32 /*v288*/ offset:288
	;; [unrolled: 1-line block ×3, first 2 shown]
	v_add_nc_u64_e32 v[4:5], v[10:11] /*v[266:267]*/, v[196:197]
	ds_store_b128 v33 /*v289*/, v[70:73]
	ds_store_b128 v33 /*v289*/, v[78:81] offset:1072
	ds_store_b128 v33 /*v289*/, v[86:89] offset:2144
	;; [unrolled: 1-line block ×3, first 2 shown]
	s_wait_dscnt 0x0
	s_barrier_signal -1
	s_barrier_wait -1
	ds_load_b128 v[150:153], v34 /*v290*/
	ds_load_b128 v[146:149], v34 /*v290*/ offset:16
	ds_load_b128 v[138:141], v34 /*v290*/ offset:32
	;; [unrolled: 1-line block ×3, first 2 shown]
	s_wait_dscnt 0x0
	s_barrier_signal -1
	s_barrier_wait -1
	s_set_vgpr_msb 0                        ;  msbs: dst=0 src0=0 src1=0 src2=0
	s_cbranch_vccnz .LBB50_144
; %bb.137:                              ;   in Loop: Header=BB50_112 Depth=2
	v_mov_b64_e32 v[70:71], 0
	v_mov_b64_e32 v[78:79], 0
	;; [unrolled: 1-line block ×3, first 2 shown]
	s_mov_b32 s88, exec_lo
	s_set_vgpr_msb 4                        ;  msbs: dst=0 src0=0 src1=1 src2=0
	v_cmpx_gt_i32_e64 s87, v57 /*v313*/
	s_set_vgpr_msb 0                        ;  msbs: dst=0 src0=0 src1=0 src2=0
	s_cbranch_execz .LBB50_139
; %bb.138:                              ;   in Loop: Header=BB50_112 Depth=2
	flat_load_b128 v[78:81], v[4:5] offset:-8
.LBB50_139:                             ;   in Loop: Header=BB50_112 Depth=2
	s_wait_xcnt 0x0
	s_or_b32 exec_lo, exec_lo, s88
	v_mov_b64_e32 v[72:73], 0
	s_mov_b32 s88, exec_lo
	s_set_vgpr_msb 4                        ;  msbs: dst=0 src0=0 src1=1 src2=0
	v_cmpx_gt_i32_e64 s87, v58 /*v314*/
	s_set_vgpr_msb 0                        ;  msbs: dst=0 src0=0 src1=0 src2=0
	s_cbranch_execz .LBB50_141
; %bb.140:                              ;   in Loop: Header=BB50_112 Depth=2
	s_set_vgpr_msb 1                        ;  msbs: dst=0 src0=1 src1=0 src2=0
	v_add_nc_u64_e32 v[70:71], v[14:15] /*v[270:271]*/, v[196:197]
	s_set_vgpr_msb 0                        ;  msbs: dst=0 src0=0 src1=0 src2=0
	flat_load_b128 v[70:73], v[70:71] offset:-8
.LBB50_141:                             ;   in Loop: Header=BB50_112 Depth=2
	s_wait_xcnt 0x0
	s_or_b32 exec_lo, exec_lo, s88
	v_mov_b64_e32 v[86:87], 0
	v_mov_b64_e32 v[88:89], 0
	s_mov_b32 s88, exec_lo
	s_set_vgpr_msb 4                        ;  msbs: dst=0 src0=0 src1=1 src2=0
	v_cmpx_gt_i32_e64 s87, v59 /*v315*/
	s_set_vgpr_msb 0                        ;  msbs: dst=0 src0=0 src1=0 src2=0
	s_cbranch_execz .LBB50_143
; %bb.142:                              ;   in Loop: Header=BB50_112 Depth=2
	s_set_vgpr_msb 1                        ;  msbs: dst=0 src0=1 src1=0 src2=0
	v_add_nc_u64_e32 v[86:87], v[6:7] /*v[262:263]*/, v[196:197]
	s_set_vgpr_msb 0                        ;  msbs: dst=0 src0=0 src1=0 src2=0
	flat_load_b128 v[86:89], v[86:87] offset:-8
.LBB50_143:                             ;   in Loop: Header=BB50_112 Depth=2
	s_wait_xcnt 0x0
	s_or_b32 exec_lo, exec_lo, s88
	s_set_vgpr_msb 4                        ;  msbs: dst=0 src0=0 src1=1 src2=0
	v_cmp_gt_i32_e64 s88, s87, v60 /*v316*/
	s_set_vgpr_msb 0                        ;  msbs: dst=0 src0=0 src1=0 src2=0
	s_branch .LBB50_146
.LBB50_144:                             ;   in Loop: Header=BB50_112 Depth=2
	s_mov_b32 s88, 0
                                        ; implicit-def: $vgpr88_vgpr89
                                        ; implicit-def: $vgpr72_vgpr73
                                        ; implicit-def: $vgpr80_vgpr81
	s_cbranch_execz .LBB50_146
; %bb.145:                              ;   in Loop: Header=BB50_112 Depth=2
	s_wait_loadcnt_dscnt 0x0
	s_set_vgpr_msb 1                        ;  msbs: dst=0 src0=1 src1=0 src2=0
	v_add_nc_u64_e32 v[70:71], v[14:15] /*v[270:271]*/, v[196:197]
	v_add_nc_u64_e32 v[86:87], v[18:19] /*v[274:275]*/, v[196:197]
	s_or_b32 s88, s88, exec_lo
	s_set_vgpr_msb 0                        ;  msbs: dst=0 src0=0 src1=0 src2=0
	flat_load_b128 v[78:81], v[4:5] offset:-8
	flat_load_b128 v[70:73], v[70:71] offset:-8
	;; [unrolled: 1-line block ×3, first 2 shown]
.LBB50_146:                             ;   in Loop: Header=BB50_112 Depth=2
	v_mov_b64_e32 v[102:103], 0
	v_mov_b64_e32 v[104:105], 0
	s_wait_xcnt 0x0
	s_and_saveexec_b32 s89, s88
	s_cbranch_execz .LBB50_148
; %bb.147:                              ;   in Loop: Header=BB50_112 Depth=2
	s_set_vgpr_msb 1                        ;  msbs: dst=0 src0=1 src1=0 src2=0
	v_add_nc_u64_e32 v[4:5], v[2:3] /*v[258:259]*/, v[196:197]
	s_set_vgpr_msb 0                        ;  msbs: dst=0 src0=0 src1=0 src2=0
	flat_load_b128 v[102:105], v[4:5] offset:-8
.LBB50_148:                             ;   in Loop: Header=BB50_112 Depth=2
	s_wait_xcnt 0x0
	s_or_b32 exec_lo, exec_lo, s89
	s_set_vgpr_msb 1                        ;  msbs: dst=0 src0=1 src1=0 src2=0
	ds_load_b128 v[110:113], v42 /*v298*/
	ds_load_b128 v[106:109], v32 /*v288*/ offset:512
	v_cmp_ne_u32_e32 vcc_lo, 1, v3
	s_and_b32 vcc_lo, exec_lo, vcc_lo
	s_wait_loadcnt_dscnt 0x1
	s_set_vgpr_msb 0                        ;  msbs: dst=0 src0=0 src1=0 src2=0
	v_mul_f64_e32 v[122:123], v[80:81], v[112:113]
	v_mul_f64_e32 v[4:5], v[80:81], v[110:111]
	v_mul_f64_e32 v[126:127], v[72:73], v[112:113]
	v_mul_f64_e32 v[114:115], v[72:73], v[110:111]
	v_mul_f64_e32 v[130:131], v[88:89], v[112:113]
	v_mul_f64_e32 v[116:117], v[88:89], v[110:111]
	v_mul_f64_e32 v[142:143], v[104:105], v[112:113]
	v_mul_f64_e32 v[118:119], v[104:105], v[110:111]
	v_fmac_f64_e32 v[122:123], v[78:79], v[110:111]
	v_fma_f64 v[124:125], v[78:79], v[112:113], -v[4:5]
	v_fmac_f64_e32 v[126:127], v[70:71], v[110:111]
	v_fma_f64 v[128:129], v[70:71], v[112:113], -v[114:115]
	;; [unrolled: 2-line block ×4, first 2 shown]
	s_set_vgpr_msb 1                        ;  msbs: dst=0 src0=1 src1=0 src2=0
	ds_load_b128 v[118:121], v32 /*v288*/ offset:528
	ds_load_b128 v[114:117], v32 /*v288*/ offset:544
	;; [unrolled: 1-line block ×3, first 2 shown]
	s_set_vgpr_msb 0                        ;  msbs: dst=0 src0=0 src1=0 src2=0
	v_add_nc_u64_e32 v[4:5], v[246:247], v[196:197]
	s_set_vgpr_msb 1                        ;  msbs: dst=0 src0=1 src1=0 src2=0
	ds_store_b128 v33 /*v289*/, v[122:125]
	ds_store_b128 v33 /*v289*/, v[126:129] offset:1072
	ds_store_b128 v33 /*v289*/, v[130:133] offset:2144
	;; [unrolled: 1-line block ×3, first 2 shown]
	s_wait_dscnt 0x0
	s_barrier_signal -1
	s_barrier_wait -1
	ds_load_b128 v[182:185], v34 /*v290*/
	ds_load_b128 v[178:181], v34 /*v290*/ offset:16
	ds_load_b128 v[174:177], v34 /*v290*/ offset:32
	;; [unrolled: 1-line block ×3, first 2 shown]
	s_wait_dscnt 0x0
	s_barrier_signal -1
	s_barrier_wait -1
	s_set_vgpr_msb 0                        ;  msbs: dst=0 src0=0 src1=0 src2=0
	s_cbranch_vccnz .LBB50_156
; %bb.149:                              ;   in Loop: Header=BB50_112 Depth=2
	v_mov_b64_e32 v[122:123], 0
	v_mov_b64_e32 v[126:127], 0
	;; [unrolled: 1-line block ×3, first 2 shown]
	s_mov_b32 s88, exec_lo
	s_set_vgpr_msb 4                        ;  msbs: dst=0 src0=0 src1=1 src2=0
	v_cmpx_gt_i32_e64 s87, v61 /*v317*/
	s_set_vgpr_msb 0                        ;  msbs: dst=0 src0=0 src1=0 src2=0
	s_cbranch_execz .LBB50_151
; %bb.150:                              ;   in Loop: Header=BB50_112 Depth=2
	flat_load_b128 v[126:129], v[4:5] offset:-8
.LBB50_151:                             ;   in Loop: Header=BB50_112 Depth=2
	s_wait_xcnt 0x0
	s_or_b32 exec_lo, exec_lo, s88
	v_mov_b64_e32 v[124:125], 0
	s_mov_b32 s88, exec_lo
	s_set_vgpr_msb 4                        ;  msbs: dst=0 src0=0 src1=1 src2=0
	v_cmpx_gt_i32_e64 s87, v62 /*v318*/
	s_set_vgpr_msb 0                        ;  msbs: dst=0 src0=0 src1=0 src2=0
	s_cbranch_execz .LBB50_153
; %bb.152:                              ;   in Loop: Header=BB50_112 Depth=2
	v_add_nc_u64_e32 v[122:123], v[250:251], v[196:197]
	flat_load_b128 v[122:125], v[122:123] offset:-8
.LBB50_153:                             ;   in Loop: Header=BB50_112 Depth=2
	s_wait_xcnt 0x0
	s_or_b32 exec_lo, exec_lo, s88
	v_mov_b64_e32 v[130:131], 0
	v_mov_b64_e32 v[132:133], 0
	s_mov_b32 s88, exec_lo
	s_set_vgpr_msb 4                        ;  msbs: dst=0 src0=0 src1=1 src2=0
	v_cmpx_gt_i32_e64 s87, v63 /*v319*/
	s_set_vgpr_msb 0                        ;  msbs: dst=0 src0=0 src1=0 src2=0
	s_cbranch_execz .LBB50_155
; %bb.154:                              ;   in Loop: Header=BB50_112 Depth=2
	v_add_nc_u64_e32 v[130:131], v[242:243], v[196:197]
	flat_load_b128 v[130:133], v[130:131] offset:-8
.LBB50_155:                             ;   in Loop: Header=BB50_112 Depth=2
	s_wait_xcnt 0x0
	s_or_b32 exec_lo, exec_lo, s88
	s_set_vgpr_msb 4                        ;  msbs: dst=0 src0=0 src1=1 src2=0
	v_cmp_gt_i32_e64 s88, s87, v64 /*v320*/
	s_set_vgpr_msb 0                        ;  msbs: dst=0 src0=0 src1=0 src2=0
	s_branch .LBB50_158
.LBB50_156:                             ;   in Loop: Header=BB50_112 Depth=2
	s_mov_b32 s88, 0
                                        ; implicit-def: $vgpr132_vgpr133
                                        ; implicit-def: $vgpr124_vgpr125
                                        ; implicit-def: $vgpr128_vgpr129
	s_cbranch_execz .LBB50_158
; %bb.157:                              ;   in Loop: Header=BB50_112 Depth=2
	s_wait_loadcnt_dscnt 0x0
	v_add_nc_u64_e32 v[122:123], v[250:251], v[196:197]
	v_add_nc_u64_e32 v[130:131], v[254:255], v[196:197]
	s_or_b32 s88, s88, exec_lo
	flat_load_b128 v[126:129], v[4:5] offset:-8
	flat_load_b128 v[122:125], v[122:123] offset:-8
	flat_load_b128 v[130:133], v[130:131]
.LBB50_158:                             ;   in Loop: Header=BB50_112 Depth=2
	v_mov_b64_e32 v[142:143], 0
	v_mov_b64_e32 v[144:145], 0
	s_wait_xcnt 0x0
	s_and_saveexec_b32 s89, s88
	s_cbranch_execz .LBB50_160
; %bb.159:                              ;   in Loop: Header=BB50_112 Depth=2
	v_add_nc_u64_e32 v[4:5], v[238:239], v[196:197]
	flat_load_b128 v[142:145], v[4:5] offset:-8
.LBB50_160:                             ;   in Loop: Header=BB50_112 Depth=2
	s_wait_xcnt 0x0
	s_or_b32 exec_lo, exec_lo, s89
	s_set_vgpr_msb 1                        ;  msbs: dst=0 src0=1 src1=0 src2=0
	ds_load_b128 v[158:161], v42 /*v298*/
	ds_load_b128 v[154:157], v32 /*v288*/ offset:768
	v_add_f64_e32 v[150:151], 0, v[150:151]
	v_add_f64_e32 v[152:153], 0, v[152:153]
	s_set_vgpr_msb 4                        ;  msbs: dst=0 src0=0 src1=1 src2=0
	v_cmp_gt_i32_e32 vcc_lo, s87, v22 /*v278*/
	s_or_b32 s79, s79, vcc_lo
	s_delay_alu instid0(SALU_CYCLE_1)
	s_and_b32 s87, s21, s79
	s_wait_loadcnt_dscnt 0x1
	s_set_vgpr_msb 64                       ;  msbs: dst=1 src0=0 src1=0 src2=0
	v_mul_f64_e32 v[66:67] /*v[322:323]*/, v[128:129], v[160:161]
	s_set_vgpr_msb 0                        ;  msbs: dst=0 src0=0 src1=0 src2=0
	v_mul_f64_e32 v[4:5], v[128:129], v[158:159]
	s_set_vgpr_msb 64                       ;  msbs: dst=1 src0=0 src1=0 src2=0
	v_mul_f64_e32 v[70:71] /*v[326:327]*/, v[124:125], v[160:161]
	s_set_vgpr_msb 0                        ;  msbs: dst=0 src0=0 src1=0 src2=0
	v_mul_f64_e32 v[162:163], v[124:125], v[158:159]
	;; [unrolled: 4-line block ×4, first 2 shown]
	v_add_f64_e32 v[146:147], v[150:151], v[146:147]
	v_add_f64_e32 v[148:149], v[152:153], v[148:149]
	s_set_vgpr_msb 64                       ;  msbs: dst=1 src0=0 src1=0 src2=0
	v_fmac_f64_e32 v[66:67] /*v[322:323]*/, v[126:127], v[158:159]
	v_fma_f64 v[68:69] /*v[324:325]*/, v[126:127], v[160:161], -v[4:5]
	v_fmac_f64_e32 v[70:71] /*v[326:327]*/, v[122:123], v[158:159]
	v_fma_f64 v[72:73] /*v[328:329]*/, v[122:123], v[160:161], -v[162:163]
	;; [unrolled: 2-line block ×4, first 2 shown]
	s_set_vgpr_msb 1                        ;  msbs: dst=0 src0=1 src1=0 src2=0
	ds_load_b128 v[166:169], v32 /*v288*/ offset:784
	ds_load_b128 v[162:165], v32 /*v288*/ offset:800
	;; [unrolled: 1-line block ×3, first 2 shown]
	v_add_f64_e32 v[4:5], 0, v[182:183]
	v_add_f64_e32 v[182:183], 0, v[184:185]
	;; [unrolled: 1-line block ×3, first 2 shown]
	s_set_vgpr_msb 5                        ;  msbs: dst=0 src0=1 src1=1 src2=0
	ds_store_b128 v33 /*v289*/, v[66:69] /*v[322:325]*/
	ds_store_b128 v33 /*v289*/, v[70:73] /*v[326:329]*/ offset:1072
	ds_store_b128 v33 /*v289*/, v[74:77] /*v[330:333]*/ offset:2144
	;; [unrolled: 1-line block ×3, first 2 shown]
	s_wait_dscnt 0x0
	s_barrier_signal -1
	s_barrier_wait -1
	s_set_vgpr_msb 0x41                     ;  msbs: dst=1 src0=1 src1=0 src2=0
	ds_load_b128 v[66:69] /*v[322:325]*/, v34 /*v290*/
	v_add_f64_e32 v[70:71] /*v[326:327]*/, 0, v[100:101]
	s_set_vgpr_msb 1                        ;  msbs: dst=0 src0=1 src1=0 src2=0
	ds_load_b128 v[98:101], v34 /*v290*/ offset:16
	s_set_vgpr_msb 0                        ;  msbs: dst=0 src0=0 src1=0 src2=0
	v_add_f64_e32 v[150:151], v[184:185], v[94:95]
	v_add_f64_e32 v[4:5], v[4:5], v[178:179]
	;; [unrolled: 1-line block ×5, first 2 shown]
	s_wait_dscnt 0x1
	s_set_vgpr_msb 0x44                     ;  msbs: dst=1 src0=0 src1=1 src2=0
	v_add_f64_e32 v[66:67] /*v[322:323]*/, 0, v[66:67] /*v[322:323]*/
	v_add_f64_e32 v[68:69] /*v[324:325]*/, 0, v[68:69] /*v[324:325]*/
	s_set_vgpr_msb 1                        ;  msbs: dst=0 src0=1 src1=0 src2=0
	v_add_f64_e32 v[152:153], v[70:71] /*v[326:327]*/, v[96:97]
	ds_load_b128 v[94:97], v34 /*v290*/ offset:32
	s_set_vgpr_msb 0                        ;  msbs: dst=0 src0=0 src1=0 src2=0
	v_add_f64_e32 v[146:147], v[150:151], v[90:91]
	v_add_f64_e32 v[4:5], v[4:5], v[174:175]
	;; [unrolled: 1-line block ×3, first 2 shown]
	s_wait_dscnt 0x1
	s_set_vgpr_msb 1                        ;  msbs: dst=0 src0=1 src1=0 src2=0
	v_add_f64_e32 v[98:99], v[66:67] /*v[322:323]*/, v[98:99]
	v_add_f64_e32 v[100:101], v[68:69] /*v[324:325]*/, v[100:101]
	s_set_vgpr_msb 0                        ;  msbs: dst=0 src0=0 src1=0 src2=0
	v_add_f64_e32 v[148:149], v[152:153], v[92:93]
	s_set_vgpr_msb 1                        ;  msbs: dst=0 src0=1 src1=0 src2=0
	ds_load_b128 v[90:93], v34 /*v290*/ offset:48
	s_set_vgpr_msb 0                        ;  msbs: dst=0 src0=0 src1=0 src2=0
	v_add_f64_e32 v[82:83], v[146:147], v[82:83]
	s_wait_dscnt 0x0
	s_barrier_signal -1
	s_barrier_wait -1
	v_add_f64_e32 v[150:151], v[98:99], v[94:95]
	v_add_f64_e32 v[152:153], v[100:101], v[96:97]
	;; [unrolled: 1-line block ×9, first 2 shown]
	s_set_vgpr_msb 1                        ;  msbs: dst=0 src0=1 src1=0 src2=0
	ds_store_b128 v41 /*v297*/, v[82:85]
	ds_store_b128 v41 /*v297*/, v[98:101] offset:256
	ds_store_b128 v41 /*v297*/, v[94:97] offset:512
	ds_store_b128 v41 /*v297*/, v[90:93] offset:768
	s_wait_dscnt 0x0
	s_barrier_signal -1
	s_barrier_wait -1
	s_and_saveexec_b32 s79, s87
	s_set_vgpr_msb 0                        ;  msbs: dst=0 src0=0 src1=0 src2=0
	s_cbranch_execz .LBB50_162
; %bb.161:                              ;   in Loop: Header=BB50_112 Depth=2
	s_set_vgpr_msb 1                        ;  msbs: dst=0 src0=1 src1=0 src2=0
	ds_load_b128 v[82:85], v35 /*v291*/
	ds_load_b128 v[90:93], v35 /*v291*/ offset:16
	s_wait_dscnt 0x0
	s_set_vgpr_msb 0                        ;  msbs: dst=0 src0=0 src1=0 src2=0
	v_add_f64_e32 v[4:5], v[90:91], v[82:83]
	v_add_f64_e32 v[94:95], v[92:93], v[84:85]
	s_set_vgpr_msb 1                        ;  msbs: dst=0 src0=1 src1=0 src2=0
	ds_load_b128 v[82:85], v35 /*v291*/ offset:32
	ds_load_b128 v[90:93], v35 /*v291*/ offset:48
	s_wait_dscnt 0x1
	s_set_vgpr_msb 0                        ;  msbs: dst=0 src0=0 src1=0 src2=0
	v_add_f64_e32 v[4:5], v[4:5], v[82:83]
	v_add_f64_e32 v[82:83], v[94:95], v[84:85]
	s_wait_dscnt 0x0
	s_delay_alu instid0(VALU_DEP_2) | instskip(NEXT) | instid1(VALU_DEP_2)
	v_add_f64_e32 v[4:5], v[4:5], v[90:91]
	v_add_f64_e32 v[94:95], v[82:83], v[92:93]
	s_set_vgpr_msb 1                        ;  msbs: dst=0 src0=1 src1=0 src2=0
	ds_load_b128 v[82:85], v35 /*v291*/ offset:64
	ds_load_b128 v[90:93], v35 /*v291*/ offset:80
	s_wait_dscnt 0x1
	s_set_vgpr_msb 0                        ;  msbs: dst=0 src0=0 src1=0 src2=0
	v_add_f64_e32 v[4:5], v[4:5], v[82:83]
	v_add_f64_e32 v[82:83], v[94:95], v[84:85]
	s_wait_dscnt 0x0
	s_delay_alu instid0(VALU_DEP_2) | instskip(NEXT) | instid1(VALU_DEP_2)
	;; [unrolled: 11-line block ×6, first 2 shown]
	v_add_f64_e32 v[4:5], v[4:5], v[90:91]
	v_add_f64_e32 v[94:95], v[82:83], v[92:93]
	s_set_vgpr_msb 1                        ;  msbs: dst=0 src0=1 src1=0 src2=0
	ds_load_b128 v[82:85], v35 /*v291*/ offset:224
	ds_load_b128 v[90:93], v36 /*v292*/
	s_wait_dscnt 0x1
	s_set_vgpr_msb 0                        ;  msbs: dst=0 src0=0 src1=0 src2=0
	v_add_f64_e32 v[4:5], v[4:5], v[82:83]
	v_add_f64_e32 v[84:85], v[94:95], v[84:85]
	s_wait_dscnt 0x0
	s_delay_alu instid0(VALU_DEP_2) | instskip(NEXT) | instid1(VALU_DEP_2)
	v_add_f64_e32 v[82:83], v[4:5], v[90:91]
	v_add_f64_e32 v[84:85], v[84:85], v[92:93]
	global_store_b128 v233, v[82:85], s[22:23] scale_offset
.LBB50_162:                             ;   in Loop: Header=BB50_112 Depth=2
	s_wait_xcnt 0x0
	s_or_b32 exec_lo, exec_lo, s79
	v_mul_f64_e32 v[4:5], v[16:17], v[28:29]
	v_mul_f64_e32 v[28:29], v[14:15], v[28:29]
	;; [unrolled: 1-line block ×4, first 2 shown]
	v_add_nc_u64_e32 v[236:237], s[70:71], v[236:237]
	v_add_nc_u64_e32 v[238:239], s[70:71], v[238:239]
	v_add_nc_u64_e32 v[240:241], s[70:71], v[240:241]
	v_add_nc_u64_e32 v[242:243], s[70:71], v[242:243]
	v_add_nc_u64_e32 v[244:245], s[70:71], v[244:245]
	v_add_nc_u64_e32 v[246:247], s[70:71], v[246:247]
	v_add_nc_u64_e32 v[248:249], s[70:71], v[248:249]
	v_add_nc_u64_e32 v[250:251], s[70:71], v[250:251]
	v_add_nc_u64_e32 v[252:253], s[70:71], v[252:253]
	v_add_nc_u64_e32 v[254:255], s[70:71], v[254:255]
	s_set_vgpr_msb 0x44                     ;  msbs: dst=1 src0=0 src1=1 src2=0
	v_add_nc_u64_e32 v[0:1] /*v[256:257]*/, s[70:71], v[0:1] /*v[256:257]*/
	v_add_nc_u64_e32 v[2:3] /*v[258:259]*/, s[70:71], v[2:3] /*v[258:259]*/
	;; [unrolled: 1-line block ×10, first 2 shown]
	s_add_co_i32 s79, s86, 1
	s_add_co_i32 s86, s86, 2
	;; [unrolled: 1-line block ×3, first 2 shown]
	s_cmp_ge_u32 s86, s44
	s_wait_storecnt 0x0
	s_barrier_signal -1
	s_barrier_wait -1
	s_set_vgpr_msb 0                        ;  msbs: dst=0 src0=0 src1=0 src2=0
	v_dual_fma_f64 v[4:5], v[14:15], v[26:27], -v[4:5] :: v_dual_add_nc_u32 v233, 64, v233
	v_fmac_f64_e32 v[28:29], v[16:17], v[26:27]
	v_mul_f64_e32 v[14:15], v[20:21], v[36:37]
	v_mul_f64_e32 v[16:17], v[18:19], v[36:37]
	v_fma_f64 v[10:11], v[10:11], v[38:39], -v[82:83]
	v_fmac_f64_e32 v[40:41], v[12:13], v[38:39]
	v_mul_f64_e32 v[12:13], v[22:23], v[32:33]
	v_add_f64_e32 v[4:5], v[6:7], v[4:5]
	v_add_f64_e32 v[6:7], v[8:9], v[28:29]
	v_mul_f64_e32 v[8:9], v[24:25], v[32:33]
	v_fma_f64 v[14:15], v[18:19], v[34:35], -v[14:15]
	v_fmac_f64_e32 v[16:17], v[20:21], v[34:35]
	v_mul_f64_e32 v[18:19], v[46:47], v[60:61]
	v_fmac_f64_e32 v[12:13], v[24:25], v[30:31]
	v_add_f64_e32 v[4:5], v[4:5], v[10:11]
	v_mul_f64_e32 v[10:11], v[48:49], v[60:61]
	v_add_f64_e32 v[6:7], v[6:7], v[40:41]
	v_fma_f64 v[8:9], v[22:23], v[30:31], -v[8:9]
	v_fmac_f64_e32 v[18:19], v[48:49], v[58:59]
	v_add_f64_e32 v[4:5], v[4:5], v[14:15]
	v_mul_f64_e32 v[14:15], v[44:45], v[76:77]
	v_add_f64_e32 v[6:7], v[6:7], v[16:17]
	v_mul_f64_e32 v[16:17], v[42:43], v[76:77]
	v_fma_f64 v[10:11], v[46:47], v[58:59], -v[10:11]
	v_add_f64_e32 v[4:5], v[4:5], v[8:9]
	v_mul_f64_e32 v[8:9], v[52:53], v[68:69]
	v_add_f64_e32 v[6:7], v[6:7], v[12:13]
	v_mul_f64_e32 v[12:13], v[50:51], v[68:69]
	v_fma_f64 v[14:15], v[42:43], v[74:75], -v[14:15]
	v_fmac_f64_e32 v[16:17], v[44:45], v[74:75]
	v_add_f64_e32 v[4:5], v[4:5], v[10:11]
	v_mul_f64_e32 v[10:11], v[56:57], v[64:65]
	v_add_f64_e32 v[6:7], v[6:7], v[18:19]
	v_mul_f64_e32 v[18:19], v[54:55], v[64:65]
	v_fma_f64 v[8:9], v[50:51], v[66:67], -v[8:9]
	v_fmac_f64_e32 v[12:13], v[52:53], v[66:67]
	;; [unrolled: 6-line block ×10, first 2 shown]
	v_add_f64_e32 v[4:5], v[4:5], v[10:11]
	v_fma_f64 v[8:9], v[142:143], v[158:159], -v[8:9]
	v_add_f64_e32 v[6:7], v[6:7], v[18:19]
	v_fmac_f64_e32 v[12:13], v[144:145], v[158:159]
	s_delay_alu instid0(VALU_DEP_4) | instskip(NEXT) | instid1(VALU_DEP_3)
	v_add_f64_e32 v[4:5], v[4:5], v[14:15]
	v_add_f64_e32 v[10:11], v[6:7], v[16:17]
	s_delay_alu instid0(VALU_DEP_2) | instskip(NEXT) | instid1(VALU_DEP_2)
	v_add_f64_e32 v[6:7], v[4:5], v[8:9]
	v_add_f64_e32 v[8:9], v[10:11], v[12:13]
	s_cbranch_scc1 .LBB50_164
; %bb.163:                              ;   in Loop: Header=BB50_112 Depth=2
	s_mov_b32 s86, s79
	s_delay_alu instid0(SALU_CYCLE_1)
	s_cmp_eq_u32 s47, s86
	s_cselect_b32 s87, s80, 0
	s_and_saveexec_b32 s88, s0
	s_cbranch_execnz .LBB50_108
	s_branch .LBB50_112
.LBB50_164:                             ;   in Loop: Header=BB50_4 Depth=1
	s_set_vgpr_msb 1                        ;  msbs: dst=0 src0=1 src1=0 src2=0
	ds_store_b128 v37 /*v293*/, v[6:9]
	s_wait_dscnt 0x0
	s_barrier_signal -1
	s_barrier_wait -1
	s_and_saveexec_b32 s78, s84
	s_set_vgpr_msb 0                        ;  msbs: dst=0 src0=0 src1=0 src2=0
	s_cbranch_execz .LBB50_2
; %bb.165:                              ;   in Loop: Header=BB50_4 Depth=1
	s_set_vgpr_msb 1                        ;  msbs: dst=0 src0=1 src1=0 src2=0
	ds_load_b128 v[4:7], v23 /*v279*/ offset:1072
	ds_load_b128 v[8:11], v23 /*v279*/
	s_wait_dscnt 0x0
	s_set_vgpr_msb 0                        ;  msbs: dst=0 src0=0 src1=0 src2=0
	v_add_f64_e32 v[12:13], v[4:5], v[8:9]
	v_add_f64_e32 v[14:15], v[6:7], v[10:11]
	s_set_vgpr_msb 1                        ;  msbs: dst=0 src0=1 src1=0 src2=0
	ds_load_b128 v[4:7], v23 /*v279*/ offset:2144
	ds_load_b128 v[8:11], v23 /*v279*/ offset:3216
	s_wait_dscnt 0x1
	s_set_vgpr_msb 0                        ;  msbs: dst=0 src0=0 src1=0 src2=0
	v_add_f64_e32 v[4:5], v[12:13], v[4:5]
	v_add_f64_e32 v[6:7], v[14:15], v[6:7]
	s_wait_dscnt 0x0
	s_delay_alu instid0(VALU_DEP_2) | instskip(NEXT) | instid1(VALU_DEP_2)
	v_add_f64_e32 v[4:5], v[4:5], v[8:9]
	v_add_f64_e32 v[6:7], v[6:7], v[10:11]
	v_lshl_add_u64 v[8:9], v[186:187], 4, s[22:23]
	global_store_b128 v[8:9], v[4:7], off
	s_branch .LBB50_2
.LBB50_166:                             ;   in Loop: Header=BB50_4 Depth=1
	s_set_vgpr_msb 1                        ;  msbs: dst=0 src0=1 src1=0 src2=0
	ds_load_b128 v[4:7], v40 /*v296*/
	s_mov_b32 s22, exec_lo
	s_wait_dscnt 0x0
	v_xor_b32_e32 v7, 0x80000000, v7
	ds_store_b64 v46 /*v302*/, v[4:5]
	s_or_saveexec_b32 s23, s23
	v_mov_b32_e32 v3, v46 /*v302*/
	s_xor_b32 exec_lo, exec_lo, s23
	s_set_vgpr_msb 0                        ;  msbs: dst=0 src0=0 src1=0 src2=0
	s_cbranch_execz .LBB50_34
.LBB50_167:                             ;   in Loop: Header=BB50_4 Depth=1
	v_mov_b64_e32 v[6:7], 0
	s_set_vgpr_msb 1                        ;  msbs: dst=0 src0=1 src1=0 src2=0
	v_mov_b32_e32 v3, v25 /*v281*/
	s_and_not1_b32 s22, s22, exec_lo
	s_and_b32 s78, s9, exec_lo
	s_delay_alu instid0(SALU_CYCLE_1)
	s_or_b32 s22, s22, s78
	s_or_b32 exec_lo, exec_lo, s23
	s_and_saveexec_b32 s23, s22
	s_set_vgpr_msb 0                        ;  msbs: dst=0 src0=0 src1=0 src2=0
	s_cbranch_execnz .LBB50_35
	s_branch .LBB50_36
.LBB50_168:                             ;   in Loop: Header=BB50_4 Depth=1
	s_set_vgpr_msb 1                        ;  msbs: dst=0 src0=1 src1=0 src2=0
	ds_load_b128 v[10:13], v40 /*v296*/
	s_mov_b32 s22, exec_lo
	s_wait_dscnt 0x0
	v_xor_b32_e32 v13, 0x80000000, v13
	ds_store_b64 v46 /*v302*/, v[10:11]
	s_or_saveexec_b32 s23, s23
	v_mov_b32_e32 v3, v46 /*v302*/
	s_xor_b32 exec_lo, exec_lo, s23
	s_set_vgpr_msb 0                        ;  msbs: dst=0 src0=0 src1=0 src2=0
	s_cbranch_execz .LBB50_72
.LBB50_169:                             ;   in Loop: Header=BB50_4 Depth=1
	v_mov_b64_e32 v[12:13], 0
	s_set_vgpr_msb 1                        ;  msbs: dst=0 src0=1 src1=0 src2=0
	v_mov_b32_e32 v3, v25 /*v281*/
	s_and_not1_b32 s22, s22, exec_lo
	s_and_b32 s78, s9, exec_lo
	s_delay_alu instid0(SALU_CYCLE_1)
	s_or_b32 s22, s22, s78
	s_or_b32 exec_lo, exec_lo, s23
	s_and_saveexec_b32 s23, s22
	s_set_vgpr_msb 0                        ;  msbs: dst=0 src0=0 src1=0 src2=0
	s_cbranch_execnz .LBB50_73
	s_branch .LBB50_74
.LBB50_170:                             ;   in Loop: Header=BB50_4 Depth=1
	flat_load_b128 v[10:13], v[8:9]
	s_wait_loadcnt_dscnt 0x0
	s_set_vgpr_msb 1                        ;  msbs: dst=0 src0=1 src1=0 src2=0
	ds_store_2addr_b64 v24 /*v280*/, v[10:11], v[12:13] offset1:1
	s_wait_xcnt 0x0
	s_or_b32 exec_lo, exec_lo, s22
	s_and_saveexec_b32 s22, s3
	s_delay_alu instid0(SALU_CYCLE_1)
	s_xor_b32 s22, exec_lo, s22
	s_set_vgpr_msb 0                        ;  msbs: dst=0 src0=0 src1=0 src2=0
	s_cbranch_execz .LBB50_17
.LBB50_171:                             ;   in Loop: Header=BB50_4 Depth=1
	v_dual_mov_b32 v3, v2 :: v_dual_mov_b32 v4, v2
	v_mov_b32_e32 v5, v2
	s_set_vgpr_msb 1                        ;  msbs: dst=0 src0=1 src1=0 src2=0
	ds_store_b128 v43 /*v299*/, v[2:5]
	s_and_not1_saveexec_b32 s22, s22
	s_set_vgpr_msb 0                        ;  msbs: dst=0 src0=0 src1=0 src2=0
	s_cbranch_execz .LBB50_18
.LBB50_172:                             ;   in Loop: Header=BB50_4 Depth=1
	v_lshl_add_u64 v[4:5], s[56:57], 4, v[8:9]
	flat_load_b128 v[10:13], v[4:5]
	s_wait_loadcnt_dscnt 0x0
	s_set_vgpr_msb 1                        ;  msbs: dst=0 src0=1 src1=0 src2=0
	ds_store_2addr_b64 v43 /*v299*/, v[10:11], v[12:13] offset1:1
	s_wait_xcnt 0x0
	s_or_b32 exec_lo, exec_lo, s22
	s_and_saveexec_b32 s22, s4
	s_delay_alu instid0(SALU_CYCLE_1)
	s_xor_b32 s22, exec_lo, s22
	s_set_vgpr_msb 0                        ;  msbs: dst=0 src0=0 src1=0 src2=0
	s_cbranch_execz .LBB50_19
.LBB50_173:                             ;   in Loop: Header=BB50_4 Depth=1
	v_dual_mov_b32 v3, v2 :: v_dual_mov_b32 v4, v2
	v_mov_b32_e32 v5, v2
	s_set_vgpr_msb 1                        ;  msbs: dst=0 src0=1 src1=0 src2=0
	ds_store_b128 v44 /*v300*/, v[2:5]
	s_and_not1_saveexec_b32 s22, s22
	s_set_vgpr_msb 0                        ;  msbs: dst=0 src0=0 src1=0 src2=0
	s_cbranch_execz .LBB50_20
.LBB50_174:                             ;   in Loop: Header=BB50_4 Depth=1
	v_lshl_add_u64 v[4:5], s[58:59], 4, v[8:9]
	flat_load_b128 v[10:13], v[4:5]
	s_wait_loadcnt_dscnt 0x0
	s_set_vgpr_msb 1                        ;  msbs: dst=0 src0=1 src1=0 src2=0
	ds_store_2addr_b64 v44 /*v300*/, v[10:11], v[12:13] offset1:1
	s_wait_xcnt 0x0
	s_or_b32 exec_lo, exec_lo, s22
	s_and_saveexec_b32 s22, s5
	s_delay_alu instid0(SALU_CYCLE_1)
	s_xor_b32 s22, exec_lo, s22
	s_set_vgpr_msb 0                        ;  msbs: dst=0 src0=0 src1=0 src2=0
	s_cbranch_execz .LBB50_21
.LBB50_175:                             ;   in Loop: Header=BB50_4 Depth=1
	v_dual_mov_b32 v3, v2 :: v_dual_mov_b32 v4, v2
	v_mov_b32_e32 v5, v2
	s_set_vgpr_msb 1                        ;  msbs: dst=0 src0=1 src1=0 src2=0
	ds_store_b128 v45 /*v301*/, v[2:5]
	s_and_not1_saveexec_b32 s22, s22
	s_set_vgpr_msb 0                        ;  msbs: dst=0 src0=0 src1=0 src2=0
	s_cbranch_execnz .LBB50_22
	s_branch .LBB50_23
.LBB50_176:                             ;   in Loop: Header=BB50_4 Depth=1
	flat_load_b128 v[16:19], v[14:15]
	s_wait_loadcnt_dscnt 0x0
	s_set_vgpr_msb 1                        ;  msbs: dst=0 src0=1 src1=0 src2=0
	ds_store_2addr_b64 v24 /*v280*/, v[16:17], v[18:19] offset1:1
	s_wait_xcnt 0x0
	s_or_b32 exec_lo, exec_lo, s22
	s_and_saveexec_b32 s22, s17
	s_delay_alu instid0(SALU_CYCLE_1)
	s_xor_b32 s22, exec_lo, s22
	s_set_vgpr_msb 0                        ;  msbs: dst=0 src0=0 src1=0 src2=0
	s_cbranch_execz .LBB50_55
.LBB50_177:                             ;   in Loop: Header=BB50_4 Depth=1
	v_dual_mov_b32 v3, v2 :: v_dual_mov_b32 v4, v2
	v_mov_b32_e32 v5, v2
	s_set_vgpr_msb 1                        ;  msbs: dst=0 src0=1 src1=0 src2=0
	ds_store_b128 v43 /*v299*/, v[2:5]
	s_and_not1_saveexec_b32 s22, s22
	s_set_vgpr_msb 0                        ;  msbs: dst=0 src0=0 src1=0 src2=0
	s_cbranch_execz .LBB50_56
.LBB50_178:                             ;   in Loop: Header=BB50_4 Depth=1
	v_lshl_add_u64 v[4:5], s[56:57], 4, v[14:15]
	flat_load_b128 v[16:19], v[4:5]
	s_wait_loadcnt_dscnt 0x0
	s_set_vgpr_msb 1                        ;  msbs: dst=0 src0=1 src1=0 src2=0
	ds_store_2addr_b64 v43 /*v299*/, v[16:17], v[18:19] offset1:1
	s_wait_xcnt 0x0
	s_or_b32 exec_lo, exec_lo, s22
	s_and_saveexec_b32 s22, s18
	s_delay_alu instid0(SALU_CYCLE_1)
	s_xor_b32 s22, exec_lo, s22
	s_set_vgpr_msb 0                        ;  msbs: dst=0 src0=0 src1=0 src2=0
	s_cbranch_execz .LBB50_57
.LBB50_179:                             ;   in Loop: Header=BB50_4 Depth=1
	v_dual_mov_b32 v3, v2 :: v_dual_mov_b32 v4, v2
	v_mov_b32_e32 v5, v2
	s_set_vgpr_msb 1                        ;  msbs: dst=0 src0=1 src1=0 src2=0
	ds_store_b128 v44 /*v300*/, v[2:5]
	s_and_not1_saveexec_b32 s22, s22
	s_set_vgpr_msb 0                        ;  msbs: dst=0 src0=0 src1=0 src2=0
	s_cbranch_execz .LBB50_58
.LBB50_180:                             ;   in Loop: Header=BB50_4 Depth=1
	v_lshl_add_u64 v[4:5], s[58:59], 4, v[14:15]
	flat_load_b128 v[16:19], v[4:5]
	s_wait_loadcnt_dscnt 0x0
	s_set_vgpr_msb 1                        ;  msbs: dst=0 src0=1 src1=0 src2=0
	ds_store_2addr_b64 v44 /*v300*/, v[16:17], v[18:19] offset1:1
	s_wait_xcnt 0x0
	s_or_b32 exec_lo, exec_lo, s22
	s_and_saveexec_b32 s22, s19
	s_delay_alu instid0(SALU_CYCLE_1)
	s_xor_b32 s22, exec_lo, s22
	s_set_vgpr_msb 0                        ;  msbs: dst=0 src0=0 src1=0 src2=0
	s_cbranch_execz .LBB50_59
.LBB50_181:                             ;   in Loop: Header=BB50_4 Depth=1
	v_dual_mov_b32 v3, v2 :: v_dual_mov_b32 v4, v2
	v_mov_b32_e32 v5, v2
	s_set_vgpr_msb 1                        ;  msbs: dst=0 src0=1 src1=0 src2=0
	ds_store_b128 v45 /*v301*/, v[2:5]
	s_and_not1_saveexec_b32 s22, s22
	s_set_vgpr_msb 0                        ;  msbs: dst=0 src0=0 src1=0 src2=0
	s_cbranch_execnz .LBB50_60
	s_branch .LBB50_61
.LBB50_182:                             ;   in Loop: Header=BB50_4 Depth=1
	flat_load_b128 v[16:19], v[12:13]
	s_wait_loadcnt_dscnt 0x0
	s_set_vgpr_msb 1                        ;  msbs: dst=0 src0=1 src1=0 src2=0
	ds_store_2addr_b64 v24 /*v280*/, v[16:17], v[18:19] offset1:1
	s_wait_xcnt 0x0
	s_or_b32 exec_lo, exec_lo, s22
	s_and_saveexec_b32 s22, s17
	s_delay_alu instid0(SALU_CYCLE_1)
	s_xor_b32 s22, exec_lo, s22
	s_set_vgpr_msb 0                        ;  msbs: dst=0 src0=0 src1=0 src2=0
	s_cbranch_execz .LBB50_93
.LBB50_183:                             ;   in Loop: Header=BB50_4 Depth=1
	v_dual_mov_b32 v3, v2 :: v_dual_mov_b32 v4, v2
	v_mov_b32_e32 v5, v2
	s_set_vgpr_msb 1                        ;  msbs: dst=0 src0=1 src1=0 src2=0
	ds_store_b128 v43 /*v299*/, v[2:5]
	s_and_not1_saveexec_b32 s22, s22
	s_set_vgpr_msb 0                        ;  msbs: dst=0 src0=0 src1=0 src2=0
	s_cbranch_execz .LBB50_94
.LBB50_184:                             ;   in Loop: Header=BB50_4 Depth=1
	v_lshl_add_u64 v[4:5], s[56:57], 4, v[12:13]
	flat_load_b128 v[16:19], v[4:5]
	s_wait_loadcnt_dscnt 0x0
	s_set_vgpr_msb 1                        ;  msbs: dst=0 src0=1 src1=0 src2=0
	ds_store_2addr_b64 v43 /*v299*/, v[16:17], v[18:19] offset1:1
	s_wait_xcnt 0x0
	s_or_b32 exec_lo, exec_lo, s22
	s_and_saveexec_b32 s22, s18
	s_delay_alu instid0(SALU_CYCLE_1)
	s_xor_b32 s22, exec_lo, s22
	s_set_vgpr_msb 0                        ;  msbs: dst=0 src0=0 src1=0 src2=0
	s_cbranch_execz .LBB50_95
.LBB50_185:                             ;   in Loop: Header=BB50_4 Depth=1
	v_dual_mov_b32 v3, v2 :: v_dual_mov_b32 v4, v2
	v_mov_b32_e32 v5, v2
	s_set_vgpr_msb 1                        ;  msbs: dst=0 src0=1 src1=0 src2=0
	ds_store_b128 v44 /*v300*/, v[2:5]
	s_and_not1_saveexec_b32 s22, s22
	s_set_vgpr_msb 0                        ;  msbs: dst=0 src0=0 src1=0 src2=0
	s_cbranch_execz .LBB50_96
.LBB50_186:                             ;   in Loop: Header=BB50_4 Depth=1
	v_lshl_add_u64 v[4:5], s[58:59], 4, v[12:13]
	flat_load_b128 v[16:19], v[4:5]
	s_wait_loadcnt_dscnt 0x0
	s_set_vgpr_msb 1                        ;  msbs: dst=0 src0=1 src1=0 src2=0
	ds_store_2addr_b64 v44 /*v300*/, v[16:17], v[18:19] offset1:1
	s_wait_xcnt 0x0
	s_or_b32 exec_lo, exec_lo, s22
	s_and_saveexec_b32 s22, s19
	s_delay_alu instid0(SALU_CYCLE_1)
	s_xor_b32 s22, exec_lo, s22
	s_set_vgpr_msb 0                        ;  msbs: dst=0 src0=0 src1=0 src2=0
	s_cbranch_execz .LBB50_97
.LBB50_187:                             ;   in Loop: Header=BB50_4 Depth=1
	v_dual_mov_b32 v3, v2 :: v_dual_mov_b32 v4, v2
	v_mov_b32_e32 v5, v2
	s_set_vgpr_msb 1                        ;  msbs: dst=0 src0=1 src1=0 src2=0
	ds_store_b128 v45 /*v301*/, v[2:5]
	s_and_not1_saveexec_b32 s22, s22
	s_set_vgpr_msb 0                        ;  msbs: dst=0 src0=0 src1=0 src2=0
	s_cbranch_execnz .LBB50_98
	s_branch .LBB50_99
.LBB50_188:
	s_sendmsg sendmsg(MSG_DEALLOC_VGPRS)
	s_endpgm
	.section	.rodata,"a",@progbits
	.p2align	6, 0x0
	.amdhsa_kernel _ZL26rocblas_hemvn_kernel_upperILb1ELi64ELi4ELi33ELi32ELi16EiPK19rocblas_complex_numIdEPKS3_PS1_EviT6_lT7_lT5_lS8_lS9_lS7_lT8_i
		.amdhsa_group_segment_fixed_size 19200
		.amdhsa_private_segment_fixed_size 0
		.amdhsa_kernarg_size 376
		.amdhsa_user_sgpr_count 2
		.amdhsa_user_sgpr_dispatch_ptr 0
		.amdhsa_user_sgpr_queue_ptr 0
		.amdhsa_user_sgpr_kernarg_segment_ptr 1
		.amdhsa_user_sgpr_dispatch_id 0
		.amdhsa_user_sgpr_kernarg_preload_length 0
		.amdhsa_user_sgpr_kernarg_preload_offset 0
		.amdhsa_user_sgpr_private_segment_size 0
		.amdhsa_wavefront_size32 1
		.amdhsa_uses_dynamic_stack 0
		.amdhsa_enable_private_segment 0
		.amdhsa_system_sgpr_workgroup_id_x 1
		.amdhsa_system_sgpr_workgroup_id_y 0
		.amdhsa_system_sgpr_workgroup_id_z 1
		.amdhsa_system_sgpr_workgroup_info 0
		.amdhsa_system_vgpr_workitem_id 1
		.amdhsa_next_free_vgpr 338
		.amdhsa_next_free_sgpr 100
		.amdhsa_named_barrier_count 0
		.amdhsa_reserve_vcc 1
		.amdhsa_float_round_mode_32 0
		.amdhsa_float_round_mode_16_64 0
		.amdhsa_float_denorm_mode_32 3
		.amdhsa_float_denorm_mode_16_64 3
		.amdhsa_fp16_overflow 0
		.amdhsa_memory_ordered 1
		.amdhsa_forward_progress 1
		.amdhsa_inst_pref_size 88
		.amdhsa_round_robin_scheduling 0
		.amdhsa_exception_fp_ieee_invalid_op 0
		.amdhsa_exception_fp_denorm_src 0
		.amdhsa_exception_fp_ieee_div_zero 0
		.amdhsa_exception_fp_ieee_overflow 0
		.amdhsa_exception_fp_ieee_underflow 0
		.amdhsa_exception_fp_ieee_inexact 0
		.amdhsa_exception_int_div_zero 0
	.end_amdhsa_kernel
	.section	.text._ZL26rocblas_hemvn_kernel_upperILb1ELi64ELi4ELi33ELi32ELi16EiPK19rocblas_complex_numIdEPKS3_PS1_EviT6_lT7_lT5_lS8_lS9_lS7_lT8_i,"axG",@progbits,_ZL26rocblas_hemvn_kernel_upperILb1ELi64ELi4ELi33ELi32ELi16EiPK19rocblas_complex_numIdEPKS3_PS1_EviT6_lT7_lT5_lS8_lS9_lS7_lT8_i,comdat
.Lfunc_end50:
	.size	_ZL26rocblas_hemvn_kernel_upperILb1ELi64ELi4ELi33ELi32ELi16EiPK19rocblas_complex_numIdEPKS3_PS1_EviT6_lT7_lT5_lS8_lS9_lS7_lT8_i, .Lfunc_end50-_ZL26rocblas_hemvn_kernel_upperILb1ELi64ELi4ELi33ELi32ELi16EiPK19rocblas_complex_numIdEPKS3_PS1_EviT6_lT7_lT5_lS8_lS9_lS7_lT8_i
                                        ; -- End function
	.set _ZL26rocblas_hemvn_kernel_upperILb1ELi64ELi4ELi33ELi32ELi16EiPK19rocblas_complex_numIdEPKS3_PS1_EviT6_lT7_lT5_lS8_lS9_lS7_lT8_i.num_vgpr, 338
	.set _ZL26rocblas_hemvn_kernel_upperILb1ELi64ELi4ELi33ELi32ELi16EiPK19rocblas_complex_numIdEPKS3_PS1_EviT6_lT7_lT5_lS8_lS9_lS7_lT8_i.num_agpr, 0
	.set _ZL26rocblas_hemvn_kernel_upperILb1ELi64ELi4ELi33ELi32ELi16EiPK19rocblas_complex_numIdEPKS3_PS1_EviT6_lT7_lT5_lS8_lS9_lS7_lT8_i.numbered_sgpr, 100
	.set _ZL26rocblas_hemvn_kernel_upperILb1ELi64ELi4ELi33ELi32ELi16EiPK19rocblas_complex_numIdEPKS3_PS1_EviT6_lT7_lT5_lS8_lS9_lS7_lT8_i.num_named_barrier, 0
	.set _ZL26rocblas_hemvn_kernel_upperILb1ELi64ELi4ELi33ELi32ELi16EiPK19rocblas_complex_numIdEPKS3_PS1_EviT6_lT7_lT5_lS8_lS9_lS7_lT8_i.private_seg_size, 0
	.set _ZL26rocblas_hemvn_kernel_upperILb1ELi64ELi4ELi33ELi32ELi16EiPK19rocblas_complex_numIdEPKS3_PS1_EviT6_lT7_lT5_lS8_lS9_lS7_lT8_i.uses_vcc, 1
	.set _ZL26rocblas_hemvn_kernel_upperILb1ELi64ELi4ELi33ELi32ELi16EiPK19rocblas_complex_numIdEPKS3_PS1_EviT6_lT7_lT5_lS8_lS9_lS7_lT8_i.uses_flat_scratch, 0
	.set _ZL26rocblas_hemvn_kernel_upperILb1ELi64ELi4ELi33ELi32ELi16EiPK19rocblas_complex_numIdEPKS3_PS1_EviT6_lT7_lT5_lS8_lS9_lS7_lT8_i.has_dyn_sized_stack, 0
	.set _ZL26rocblas_hemvn_kernel_upperILb1ELi64ELi4ELi33ELi32ELi16EiPK19rocblas_complex_numIdEPKS3_PS1_EviT6_lT7_lT5_lS8_lS9_lS7_lT8_i.has_recursion, 0
	.set _ZL26rocblas_hemvn_kernel_upperILb1ELi64ELi4ELi33ELi32ELi16EiPK19rocblas_complex_numIdEPKS3_PS1_EviT6_lT7_lT5_lS8_lS9_lS7_lT8_i.has_indirect_call, 0
	.section	.AMDGPU.csdata,"",@progbits
; Kernel info:
; codeLenInByte = 11164
; TotalNumSgprs: 102
; NumVgprs: 338
; ScratchSize: 0
; MemoryBound: 1
; FloatMode: 240
; IeeeMode: 1
; LDSByteSize: 19200 bytes/workgroup (compile time only)
; SGPRBlocks: 0
; VGPRBlocks: 21
; NumSGPRsForWavesPerEU: 102
; NumVGPRsForWavesPerEU: 338
; NamedBarCnt: 0
; Occupancy: 2
; WaveLimiterHint : 0
; COMPUTE_PGM_RSRC2:SCRATCH_EN: 0
; COMPUTE_PGM_RSRC2:USER_SGPR: 2
; COMPUTE_PGM_RSRC2:TRAP_HANDLER: 0
; COMPUTE_PGM_RSRC2:TGID_X_EN: 1
; COMPUTE_PGM_RSRC2:TGID_Y_EN: 0
; COMPUTE_PGM_RSRC2:TGID_Z_EN: 1
; COMPUTE_PGM_RSRC2:TIDIG_COMP_CNT: 1
	.section	.text._ZL36rocblas_hemvn_kernel_upper_block_sumILi64EiPK19rocblas_complex_numIdEPKPS1_S1_EviT1_lS7_lT2_lT0_lPT3_i,"axG",@progbits,_ZL36rocblas_hemvn_kernel_upper_block_sumILi64EiPK19rocblas_complex_numIdEPKPS1_S1_EviT1_lS7_lT2_lT0_lPT3_i,comdat
	.globl	_ZL36rocblas_hemvn_kernel_upper_block_sumILi64EiPK19rocblas_complex_numIdEPKPS1_S1_EviT1_lS7_lT2_lT0_lPT3_i ; -- Begin function _ZL36rocblas_hemvn_kernel_upper_block_sumILi64EiPK19rocblas_complex_numIdEPKPS1_S1_EviT1_lS7_lT2_lT0_lPT3_i
	.p2align	8
	.type	_ZL36rocblas_hemvn_kernel_upper_block_sumILi64EiPK19rocblas_complex_numIdEPKPS1_S1_EviT1_lS7_lT2_lT0_lPT3_i,@function
_ZL36rocblas_hemvn_kernel_upper_block_sumILi64EiPK19rocblas_complex_numIdEPKPS1_S1_EviT1_lS7_lT2_lT0_lPT3_i: ; @_ZL36rocblas_hemvn_kernel_upper_block_sumILi64EiPK19rocblas_complex_numIdEPKPS1_S1_EviT1_lS7_lT2_lT0_lPT3_i
; %bb.0:
	s_load_b32 s22, s[0:1], 0x50
	s_bfe_u32 s2, ttmp6, 0x40014
	s_lshr_b32 s3, ttmp7, 16
	s_add_co_i32 s2, s2, 1
	s_bfe_u32 s5, ttmp6, 0x40008
	s_mul_i32 s2, s3, s2
	s_getreg_b32 s4, hwreg(HW_REG_IB_STS2, 6, 4)
	s_add_co_i32 s5, s5, s2
	s_cmp_eq_u32 s4, 0
	s_cselect_b32 s2, s3, s5
	s_mov_b32 s3, 0
	s_wait_kmcnt 0x0
	s_cmp_ge_u32 s2, s22
	s_cbranch_scc1 .LBB51_26
; %bb.1:
	s_clause 0x1
	s_load_b32 s16, s[0:1], 0x38
	s_load_b32 s18, s[0:1], 0x0
	s_bfe_u32 s5, ttmp6, 0x4000c
	s_load_b64 s[20:21], s[0:1], 0x48
	s_add_co_i32 s5, s5, 1
	s_and_b32 s6, ttmp6, 15
	s_mul_i32 s5, ttmp9, s5
	v_mov_b32_e32 v18, 0
	s_add_co_i32 s6, s6, s5
	s_cmp_eq_u32 s4, 0
	s_cselect_b32 s24, ttmp9, s6
	s_clause 0x1
	s_load_b128 s[12:15], s[0:1], 0x28
	s_load_b256 s[4:11], s[0:1], 0x8
	v_lshl_or_b32 v0, s24, 6, v0
	s_delay_alu instid0(VALU_DEP_1)
	v_ashrrev_i32_e32 v1, 31, v0
	s_wait_kmcnt 0x0
	v_mul_lo_u32 v12, s16, v0
	s_add_nc_u64 s[16:17], s[0:1], 0x58
	v_cmp_gt_i32_e64 s0, s18, v0
	v_lshl_add_u64 v[2:3], v[0:1], 4, s[20:21]
	s_ashr_i32 s19, s18, 31
	s_cmp_gt_i32 s24, -1
	s_cselect_b32 s23, -1, 0
	s_delay_alu instid0(VALU_DEP_1)
	v_add_nc_u64_e32 v[14:15], 8, v[2:3]
	s_add_co_i32 s24, s24, 1
	s_lshl_b64 s[18:19], s[18:19], 4
	v_ashrrev_i32_e32 v13, 31, v12
	s_lshl_b64 s[14:15], s[14:15], 4
	s_branch .LBB51_4
.LBB51_2:                               ;   in Loop: Header=BB51_4 Depth=1
	s_wait_xcnt 0x0
	s_or_b32 exec_lo, exec_lo, s1
.LBB51_3:                               ;   in Loop: Header=BB51_4 Depth=1
	s_add_co_i32 s2, s2, 0x10000
	s_delay_alu instid0(SALU_CYCLE_1)
	s_cmp_lt_u32 s2, s22
	s_cbranch_scc0 .LBB51_26
.LBB51_4:                               ; =>This Loop Header: Depth=1
                                        ;     Child Loop BB51_17 Depth 2
	s_mul_u64 s[20:21], s[6:7], s[2:3]
	s_delay_alu instid0(SALU_CYCLE_1) | instskip(NEXT) | instid1(SALU_CYCLE_1)
	s_lshl_b64 s[20:21], s[20:21], 4
	s_add_nc_u64 s[20:21], s[4:5], s[20:21]
	global_load_b128 v[4:7], v18, s[20:21]
	s_wait_xcnt 0x0
	s_mul_u64 s[20:21], s[10:11], s[2:3]
	s_delay_alu instid0(SALU_CYCLE_1) | instskip(NEXT) | instid1(SALU_CYCLE_1)
	s_lshl_b64 s[20:21], s[20:21], 4
	s_add_nc_u64 s[20:21], s[8:9], s[20:21]
	s_wait_loadcnt 0x1
	global_load_b128 v[0:3], v18, s[20:21]
	s_wait_loadcnt 0x1
	v_cmp_neq_f64_e32 vcc_lo, 0, v[4:5]
	v_cmp_neq_f64_e64 s1, 0, v[6:7]
	s_wait_xcnt 0x0
	s_or_b32 s20, vcc_lo, s1
	s_mov_b32 s1, -1
	s_and_b32 vcc_lo, exec_lo, s20
	s_cbranch_vccz .LBB51_6
; %bb.5:                                ;   in Loop: Header=BB51_4 Depth=1
	s_and_not1_b32 vcc_lo, exec_lo, s1
	s_cbranch_vccnz .LBB51_3
	s_branch .LBB51_7
.LBB51_6:                               ;   in Loop: Header=BB51_4 Depth=1
	s_wait_loadcnt 0x0
	v_cmp_neq_f64_e32 vcc_lo, 1.0, v[0:1]
	v_cmp_neq_f64_e64 s1, 0, v[2:3]
	s_or_b32 s1, vcc_lo, s1
	s_delay_alu instid0(SALU_CYCLE_1)
	s_and_not1_b32 vcc_lo, exec_lo, s1
	s_cbranch_vccnz .LBB51_3
.LBB51_7:                               ;   in Loop: Header=BB51_4 Depth=1
	s_lshl_b64 s[26:27], s[2:3], 3
	s_xor_b32 s1, s20, -1
	s_add_nc_u64 s[26:27], s[12:13], s[26:27]
	s_and_not1_b32 vcc_lo, exec_lo, s1
	s_load_b64 s[26:27], s[26:27], 0x0
	s_wait_kmcnt 0x0
	s_add_nc_u64 s[20:21], s[26:27], s[14:15]
	s_cbranch_vccnz .LBB51_12
; %bb.8:                                ;   in Loop: Header=BB51_4 Depth=1
	s_wait_xcnt 0x0
	s_mov_b32 s26, 0
	s_mov_b32 s25, 0
                                        ; implicit-def: $vgpr10_vgpr11
	s_and_saveexec_b32 s27, s0
	s_cbranch_execz .LBB51_13
; %bb.9:                                ;   in Loop: Header=BB51_4 Depth=1
	s_wait_loadcnt 0x0
	v_cmp_neq_f64_e32 vcc_lo, 0, v[0:1]
	v_cmp_neq_f64_e64 s1, 0, v[2:3]
	v_mov_b64_e32 v[10:11], 0
	v_mov_b64_e32 v[8:9], 0
	s_or_b32 s1, vcc_lo, s1
	s_delay_alu instid0(SALU_CYCLE_1)
	s_and_not1_b32 vcc_lo, exec_lo, s1
	s_cbranch_vccnz .LBB51_11
; %bb.10:                               ;   in Loop: Header=BB51_4 Depth=1
	v_lshl_add_u64 v[8:9], v[12:13], 4, s[20:21]
	flat_load_b128 v[20:23], v[8:9]
	s_wait_loadcnt_dscnt 0x0
	s_wait_xcnt 0x0
	v_mul_f64_e32 v[8:9], v[2:3], v[22:23]
	v_mul_f64_e32 v[10:11], v[0:1], v[22:23]
	s_delay_alu instid0(VALU_DEP_2) | instskip(NEXT) | instid1(VALU_DEP_2)
	v_fma_f64 v[8:9], v[0:1], v[20:21], -v[8:9]
	v_fmac_f64_e32 v[10:11], v[2:3], v[20:21]
.LBB51_11:                              ;   in Loop: Header=BB51_4 Depth=1
	s_mov_b32 s25, exec_lo
	s_or_b32 exec_lo, exec_lo, s27
	s_delay_alu instid0(SALU_CYCLE_1)
	s_and_b32 vcc_lo, exec_lo, s26
	s_cbranch_vccnz .LBB51_14
	s_branch .LBB51_24
.LBB51_12:                              ;   in Loop: Header=BB51_4 Depth=1
	s_wait_xcnt 0x0
	s_mov_b32 s25, 0
                                        ; implicit-def: $vgpr10_vgpr11
	s_cbranch_execnz .LBB51_14
	s_branch .LBB51_24
.LBB51_13:                              ;   in Loop: Header=BB51_4 Depth=1
	s_or_b32 exec_lo, exec_lo, s27
	s_delay_alu instid0(SALU_CYCLE_1)
	s_and_b32 vcc_lo, exec_lo, s26
	s_cbranch_vccz .LBB51_24
.LBB51_14:                              ;   in Loop: Header=BB51_4 Depth=1
                                        ; implicit-def: $vgpr10_vgpr11
	s_and_saveexec_b32 s26, s0
	s_cbranch_execz .LBB51_23
; %bb.15:                               ;   in Loop: Header=BB51_4 Depth=1
	v_mov_b64_e32 v[8:9], 0
	v_mov_b64_e32 v[16:17], 0
	s_and_not1_b32 vcc_lo, exec_lo, s23
	s_cbranch_vccnz .LBB51_18
; %bb.16:                               ;   in Loop: Header=BB51_4 Depth=1
	s_load_b32 s28, s[16:17], 0x0
	s_mov_b32 s29, s3
	v_mov_b64_e32 v[8:9], 0
	v_mov_b64_e32 v[16:17], 0
	s_mov_b32 s1, s24
	s_wait_kmcnt 0x0
	s_mul_u64 s[28:29], s[18:19], s[28:29]
	s_delay_alu instid0(SALU_CYCLE_1) | instskip(NEXT) | instid1(VALU_DEP_1)
	v_mad_nc_u64_u32 v[10:11], s28, s2, v[14:15]
	v_mad_u32 v11, s29, s2, v11
.LBB51_17:                              ;   Parent Loop BB51_4 Depth=1
                                        ; =>  This Inner Loop Header: Depth=2
	global_load_b128 v[20:23], v[10:11], off offset:-8
	s_wait_xcnt 0x0
	v_add_nc_u64_e32 v[10:11], s[18:19], v[10:11]
	s_add_co_i32 s1, s1, -1
	s_delay_alu instid0(SALU_CYCLE_1)
	s_cmp_eq_u32 s1, 0
	s_wait_loadcnt 0x0
	v_add_f64_e32 v[16:17], v[16:17], v[20:21]
	v_add_f64_e32 v[8:9], v[8:9], v[22:23]
	s_cbranch_scc0 .LBB51_17
.LBB51_18:                              ;   in Loop: Header=BB51_4 Depth=1
	s_delay_alu instid0(VALU_DEP_1) | instskip(SKIP_4) | instid1(VALU_DEP_4)
	v_mul_f64_e32 v[20:21], v[6:7], v[8:9]
	v_mul_f64_e32 v[10:11], v[4:5], v[8:9]
	s_wait_loadcnt 0x0
	v_cmp_neq_f64_e32 vcc_lo, 0, v[0:1]
	v_cmp_neq_f64_e64 s1, 0, v[2:3]
	v_fma_f64 v[8:9], v[4:5], v[16:17], -v[20:21]
	s_delay_alu instid0(VALU_DEP_4) | instskip(SKIP_1) | instid1(SALU_CYCLE_1)
	v_fmac_f64_e32 v[10:11], v[6:7], v[16:17]
	s_or_b32 s1, vcc_lo, s1
	s_and_not1_b32 vcc_lo, exec_lo, s1
	s_mov_b32 s1, -1
	s_cbranch_vccz .LBB51_20
; %bb.19:                               ;   in Loop: Header=BB51_4 Depth=1
	s_mov_b32 s1, 0
.LBB51_20:                              ;   in Loop: Header=BB51_4 Depth=1
	s_delay_alu instid0(SALU_CYCLE_1)
	s_and_not1_b32 vcc_lo, exec_lo, s1
	s_cbranch_vccnz .LBB51_22
; %bb.21:                               ;   in Loop: Header=BB51_4 Depth=1
	v_lshl_add_u64 v[4:5], v[12:13], 4, s[20:21]
	flat_load_b128 v[4:7], v[4:5]
	s_wait_loadcnt_dscnt 0x0
	v_mul_f64_e32 v[16:17], v[2:3], v[6:7]
	v_mul_f64_e32 v[6:7], v[0:1], v[6:7]
	s_delay_alu instid0(VALU_DEP_2) | instskip(NEXT) | instid1(VALU_DEP_2)
	v_fma_f64 v[0:1], v[0:1], v[4:5], -v[16:17]
	v_fmac_f64_e32 v[6:7], v[2:3], v[4:5]
	s_delay_alu instid0(VALU_DEP_2) | instskip(NEXT) | instid1(VALU_DEP_2)
	v_add_f64_e32 v[8:9], v[8:9], v[0:1]
	v_add_f64_e32 v[10:11], v[10:11], v[6:7]
.LBB51_22:                              ;   in Loop: Header=BB51_4 Depth=1
	s_or_b32 s25, s25, exec_lo
.LBB51_23:                              ;   in Loop: Header=BB51_4 Depth=1
	s_wait_xcnt 0x0
	s_or_b32 exec_lo, exec_lo, s26
.LBB51_24:                              ;   in Loop: Header=BB51_4 Depth=1
	s_and_saveexec_b32 s1, s25
	s_cbranch_execz .LBB51_2
; %bb.25:                               ;   in Loop: Header=BB51_4 Depth=1
	s_wait_loadcnt 0x0
	v_lshl_add_u64 v[0:1], v[12:13], 4, s[20:21]
	flat_store_b128 v[0:1], v[8:11]
	s_branch .LBB51_2
.LBB51_26:
	s_endpgm
	.section	.rodata,"a",@progbits
	.p2align	6, 0x0
	.amdhsa_kernel _ZL36rocblas_hemvn_kernel_upper_block_sumILi64EiPK19rocblas_complex_numIdEPKPS1_S1_EviT1_lS7_lT2_lT0_lPT3_i
		.amdhsa_group_segment_fixed_size 0
		.amdhsa_private_segment_fixed_size 0
		.amdhsa_kernarg_size 344
		.amdhsa_user_sgpr_count 2
		.amdhsa_user_sgpr_dispatch_ptr 0
		.amdhsa_user_sgpr_queue_ptr 0
		.amdhsa_user_sgpr_kernarg_segment_ptr 1
		.amdhsa_user_sgpr_dispatch_id 0
		.amdhsa_user_sgpr_kernarg_preload_length 0
		.amdhsa_user_sgpr_kernarg_preload_offset 0
		.amdhsa_user_sgpr_private_segment_size 0
		.amdhsa_wavefront_size32 1
		.amdhsa_uses_dynamic_stack 0
		.amdhsa_enable_private_segment 0
		.amdhsa_system_sgpr_workgroup_id_x 1
		.amdhsa_system_sgpr_workgroup_id_y 0
		.amdhsa_system_sgpr_workgroup_id_z 1
		.amdhsa_system_sgpr_workgroup_info 0
		.amdhsa_system_vgpr_workitem_id 0
		.amdhsa_next_free_vgpr 24
		.amdhsa_next_free_sgpr 30
		.amdhsa_named_barrier_count 0
		.amdhsa_reserve_vcc 1
		.amdhsa_float_round_mode_32 0
		.amdhsa_float_round_mode_16_64 0
		.amdhsa_float_denorm_mode_32 3
		.amdhsa_float_denorm_mode_16_64 3
		.amdhsa_fp16_overflow 0
		.amdhsa_memory_ordered 1
		.amdhsa_forward_progress 1
		.amdhsa_inst_pref_size 8
		.amdhsa_round_robin_scheduling 0
		.amdhsa_exception_fp_ieee_invalid_op 0
		.amdhsa_exception_fp_denorm_src 0
		.amdhsa_exception_fp_ieee_div_zero 0
		.amdhsa_exception_fp_ieee_overflow 0
		.amdhsa_exception_fp_ieee_underflow 0
		.amdhsa_exception_fp_ieee_inexact 0
		.amdhsa_exception_int_div_zero 0
	.end_amdhsa_kernel
	.section	.text._ZL36rocblas_hemvn_kernel_upper_block_sumILi64EiPK19rocblas_complex_numIdEPKPS1_S1_EviT1_lS7_lT2_lT0_lPT3_i,"axG",@progbits,_ZL36rocblas_hemvn_kernel_upper_block_sumILi64EiPK19rocblas_complex_numIdEPKPS1_S1_EviT1_lS7_lT2_lT0_lPT3_i,comdat
.Lfunc_end51:
	.size	_ZL36rocblas_hemvn_kernel_upper_block_sumILi64EiPK19rocblas_complex_numIdEPKPS1_S1_EviT1_lS7_lT2_lT0_lPT3_i, .Lfunc_end51-_ZL36rocblas_hemvn_kernel_upper_block_sumILi64EiPK19rocblas_complex_numIdEPKPS1_S1_EviT1_lS7_lT2_lT0_lPT3_i
                                        ; -- End function
	.set _ZL36rocblas_hemvn_kernel_upper_block_sumILi64EiPK19rocblas_complex_numIdEPKPS1_S1_EviT1_lS7_lT2_lT0_lPT3_i.num_vgpr, 24
	.set _ZL36rocblas_hemvn_kernel_upper_block_sumILi64EiPK19rocblas_complex_numIdEPKPS1_S1_EviT1_lS7_lT2_lT0_lPT3_i.num_agpr, 0
	.set _ZL36rocblas_hemvn_kernel_upper_block_sumILi64EiPK19rocblas_complex_numIdEPKPS1_S1_EviT1_lS7_lT2_lT0_lPT3_i.numbered_sgpr, 30
	.set _ZL36rocblas_hemvn_kernel_upper_block_sumILi64EiPK19rocblas_complex_numIdEPKPS1_S1_EviT1_lS7_lT2_lT0_lPT3_i.num_named_barrier, 0
	.set _ZL36rocblas_hemvn_kernel_upper_block_sumILi64EiPK19rocblas_complex_numIdEPKPS1_S1_EviT1_lS7_lT2_lT0_lPT3_i.private_seg_size, 0
	.set _ZL36rocblas_hemvn_kernel_upper_block_sumILi64EiPK19rocblas_complex_numIdEPKPS1_S1_EviT1_lS7_lT2_lT0_lPT3_i.uses_vcc, 1
	.set _ZL36rocblas_hemvn_kernel_upper_block_sumILi64EiPK19rocblas_complex_numIdEPKPS1_S1_EviT1_lS7_lT2_lT0_lPT3_i.uses_flat_scratch, 0
	.set _ZL36rocblas_hemvn_kernel_upper_block_sumILi64EiPK19rocblas_complex_numIdEPKPS1_S1_EviT1_lS7_lT2_lT0_lPT3_i.has_dyn_sized_stack, 0
	.set _ZL36rocblas_hemvn_kernel_upper_block_sumILi64EiPK19rocblas_complex_numIdEPKPS1_S1_EviT1_lS7_lT2_lT0_lPT3_i.has_recursion, 0
	.set _ZL36rocblas_hemvn_kernel_upper_block_sumILi64EiPK19rocblas_complex_numIdEPKPS1_S1_EviT1_lS7_lT2_lT0_lPT3_i.has_indirect_call, 0
	.section	.AMDGPU.csdata,"",@progbits
; Kernel info:
; codeLenInByte = 932
; TotalNumSgprs: 32
; NumVgprs: 24
; ScratchSize: 0
; MemoryBound: 0
; FloatMode: 240
; IeeeMode: 1
; LDSByteSize: 0 bytes/workgroup (compile time only)
; SGPRBlocks: 0
; VGPRBlocks: 1
; NumSGPRsForWavesPerEU: 32
; NumVGPRsForWavesPerEU: 24
; NamedBarCnt: 0
; Occupancy: 16
; WaveLimiterHint : 1
; COMPUTE_PGM_RSRC2:SCRATCH_EN: 0
; COMPUTE_PGM_RSRC2:USER_SGPR: 2
; COMPUTE_PGM_RSRC2:TRAP_HANDLER: 0
; COMPUTE_PGM_RSRC2:TGID_X_EN: 1
; COMPUTE_PGM_RSRC2:TGID_Y_EN: 0
; COMPUTE_PGM_RSRC2:TGID_Z_EN: 1
; COMPUTE_PGM_RSRC2:TIDIG_COMP_CNT: 0
	.section	.text._ZL26rocblas_hemvn_kernel_upperILb1ELi64ELi4ELi33ELi32ELi16El19rocblas_complex_numIdEPKPKS1_PS1_EviT6_lT7_lT5_lS8_lS9_lS7_lT8_i,"axG",@progbits,_ZL26rocblas_hemvn_kernel_upperILb1ELi64ELi4ELi33ELi32ELi16El19rocblas_complex_numIdEPKPKS1_PS1_EviT6_lT7_lT5_lS8_lS9_lS7_lT8_i,comdat
	.globl	_ZL26rocblas_hemvn_kernel_upperILb1ELi64ELi4ELi33ELi32ELi16El19rocblas_complex_numIdEPKPKS1_PS1_EviT6_lT7_lT5_lS8_lS9_lS7_lT8_i ; -- Begin function _ZL26rocblas_hemvn_kernel_upperILb1ELi64ELi4ELi33ELi32ELi16El19rocblas_complex_numIdEPKPKS1_PS1_EviT6_lT7_lT5_lS8_lS9_lS7_lT8_i
	.p2align	8
	.type	_ZL26rocblas_hemvn_kernel_upperILb1ELi64ELi4ELi33ELi32ELi16El19rocblas_complex_numIdEPKPKS1_PS1_EviT6_lT7_lT5_lS8_lS9_lS7_lT8_i,@function
_ZL26rocblas_hemvn_kernel_upperILb1ELi64ELi4ELi33ELi32ELi16El19rocblas_complex_numIdEPKPKS1_PS1_EviT6_lT7_lT5_lS8_lS9_lS7_lT8_i: ; @_ZL26rocblas_hemvn_kernel_upperILb1ELi64ELi4ELi33ELi32ELi16El19rocblas_complex_numIdEPKPKS1_PS1_EviT6_lT7_lT5_lS8_lS9_lS7_lT8_i
; %bb.0:
	s_clause 0x1
	s_load_b64 s[2:3], s[0:1], 0x94
	s_load_b32 s33, s[0:1], 0x80
	s_bfe_u32 s4, ttmp6, 0x40014
	s_lshr_b32 s5, ttmp7, 16
	s_add_co_i32 s4, s4, 1
	s_bfe_u32 s6, ttmp6, 0x40008
	s_mul_i32 s4, s5, s4
	s_getreg_b32 s10, hwreg(HW_REG_IB_STS2, 6, 4)
	s_add_co_i32 s6, s6, s4
	s_mov_b32 s23, 0
	s_wait_kmcnt 0x0
	s_lshr_b32 s4, s2, 16
	s_and_b32 s2, s2, 0xffff
	s_and_b32 s3, s3, 0xffff
	s_mul_i32 s2, s4, s2
	s_cmp_eq_u32 s10, 0
	s_mul_i32 s2, s2, s3
	s_cselect_b32 s22, s5, s6
	s_cmp_lg_u32 s2, 0x100
	s_cselect_b32 s2, -1, 0
	s_cmp_ge_u32 s22, s33
	s_cselect_b32 s3, -1, 0
	s_delay_alu instid0(SALU_CYCLE_1) | instskip(NEXT) | instid1(SALU_CYCLE_1)
	s_or_b32 s2, s2, s3
	s_and_b32 vcc_lo, exec_lo, s2
	s_cbranch_vccnz .LBB52_188
; %bb.1:
	s_clause 0x7
	s_load_b128 s[4:7], s[0:1], 0x8
	s_load_b128 s[12:15], s[0:1], 0x60
	s_load_b32 s8, s[0:1], 0x0
	s_load_b64 s[2:3], s[0:1], 0x78
	s_load_b128 s[24:27], s[0:1], 0x20
	s_load_b64 s[60:61], s[0:1], 0x30
	s_load_b64 s[34:35], s[0:1], 0x50
	s_load_b128 s[28:31], s[0:1], 0x40
	v_bfe_u32 v1, v0, 10, 10
	v_dual_mov_b32 v2, 0 :: v_dual_bitop2_b32 v4, 31, v0 bitop3:0x40
	s_add_nc_u64 s[16:17], s[0:1], 0x88
	s_wait_xcnt 0x0
	s_bfe_u32 s0, ttmp6, 0x4000c
	s_set_vgpr_msb 64                       ;  msbs: dst=1 src0=0 src1=0 src2=0
	v_and_b32_e32 v6 /*v262*/, 0x3ff, v0
	s_add_co_i32 s0, s0, 1
	s_set_vgpr_msb 0                        ;  msbs: dst=0 src0=0 src1=0 src2=0
	v_dual_mov_b32 v7, v2 :: v_dual_lshlrev_b32 v6, 6, v1
	s_and_b32 s1, ttmp6, 15
	s_mul_i32 s9, ttmp9, s0
	s_set_vgpr_msb 4                        ;  msbs: dst=0 src0=0 src1=1 src2=0
	s_delay_alu instid0(VALU_DEP_1)
	v_dual_lshlrev_b32 v186, 4, v6 /*v262*/ :: v_dual_add_nc_u32 v3, v6, v6 /*v262*/
	s_add_co_i32 s1, s1, s9
	s_set_vgpr_msb 0                        ;  msbs: dst=0 src0=0 src1=0 src2=0
	v_add_nc_u64_e32 v[8:9], 0x220, v[6:7]
	v_add_nc_u64_e32 v[10:11], 0x530, v[6:7]
	s_wait_kmcnt 0x0
	v_cmp_eq_f64_e64 s4, s[4:5], 0
	s_ashr_i32 s9, s8, 31
	s_cmp_eq_u32 s10, 0
	v_cmp_eq_f64_e64 s5, s[6:7], 0
	s_cselect_b32 s38, ttmp9, s1
	v_cmp_neq_f64_e64 s6, s[12:13], 1.0
	v_cmp_neq_f64_e64 s7, s[14:15], 0
	s_lshl_b32 s66, s38, 6
	v_dual_mov_b32 v5, v2 :: v_dual_lshlrev_b32 v42, 4, v4
	s_set_vgpr_msb 4                        ;  msbs: dst=0 src0=0 src1=1 src2=0
	v_dual_mov_b32 v187, v2 :: v_dual_add_nc_u32 v190, s66, v6 /*v262*/
	s_set_vgpr_msb 0                        ;  msbs: dst=0 src0=0 src1=0 src2=0
	v_lshrrev_b32_e32 v43, 5, v3
	v_mul_u64_e32 v[8:9], s[60:61], v[8:9]
	v_mul_u64_e32 v[10:11], s[60:61], v[10:11]
	v_ashrrev_i32_e32 v191, 31, v190
	s_load_b32 s36, s[16:17], 0x0
	v_mad_nc_u64_u32 v[188:189], s60, v43, v[4:5]
	s_lshr_b32 s1, s9, 26
	s_mov_b32 s37, s23
	s_add_co_i32 s1, s8, s1
	v_dual_add_nc_u32 v45, 24, v43 :: v_dual_lshlrev_b32 v46, 2, v43
	s_and_not1_b32 s1, s1, 63
	v_add_nc_u64_e32 v[14:15], 0x500, v[6:7]
	v_add_nc_u64_e32 v[18:19], 0x510, v[6:7]
	;; [unrolled: 1-line block ×4, first 2 shown]
	v_mad_u32 v189, s61, v43, v189
	v_add_nc_u64_e32 v[30:31], 0x400, v[6:7]
	v_add_nc_u64_e32 v[34:35], 0x410, v[6:7]
	;; [unrolled: 1-line block ×6, first 2 shown]
	s_and_b32 s72, s4, s5
	s_wait_kmcnt 0x0
	s_add_co_i32 s10, s36, -1
	s_mul_u64 s[40:41], s[36:37], s[8:9]
	s_sub_co_i32 s37, s8, s1
	v_lshlrev_b64_e32 v[40:41], 4, v[188:189]
	s_or_b32 s73, s6, s7
	s_cmp_eq_u32 s38, s10
	v_add_nc_u64_e32 v[22:23], 0x520, v[6:7]
	s_cselect_b32 s42, s37, 0
	v_add_nc_u64_e32 v[28:29], 0x310, v[6:7]
	s_cmp_lg_u32 s42, 0
	v_sub_nc_u64_e32 v[192:193], v[8:9], v[40:41]
	v_sub_nc_u64_e32 v[194:195], v[10:11], v[40:41]
	v_or_b32_e32 v9, 3, v46
	v_and_b32_e32 v11, 48, v0
	v_or_b32_e32 v10, 32, v4
	s_cselect_b32 s74, -1, 0
	s_cmp_eq_u32 s42, 0
	v_add_nc_u64_e32 v[32:33], 0x300, v[6:7]
	s_cselect_b32 s1, -1, 0
	s_ashr_i32 s39, s38, 31
	v_add_nc_u64_e32 v[36:37], 0x330, v[6:7]
	v_dual_add_nc_u32 v7, 8, v43 :: v_dual_add_nc_u32 v44, 16, v43
	v_or_b32_e32 v47, 2, v46
	v_lshl_or_b32 v8, v4, 9, v42
	v_cmp_gt_i32_e64 s12, s42, v10
	v_lshrrev_b32_e32 v10, 4, v3
	v_cmp_le_u32_e64 s10, v9, v4
	v_cmp_eq_u32_e64 s11, v9, v4
	v_lshlrev_b32_e32 v9, 6, v43
	s_mul_u64 s[4:5], s[8:9], s[38:39]
	v_mul_u64_e32 v[14:15], s[60:61], v[14:15]
	s_lshl_b64 s[4:5], s[4:5], 4
	v_mul_u64_e32 v[18:19], s[60:61], v[18:19]
	v_mul_u64_e32 v[24:25], s[60:61], v[24:25]
	v_mul_u64_e32 v[26:27], s[60:61], v[26:27]
	v_mul_u64_e32 v[30:31], s[60:61], v[30:31]
	v_mul_u64_e32 v[34:35], s[60:61], v[34:35]
	v_mul_u64_e32 v[38:39], s[60:61], v[38:39]
	s_sub_co_i32 s20, s42, 32
	s_add_nc_u64 s[46:47], s[2:3], s[4:5]
	v_cmp_le_i32_e64 s3, s42, v7
	v_cmp_le_i32_e64 s13, s20, v7
	v_mul_u32_u24_e32 v7, 0x840, v43
	s_set_vgpr_msb 64                       ;  msbs: dst=1 src0=0 src1=0 src2=0
	v_add_nc_u32_e32 v9 /*v265*/, v8, v9
	s_set_vgpr_msb 0                        ;  msbs: dst=0 src0=0 src1=0 src2=0
	v_or_b32_e32 v8, 1, v46
	v_cmp_gt_u32_e64 s15, 32, v3
	v_and_b32_e32 v0, 15, v0
	s_set_vgpr_msb 64                       ;  msbs: dst=1 src0=0 src1=0 src2=0
	v_add_nc_u32_e32 v10 /*v266*/, 0x4300, v6
	s_set_vgpr_msb 0                        ;  msbs: dst=0 src0=0 src1=0 src2=0
	v_lshlrev_b32_e32 v6, 6, v10
	v_cmp_gt_u32_e64 s18, 64, v3
	v_lshlrev_b32_e32 v3, 4, v11
	v_or_b32_e32 v11, 0xf0, v186
	v_mul_u64_e32 v[12:13], s[60:61], v[12:13]
	v_mul_u64_e32 v[16:17], s[60:61], v[16:17]
	;; [unrolled: 1-line block ×7, first 2 shown]
	s_set_vgpr_msb 64                       ;  msbs: dst=1 src0=0 src1=0 src2=0
	v_mad_u32_u24 v11 /*v267*/, 0x430, v0, v6
	v_mad_u32_u24 v12 /*v268*/, 0x430, v0, v3
	;; [unrolled: 1-line block ×3, first 2 shown]
	s_set_vgpr_msb 0                        ;  msbs: dst=0 src0=0 src1=0 src2=0
	v_mul_u32_u24_e32 v0, 33, v4
	v_lshlrev_b32_e32 v3, 4, v43
	v_cmp_eq_u32_e64 s19, v8, v4
	v_mul_u32_u24_e32 v8, 0x210, v8
	v_cmp_eq_u32_e64 s0, 0, v1
	v_mul_i32_i24_e32 v6, 0xffffffd0, v10
	s_set_vgpr_msb 64                       ;  msbs: dst=1 src0=0 src1=0 src2=0
	v_dual_lshlrev_b32 v17 /*v273*/, 4, v0 :: v_dual_lshlrev_b32 v19 /*v275*/, 2, v1
	v_add_nc_u32_e32 v16 /*v272*/, v42, v8
	v_mad_u32_u24 v20 /*v276*/, 0x10c0, v1, v186
	v_mad_u32_u24 v21 /*v277*/, 0x430, v1, v186
	s_set_vgpr_msb 0                        ;  msbs: dst=0 src0=0 src1=0 src2=0
	v_mul_u64_e32 v[0:1], s[34:35], v[190:191]
	s_set_vgpr_msb 4                        ;  msbs: dst=0 src0=0 src1=1 src2=0
	v_cmp_gt_i32_e32 vcc_lo, s42, v6 /*v262*/
	s_set_vgpr_msb 0                        ;  msbs: dst=0 src0=0 src1=0 src2=0
	v_sub_nc_u64_e32 v[198:199], v[14:15], v[40:41]
	v_sub_nc_u64_e32 v[202:203], v[18:19], v[40:41]
	;; [unrolled: 1-line block ×7, first 2 shown]
	s_set_vgpr_msb 64                       ;  msbs: dst=1 src0=0 src1=0 src2=0
	v_mad_u32_u24 v7 /*v263*/, 0x210, v43, v42
	s_or_b32 s58, s1, vcc_lo
	s_set_vgpr_msb 0                        ;  msbs: dst=0 src0=0 src1=0 src2=0
	v_sub_nc_u64_e32 v[196:197], v[12:13], v[40:41]
	v_sub_nc_u64_e32 v[200:201], v[16:17], v[40:41]
	;; [unrolled: 1-line block ×8, first 2 shown]
	s_ashr_i32 s67, s66, 31
	s_add_co_i32 s59, s38, 1
	s_xor_b32 s39, s58, -1
	v_cmp_gt_i32_e64 s1, s42, v4
	s_ashr_i32 s43, s42, 31
	v_cmp_le_i32_e64 s2, s42, v43
	s_lshl_b64 s[48:49], s[60:61], 7
	v_cmp_le_i32_e64 s4, s42, v44
	s_lshl_b64 s[50:51], s[60:61], 8
	v_cmp_le_i32_e64 s5, s42, v45
	v_cmp_le_u32_e64 s6, v46, v4
	v_cmp_le_u32_e64 s7, v47, v4
	v_cmp_eq_u32_e64 s8, v47, v4
	v_cmp_eq_u32_e64 s9, v46, v4
	s_set_vgpr_msb 64                       ;  msbs: dst=1 src0=0 src1=0 src2=0
	v_mad_u32_u24 v8 /*v264*/, 0x210, v4, v42
	v_cmp_ge_u32_e64 s14, v46, v4
	v_cmp_le_i32_e64 s16, s20, v44
	v_cmp_le_i32_e64 s17, s20, v45
	v_add_nc_u32_e32 v14 /*v270*/, 0x4700, v9
	v_add_nc_u32_e32 v15 /*v271*/, v42, v7
	s_lshl_b64 s[54:55], s[60:61], 5
	v_cmp_le_i32_e64 s20, s20, v43
	v_cmp_eq_u32_e64 s21, 1, v43
	v_mul_i32_i24_e32 v18 /*v274*/, 0xffffffd0, v43
	v_add_nc_u32_e32 v23 /*v279*/, 0x4700, v3
	s_set_vgpr_msb 0                        ;  msbs: dst=0 src0=0 src1=0 src2=0
	v_or_b32_e32 v192, 8, v192
	v_dual_lshlrev_b32 v226, 4, v4 :: v_dual_bitop2_b32 v194, 8, v194 bitop3:0x54
	v_or_b32_e32 v198, 8, v198
	v_or_b32_e32 v202, 8, v202
	;; [unrolled: 1-line block ×7, first 2 shown]
	s_set_vgpr_msb 0x41                     ;  msbs: dst=1 src0=1 src1=0 src2=0
	v_dual_add_nc_u32 v24 /*v280*/, v11 /*v267*/, v6 :: v_dual_add_nc_u32 v22 /*v278*/, v17 /*v273*/, v3
	v_add_nc_u32_e32 v25 /*v281*/, 0x4700, v186
	s_set_vgpr_msb 0x44                     ;  msbs: dst=1 src0=0 src1=1 src2=0
	v_add_nc_u32_e32 v26 /*v282*/, 0x1080, v7 /*v263*/
	v_add_nc_u32_e32 v27 /*v283*/, 0x2100, v7 /*v263*/
	;; [unrolled: 1-line block ×3, first 2 shown]
	v_dual_add_nc_u32 v29 /*v285*/, 16, v9 /*v265*/ :: v_dual_add_nc_u32 v30 /*v286*/, 32, v9 /*v265*/
	v_dual_add_nc_u32 v31 /*v287*/, 48, v9 /*v265*/ :: v_dual_bitop2_b32 v33 /*v289*/, 1, v19 /*v275*/ bitop3:0x54
	s_set_vgpr_msb 64                       ;  msbs: dst=1 src0=0 src1=0 src2=0
	v_add_nc_u32_e32 v32 /*v288*/, 0x4300, v186
	s_set_vgpr_msb 0x44                     ;  msbs: dst=1 src0=0 src1=1 src2=0
	v_dual_add_nc_u32 v36 /*v292*/, 16, v19 /*v275*/ :: v_dual_bitop2_b32 v34 /*v290*/, 2, v19 /*v275*/ bitop3:0x54
	v_dual_add_nc_u32 v37 /*v293*/, 17, v19 /*v275*/ :: v_dual_bitop2_b32 v35 /*v291*/, 3, v19 /*v275*/ bitop3:0x54
	v_dual_add_nc_u32 v38 /*v294*/, 18, v19 /*v275*/ :: v_dual_add_nc_u32 v39 /*v295*/, 19, v19 /*v275*/
	v_dual_add_nc_u32 v40 /*v296*/, 32, v19 /*v275*/ :: v_dual_add_nc_u32 v41 /*v297*/, 33, v19 /*v275*/
	;; [unrolled: 1-line block ×5, first 2 shown]
	s_mul_u64 s[56:57], s[34:35], s[66:67]
	s_cmp_lt_u32 s59, s36
	s_mul_u64 s[44:45], s[60:61], s[66:67]
	s_mul_u64 s[52:53], s[60:61], 0x180
	s_sub_nc_u64 s[56:57], 0, s[56:57]
	s_cselect_b32 s75, -1, 0
	s_add_co_i32 s76, s36, -2
	s_and_b32 s77, s0, s58
	s_sub_nc_u64 s[58:59], 0, s[42:43]
	s_add_co_i32 s78, s66, 64
	s_lshl_b64 s[60:61], s[60:61], 10
	s_mov_b64 s[62:63], 0xfffffffffffffe00
	s_mov_b64 s[64:65], 0xfffffffffffffdf0
	s_lshl_b64 s[30:31], s[30:31], 4
	s_lshl_b64 s[26:27], s[26:27], 4
	;; [unrolled: 1-line block ×3, first 2 shown]
	s_set_vgpr_msb 0                        ;  msbs: dst=0 src0=0 src1=0 src2=0
	s_branch .LBB52_4
.LBB52_2:                               ;   in Loop: Header=BB52_4 Depth=1
	s_wait_xcnt 0x0
	s_or_b32 exec_lo, exec_lo, s70
.LBB52_3:                               ;   in Loop: Header=BB52_4 Depth=1
	s_add_co_i32 s22, s22, 0x10000
	s_delay_alu instid0(SALU_CYCLE_1)
	s_cmp_lt_u32 s22, s33
	s_cbranch_scc0 .LBB52_188
.LBB52_4:                               ; =>This Loop Header: Depth=1
                                        ;     Child Loop BB52_112 Depth 2
	s_and_not1_b32 vcc_lo, exec_lo, s72
	s_mov_b32 s68, -1
	s_cbranch_vccz .LBB52_6
; %bb.5:                                ;   in Loop: Header=BB52_4 Depth=1
	s_and_not1_b32 vcc_lo, exec_lo, s68
	s_cbranch_vccnz .LBB52_3
	s_branch .LBB52_7
.LBB52_6:                               ;   in Loop: Header=BB52_4 Depth=1
	s_and_b32 vcc_lo, exec_lo, s73
	s_cbranch_execnz .LBB52_3
.LBB52_7:                               ;   in Loop: Header=BB52_4 Depth=1
	v_mov_b32_e32 v3, s22
	s_clause 0x1
	global_load_b64 v[4:5], v3, s[28:29] scale_offset
	global_load_b64 v[6:7], v3, s[24:25] scale_offset
	s_wait_loadcnt 0x1
	v_add_nc_u64_e32 v[4:5], s[30:31], v[4:5]
	s_delay_alu instid0(VALU_DEP_1)
	v_lshl_add_u64 v[42:43], v[0:1], 4, v[4:5]
	s_wait_xcnt 0x0
	s_and_saveexec_b32 s68, s0
	s_cbranch_execz .LBB52_12
; %bb.8:                                ;   in Loop: Header=BB52_4 Depth=1
	s_and_saveexec_b32 s69, s39
	s_delay_alu instid0(SALU_CYCLE_1)
	s_xor_b32 s69, exec_lo, s69
; %bb.9:                                ;   in Loop: Header=BB52_4 Depth=1
	v_dual_mov_b32 v3, v2 :: v_dual_mov_b32 v4, v2
	v_mov_b32_e32 v5, v2
	s_set_vgpr_msb 1                        ;  msbs: dst=0 src0=1 src1=0 src2=0
	ds_store_b128 v25 /*v281*/, v[2:5]
; %bb.10:                               ;   in Loop: Header=BB52_4 Depth=1
	s_and_not1_saveexec_b32 s69, s69
	s_set_vgpr_msb 0                        ;  msbs: dst=0 src0=0 src1=0 src2=0
	s_cbranch_execz .LBB52_12
; %bb.11:                               ;   in Loop: Header=BB52_4 Depth=1
	flat_load_b128 v[8:11], v[42:43]
	s_wait_loadcnt_dscnt 0x0
	s_set_vgpr_msb 1                        ;  msbs: dst=0 src0=1 src1=0 src2=0
	ds_store_2addr_b64 v25 /*v281*/, v[8:9], v[10:11] offset1:1
.LBB52_12:                              ;   in Loop: Header=BB52_4 Depth=1
	s_wait_xcnt 0x0
	s_or_b32 exec_lo, exec_lo, s68
	s_wait_loadcnt 0x0
	s_set_vgpr_msb 0                        ;  msbs: dst=0 src0=0 src1=0 src2=0
	v_add_nc_u64_e32 v[4:5], s[26:27], v[6:7]
	s_and_b32 vcc_lo, exec_lo, s74
	s_mov_b32 s68, -1
                                        ; implicit-def: $vgpr10_vgpr11
	s_delay_alu instid0(VALU_DEP_1) | instskip(NEXT) | instid1(VALU_DEP_1)
	v_add_nc_u64_e32 v[4:5], s[66:67], v[4:5]
	v_lshl_add_u64 v[4:5], v[188:189], 4, v[4:5]
	s_delay_alu instid0(VALU_DEP_1)
	v_lshl_add_u64 v[6:7], s[44:45], 4, v[4:5]
	s_cbranch_vccz .LBB52_24
; %bb.13:                               ;   in Loop: Header=BB52_4 Depth=1
	s_and_saveexec_b32 s68, s2
	s_delay_alu instid0(SALU_CYCLE_1)
	s_xor_b32 s68, exec_lo, s68
; %bb.14:                               ;   in Loop: Header=BB52_4 Depth=1
	v_dual_mov_b32 v3, v2 :: v_dual_mov_b32 v4, v2
	v_mov_b32_e32 v5, v2
	s_set_vgpr_msb 1                        ;  msbs: dst=0 src0=1 src1=0 src2=0
	ds_store_b128 v7 /*v263*/, v[2:5]
; %bb.15:                               ;   in Loop: Header=BB52_4 Depth=1
	s_or_saveexec_b32 s68, s68
	s_set_vgpr_msb 0                        ;  msbs: dst=0 src0=0 src1=0 src2=0
	v_lshl_add_u64 v[4:5], v[224:225], 4, v[6:7]
	s_delay_alu instid0(VALU_DEP_1) | instskip(NEXT) | instid1(VALU_DEP_1)
	v_lshl_add_u64 v[4:5], s[42:43], 4, v[4:5]
	v_add_nc_u64_e32 v[4:5], -16, v[4:5]
	s_delay_alu instid0(VALU_DEP_1)
	v_dual_cndmask_b32 v9, v5, v7, s1 :: v_dual_cndmask_b32 v8, v4, v6, s1
	s_xor_b32 exec_lo, exec_lo, s68
	s_cbranch_execnz .LBB52_170
; %bb.16:                               ;   in Loop: Header=BB52_4 Depth=1
	s_or_b32 exec_lo, exec_lo, s68
	s_and_saveexec_b32 s68, s3
	s_delay_alu instid0(SALU_CYCLE_1)
	s_xor_b32 s68, exec_lo, s68
	s_cbranch_execnz .LBB52_171
.LBB52_17:                              ;   in Loop: Header=BB52_4 Depth=1
	s_and_not1_saveexec_b32 s68, s68
	s_cbranch_execnz .LBB52_172
.LBB52_18:                              ;   in Loop: Header=BB52_4 Depth=1
	s_or_b32 exec_lo, exec_lo, s68
	s_and_saveexec_b32 s68, s4
	s_delay_alu instid0(SALU_CYCLE_1)
	s_xor_b32 s68, exec_lo, s68
	s_cbranch_execnz .LBB52_173
.LBB52_19:                              ;   in Loop: Header=BB52_4 Depth=1
	s_and_not1_saveexec_b32 s68, s68
	s_cbranch_execnz .LBB52_174
.LBB52_20:                              ;   in Loop: Header=BB52_4 Depth=1
	s_or_b32 exec_lo, exec_lo, s68
	s_and_saveexec_b32 s68, s5
	s_delay_alu instid0(SALU_CYCLE_1)
	s_xor_b32 s68, exec_lo, s68
	s_cbranch_execnz .LBB52_175
.LBB52_21:                              ;   in Loop: Header=BB52_4 Depth=1
	s_and_not1_saveexec_b32 s68, s68
	s_cbranch_execz .LBB52_23
.LBB52_22:                              ;   in Loop: Header=BB52_4 Depth=1
	v_add_nc_u64_e32 v[4:5], s[52:53], v[8:9]
	flat_load_b128 v[10:13], v[4:5]
	s_wait_loadcnt_dscnt 0x0
	s_set_vgpr_msb 1                        ;  msbs: dst=0 src0=1 src1=0 src2=0
	ds_store_2addr_b64 v28 /*v284*/, v[10:11], v[12:13] offset1:1
.LBB52_23:                              ;   in Loop: Header=BB52_4 Depth=1
	s_wait_xcnt 0x0
	s_or_b32 exec_lo, exec_lo, s68
	s_set_vgpr_msb 0                        ;  msbs: dst=0 src0=0 src1=0 src2=0
	v_mov_b32_e32 v227, v2
	s_mov_b32 s68, 0
	s_delay_alu instid0(VALU_DEP_1) | instskip(NEXT) | instid1(VALU_DEP_1)
	v_add_nc_u64_e32 v[4:5], v[8:9], v[226:227]
	v_lshl_add_u64 v[4:5], s[58:59], 4, v[4:5]
	s_delay_alu instid0(VALU_DEP_1) | instskip(NEXT) | instid1(VALU_DEP_1)
	v_add_nc_u64_e32 v[4:5], 16, v[4:5]
	v_dual_cndmask_b32 v11, v5, v7, s1 :: v_dual_cndmask_b32 v10, v4, v6, s1
.LBB52_24:                              ;   in Loop: Header=BB52_4 Depth=1
	s_and_b32 vcc_lo, exec_lo, s68
	s_cbranch_vccz .LBB52_26
; %bb.25:                               ;   in Loop: Header=BB52_4 Depth=1
	flat_load_b128 v[8:11], v[6:7]
	v_add_nc_u64_e32 v[4:5], s[48:49], v[6:7]
	s_wait_loadcnt_dscnt 0x0
	s_set_vgpr_msb 1                        ;  msbs: dst=0 src0=1 src1=0 src2=0
	ds_store_2addr_b64 v7 /*v263*/, v[8:9], v[10:11] offset1:1
	s_set_vgpr_msb 0                        ;  msbs: dst=0 src0=0 src1=0 src2=0
	flat_load_b128 v[8:11], v[4:5]
	s_wait_xcnt 0x0
	v_add_nc_u64_e32 v[4:5], s[48:49], v[4:5]
	s_wait_loadcnt_dscnt 0x0
	s_set_vgpr_msb 1                        ;  msbs: dst=0 src0=1 src1=0 src2=0
	ds_store_2addr_b64 v26 /*v282*/, v[8:9], v[10:11] offset1:1
	s_set_vgpr_msb 0                        ;  msbs: dst=0 src0=0 src1=0 src2=0
	flat_load_b128 v[8:11], v[4:5]
	s_wait_xcnt 0x0
	v_add_nc_u64_e32 v[4:5], s[48:49], v[4:5]
	s_wait_loadcnt_dscnt 0x0
	s_set_vgpr_msb 1                        ;  msbs: dst=0 src0=1 src1=0 src2=0
	ds_store_2addr_b64 v27 /*v283*/, v[8:9], v[10:11] offset1:1
	s_set_vgpr_msb 0                        ;  msbs: dst=0 src0=0 src1=0 src2=0
	flat_load_b128 v[12:15], v[4:5]
	v_mov_b64_e32 v[10:11], v[6:7]
	s_wait_loadcnt_dscnt 0x0
	s_set_vgpr_msb 1                        ;  msbs: dst=0 src0=1 src1=0 src2=0
	ds_store_2addr_b64 v28 /*v284*/, v[12:13], v[14:15] offset1:1
.LBB52_26:                              ;   in Loop: Header=BB52_4 Depth=1
	s_mov_b32 s68, 0
	s_wait_dscnt 0x0
	s_barrier_signal -1
	s_barrier_wait -1
	s_wait_xcnt 0x0
	s_and_saveexec_b32 s69, s6
	s_delay_alu instid0(SALU_CYCLE_1)
	s_xor_b32 s69, exec_lo, s69
; %bb.27:                               ;   in Loop: Header=BB52_4 Depth=1
	s_and_b32 s68, s9, exec_lo
; %bb.28:                               ;   in Loop: Header=BB52_4 Depth=1
	s_or_saveexec_b32 s69, s69
	s_set_vgpr_msb 1                        ;  msbs: dst=0 src0=1 src1=0 src2=0
	v_mov_b64_e32 v[6:7], 0
	v_mov_b32_e32 v3, v8 /*v264*/
	s_xor_b32 exec_lo, exec_lo, s69
	s_set_vgpr_msb 0                        ;  msbs: dst=0 src0=0 src1=0 src2=0
	s_cbranch_execz .LBB52_30
; %bb.29:                               ;   in Loop: Header=BB52_4 Depth=1
	s_set_vgpr_msb 1                        ;  msbs: dst=0 src0=1 src1=0 src2=0
	ds_load_b128 v[4:7], v15 /*v271*/
	v_mov_b32_e32 v3, v9 /*v265*/
	s_or_b32 s68, s68, exec_lo
	s_wait_dscnt 0x0
	v_xor_b32_e32 v7, 0x80000000, v7
	ds_store_b64 v9 /*v265*/, v[4:5]
.LBB52_30:                              ;   in Loop: Header=BB52_4 Depth=1
	s_or_b32 exec_lo, exec_lo, s69
	s_and_saveexec_b32 s69, s68
; %bb.31:                               ;   in Loop: Header=BB52_4 Depth=1
	s_set_vgpr_msb 0                        ;  msbs: dst=0 src0=0 src1=0 src2=0
	ds_store_b64 v3, v[6:7] offset:8
; %bb.32:                               ;   in Loop: Header=BB52_4 Depth=1
	s_or_b32 exec_lo, exec_lo, s69
	s_mov_b32 s68, 0
                                        ; implicit-def: $vgpr6_vgpr7
	s_and_saveexec_b32 s69, s14
	s_delay_alu instid0(SALU_CYCLE_1)
	s_xor_b32 s69, exec_lo, s69
	s_cbranch_execnz .LBB52_166
; %bb.33:                               ;   in Loop: Header=BB52_4 Depth=1
	s_or_saveexec_b32 s69, s69
	s_set_vgpr_msb 1                        ;  msbs: dst=0 src0=1 src1=0 src2=0
	v_mov_b32_e32 v3, v29 /*v285*/
	s_xor_b32 exec_lo, exec_lo, s69
	s_set_vgpr_msb 0                        ;  msbs: dst=0 src0=0 src1=0 src2=0
	s_cbranch_execnz .LBB52_167
.LBB52_34:                              ;   in Loop: Header=BB52_4 Depth=1
	s_or_b32 exec_lo, exec_lo, s69
	s_and_saveexec_b32 s69, s68
.LBB52_35:                              ;   in Loop: Header=BB52_4 Depth=1
	ds_store_b64 v3, v[6:7] offset:8
.LBB52_36:                              ;   in Loop: Header=BB52_4 Depth=1
	s_or_b32 exec_lo, exec_lo, s69
	s_mov_b32 s68, 0
	s_and_saveexec_b32 s69, s7
	s_delay_alu instid0(SALU_CYCLE_1)
	s_xor_b32 s69, exec_lo, s69
; %bb.37:                               ;   in Loop: Header=BB52_4 Depth=1
	s_and_b32 s68, s8, exec_lo
; %bb.38:                               ;   in Loop: Header=BB52_4 Depth=1
	s_or_saveexec_b32 s69, s69
	v_mov_b64_e32 v[6:7], 0
	s_set_vgpr_msb 1                        ;  msbs: dst=0 src0=1 src1=0 src2=0
	v_mov_b32_e32 v3, v8 /*v264*/
	s_xor_b32 exec_lo, exec_lo, s69
	s_set_vgpr_msb 0                        ;  msbs: dst=0 src0=0 src1=0 src2=0
	s_cbranch_execz .LBB52_40
; %bb.39:                               ;   in Loop: Header=BB52_4 Depth=1
	s_set_vgpr_msb 1                        ;  msbs: dst=0 src0=1 src1=0 src2=0
	ds_load_b128 v[4:7], v16 /*v272*/ offset:528
	v_mov_b32_e32 v3, v30 /*v286*/
	s_or_b32 s68, s68, exec_lo
	s_wait_dscnt 0x0
	v_xor_b32_e32 v7, 0x80000000, v7
	ds_store_b64 v30 /*v286*/, v[4:5]
.LBB52_40:                              ;   in Loop: Header=BB52_4 Depth=1
	s_or_b32 exec_lo, exec_lo, s69
	s_and_saveexec_b32 s69, s68
; %bb.41:                               ;   in Loop: Header=BB52_4 Depth=1
	s_set_vgpr_msb 0                        ;  msbs: dst=0 src0=0 src1=0 src2=0
	ds_store_b64 v3, v[6:7] offset:8
; %bb.42:                               ;   in Loop: Header=BB52_4 Depth=1
	s_or_b32 exec_lo, exec_lo, s69
	s_mov_b32 s68, 0
	s_and_saveexec_b32 s69, s10
	s_delay_alu instid0(SALU_CYCLE_1)
	s_xor_b32 s69, exec_lo, s69
; %bb.43:                               ;   in Loop: Header=BB52_4 Depth=1
	s_and_b32 s68, s11, exec_lo
; %bb.44:                               ;   in Loop: Header=BB52_4 Depth=1
	s_or_saveexec_b32 s69, s69
	v_mov_b64_e32 v[6:7], 0
	s_set_vgpr_msb 1                        ;  msbs: dst=0 src0=1 src1=0 src2=0
	v_mov_b32_e32 v3, v8 /*v264*/
	s_xor_b32 exec_lo, exec_lo, s69
	s_set_vgpr_msb 0                        ;  msbs: dst=0 src0=0 src1=0 src2=0
	s_cbranch_execz .LBB52_46
; %bb.45:                               ;   in Loop: Header=BB52_4 Depth=1
	s_set_vgpr_msb 1                        ;  msbs: dst=0 src0=1 src1=0 src2=0
	ds_load_b128 v[4:7], v16 /*v272*/ offset:1056
	v_mov_b32_e32 v3, v31 /*v287*/
	s_or_b32 s68, s68, exec_lo
	s_wait_dscnt 0x0
	v_xor_b32_e32 v7, 0x80000000, v7
	ds_store_b64 v31 /*v287*/, v[4:5]
.LBB52_46:                              ;   in Loop: Header=BB52_4 Depth=1
	s_or_b32 exec_lo, exec_lo, s69
	s_and_saveexec_b32 s69, s68
; %bb.47:                               ;   in Loop: Header=BB52_4 Depth=1
	s_set_vgpr_msb 0                        ;  msbs: dst=0 src0=0 src1=0 src2=0
	ds_store_b64 v3, v[6:7] offset:8
; %bb.48:                               ;   in Loop: Header=BB52_4 Depth=1
	s_or_b32 exec_lo, exec_lo, s69
	s_wait_dscnt 0x0
	s_barrier_signal -1
	s_barrier_wait -1
	s_set_vgpr_msb 1                        ;  msbs: dst=0 src0=1 src1=0 src2=0
	ds_load_b128 v[4:7], v15 /*v271*/
	ds_load_b128 v[12:15], v14 /*v270*/
	ds_load_b128 v[16:19], v14 /*v270*/ offset:16
	ds_load_b128 v[20:23], v16 /*v272*/
	s_wait_dscnt 0x2
	s_set_vgpr_msb 0                        ;  msbs: dst=0 src0=0 src1=0 src2=0
	v_mul_f64_e32 v[8:9], v[14:15], v[6:7]
	v_mul_f64_e32 v[30:31], v[12:13], v[6:7]
	s_wait_dscnt 0x0
	v_mul_f64_e32 v[32:33], v[18:19], v[22:23]
	v_mul_f64_e32 v[34:35], v[16:17], v[22:23]
	s_delay_alu instid0(VALU_DEP_4) | instskip(NEXT) | instid1(VALU_DEP_4)
	v_fma_f64 v[8:9], v[12:13], v[4:5], -v[8:9]
	v_fmac_f64_e32 v[30:31], v[14:15], v[4:5]
	s_set_vgpr_msb 1                        ;  msbs: dst=0 src0=1 src1=0 src2=0
	ds_load_b128 v[4:7], v16 /*v272*/ offset:528
	ds_load_b128 v[12:15], v14 /*v270*/ offset:32
	;; [unrolled: 1-line block ×4, first 2 shown]
	s_set_vgpr_msb 0                        ;  msbs: dst=0 src0=0 src1=0 src2=0
	v_fma_f64 v[16:17], v[16:17], v[20:21], -v[32:33]
	v_fmac_f64_e32 v[34:35], v[18:19], v[20:21]
	s_wait_dscnt 0x0
	s_barrier_signal -1
	s_barrier_wait -1
	v_mul_f64_e32 v[36:37], v[14:15], v[6:7]
	v_mul_f64_e32 v[6:7], v[12:13], v[6:7]
	;; [unrolled: 1-line block ×4, first 2 shown]
	v_add_f64_e32 v[8:9], 0, v[8:9]
	v_add_f64_e32 v[18:19], 0, v[30:31]
	v_fma_f64 v[12:13], v[12:13], v[4:5], -v[36:37]
	v_fmac_f64_e32 v[6:7], v[14:15], v[4:5]
	v_fma_f64 v[14:15], v[22:23], v[26:27], -v[20:21]
	v_fmac_f64_e32 v[28:29], v[24:25], v[26:27]
	v_add_f64_e32 v[4:5], v[8:9], v[16:17]
	v_add_f64_e32 v[8:9], v[18:19], v[34:35]
	s_delay_alu instid0(VALU_DEP_2) | instskip(NEXT) | instid1(VALU_DEP_2)
	v_add_f64_e32 v[4:5], v[4:5], v[12:13]
	v_add_f64_e32 v[6:7], v[8:9], v[6:7]
	v_mov_b64_e32 v[8:9], 0
	s_delay_alu instid0(VALU_DEP_3) | instskip(NEXT) | instid1(VALU_DEP_3)
	v_add_f64_e32 v[12:13], v[4:5], v[14:15]
	v_add_f64_e32 v[14:15], v[6:7], v[28:29]
	v_mov_b64_e32 v[6:7], 0
	s_set_vgpr_msb 1                        ;  msbs: dst=0 src0=1 src1=0 src2=0
	ds_store_b128 v22 /*v278*/, v[12:15]
	s_wait_dscnt 0x0
	s_barrier_signal -1
	s_barrier_wait -1
	s_and_saveexec_b32 s68, s15
	s_set_vgpr_msb 0                        ;  msbs: dst=0 src0=0 src1=0 src2=0
	s_cbranch_execz .LBB52_50
; %bb.49:                               ;   in Loop: Header=BB52_4 Depth=1
	s_set_vgpr_msb 1                        ;  msbs: dst=0 src0=1 src1=0 src2=0
	ds_load_b128 v[4:7], v17 /*v273*/
	ds_load_b128 v[12:15], v17 /*v273*/ offset:16
	s_wait_dscnt 0x0
	s_set_vgpr_msb 0                        ;  msbs: dst=0 src0=0 src1=0 src2=0
	v_add_f64_e32 v[8:9], v[12:13], v[4:5]
	v_add_f64_e32 v[16:17], v[14:15], v[6:7]
	s_set_vgpr_msb 1                        ;  msbs: dst=0 src0=1 src1=0 src2=0
	ds_load_b128 v[4:7], v17 /*v273*/ offset:32
	ds_load_b128 v[12:15], v17 /*v273*/ offset:48
	s_wait_dscnt 0x1
	s_set_vgpr_msb 0                        ;  msbs: dst=0 src0=0 src1=0 src2=0
	v_add_f64_e32 v[4:5], v[8:9], v[4:5]
	v_add_f64_e32 v[6:7], v[16:17], v[6:7]
	s_wait_dscnt 0x0
	s_delay_alu instid0(VALU_DEP_2) | instskip(NEXT) | instid1(VALU_DEP_2)
	v_add_f64_e32 v[8:9], v[4:5], v[12:13]
	v_add_f64_e32 v[16:17], v[6:7], v[14:15]
	s_set_vgpr_msb 1                        ;  msbs: dst=0 src0=1 src1=0 src2=0
	ds_load_b128 v[4:7], v17 /*v273*/ offset:64
	ds_load_b128 v[12:15], v17 /*v273*/ offset:80
	s_wait_dscnt 0x1
	s_set_vgpr_msb 0                        ;  msbs: dst=0 src0=0 src1=0 src2=0
	v_add_f64_e32 v[4:5], v[8:9], v[4:5]
	v_add_f64_e32 v[6:7], v[16:17], v[6:7]
	s_wait_dscnt 0x0
	s_delay_alu instid0(VALU_DEP_2) | instskip(NEXT) | instid1(VALU_DEP_2)
	;; [unrolled: 11-line block ×3, first 2 shown]
	v_add_f64_e32 v[6:7], v[4:5], v[12:13]
	v_add_f64_e32 v[8:9], v[8:9], v[14:15]
.LBB52_50:                              ;   in Loop: Header=BB52_4 Depth=1
	s_or_b32 exec_lo, exec_lo, s68
	v_lshl_add_u64 v[12:13], s[54:55], 4, v[10:11]
	s_and_b32 vcc_lo, exec_lo, s74
	s_mov_b32 s68, -1
	s_barrier_signal -1
	s_delay_alu instid0(VALU_DEP_1)
	v_add_nc_u64_e32 v[10:11], 0x200, v[12:13]
	s_barrier_wait -1
                                        ; implicit-def: $vgpr14_vgpr15
	s_cbranch_vccz .LBB52_62
; %bb.51:                               ;   in Loop: Header=BB52_4 Depth=1
	s_and_saveexec_b32 s68, s20
	s_delay_alu instid0(SALU_CYCLE_1)
	s_xor_b32 s68, exec_lo, s68
; %bb.52:                               ;   in Loop: Header=BB52_4 Depth=1
	v_dual_mov_b32 v3, v2 :: v_dual_mov_b32 v4, v2
	v_mov_b32_e32 v5, v2
	s_set_vgpr_msb 1                        ;  msbs: dst=0 src0=1 src1=0 src2=0
	ds_store_b128 v7 /*v263*/, v[2:5]
; %bb.53:                               ;   in Loop: Header=BB52_4 Depth=1
	s_or_saveexec_b32 s68, s68
	s_set_vgpr_msb 0                        ;  msbs: dst=0 src0=0 src1=0 src2=0
	v_lshl_add_u64 v[4:5], v[224:225], 4, v[12:13]
	s_delay_alu instid0(VALU_DEP_1) | instskip(NEXT) | instid1(VALU_DEP_1)
	v_lshl_add_u64 v[4:5], s[42:43], 4, v[4:5]
	v_add_nc_u64_e32 v[4:5], -16, v[4:5]
	s_delay_alu instid0(VALU_DEP_1)
	v_dual_cndmask_b32 v15, v5, v11, s12 :: v_dual_cndmask_b32 v14, v4, v10, s12
	s_xor_b32 exec_lo, exec_lo, s68
	s_cbranch_execnz .LBB52_176
; %bb.54:                               ;   in Loop: Header=BB52_4 Depth=1
	s_or_b32 exec_lo, exec_lo, s68
	s_and_saveexec_b32 s68, s13
	s_delay_alu instid0(SALU_CYCLE_1)
	s_xor_b32 s68, exec_lo, s68
	s_cbranch_execnz .LBB52_177
.LBB52_55:                              ;   in Loop: Header=BB52_4 Depth=1
	s_and_not1_saveexec_b32 s68, s68
	s_cbranch_execnz .LBB52_178
.LBB52_56:                              ;   in Loop: Header=BB52_4 Depth=1
	s_or_b32 exec_lo, exec_lo, s68
	s_and_saveexec_b32 s68, s16
	s_delay_alu instid0(SALU_CYCLE_1)
	s_xor_b32 s68, exec_lo, s68
	s_cbranch_execnz .LBB52_179
.LBB52_57:                              ;   in Loop: Header=BB52_4 Depth=1
	s_and_not1_saveexec_b32 s68, s68
	s_cbranch_execnz .LBB52_180
.LBB52_58:                              ;   in Loop: Header=BB52_4 Depth=1
	s_or_b32 exec_lo, exec_lo, s68
	s_and_saveexec_b32 s68, s17
	s_delay_alu instid0(SALU_CYCLE_1)
	s_xor_b32 s68, exec_lo, s68
	s_cbranch_execnz .LBB52_181
.LBB52_59:                              ;   in Loop: Header=BB52_4 Depth=1
	s_and_not1_saveexec_b32 s68, s68
	s_cbranch_execz .LBB52_61
.LBB52_60:                              ;   in Loop: Header=BB52_4 Depth=1
	v_add_nc_u64_e32 v[4:5], s[52:53], v[14:15]
	flat_load_b128 v[16:19], v[4:5]
	s_wait_loadcnt_dscnt 0x0
	s_set_vgpr_msb 1                        ;  msbs: dst=0 src0=1 src1=0 src2=0
	ds_store_2addr_b64 v28 /*v284*/, v[16:17], v[18:19] offset1:1
.LBB52_61:                              ;   in Loop: Header=BB52_4 Depth=1
	s_wait_xcnt 0x0
	s_or_b32 exec_lo, exec_lo, s68
	s_set_vgpr_msb 0                        ;  msbs: dst=0 src0=0 src1=0 src2=0
	v_mov_b32_e32 v227, v2
	s_mov_b32 s68, 0
	s_delay_alu instid0(VALU_DEP_1) | instskip(NEXT) | instid1(VALU_DEP_1)
	v_add_nc_u64_e32 v[4:5], v[14:15], v[226:227]
	v_lshl_add_u64 v[4:5], s[58:59], 4, v[4:5]
	s_delay_alu instid0(VALU_DEP_1) | instskip(NEXT) | instid1(VALU_DEP_1)
	v_add_nc_u64_e32 v[4:5], 0x210, v[4:5]
	v_dual_cndmask_b32 v15, v5, v11, s12 :: v_dual_cndmask_b32 v14, v4, v10, s12
.LBB52_62:                              ;   in Loop: Header=BB52_4 Depth=1
	s_and_b32 vcc_lo, exec_lo, s68
	s_cbranch_vccz .LBB52_64
; %bb.63:                               ;   in Loop: Header=BB52_4 Depth=1
	flat_load_b128 v[14:17], v[10:11]
	v_add_nc_u64_e32 v[4:5], s[48:49], v[12:13]
	s_wait_loadcnt_dscnt 0x0
	s_set_vgpr_msb 1                        ;  msbs: dst=0 src0=1 src1=0 src2=0
	ds_store_2addr_b64 v7 /*v263*/, v[14:15], v[16:17] offset1:1
	s_set_vgpr_msb 0                        ;  msbs: dst=0 src0=0 src1=0 src2=0
	flat_load_b128 v[12:15], v[4:5] offset:512
	s_wait_xcnt 0x0
	v_add_nc_u64_e32 v[4:5], s[48:49], v[4:5]
	s_wait_loadcnt_dscnt 0x0
	s_set_vgpr_msb 1                        ;  msbs: dst=0 src0=1 src1=0 src2=0
	ds_store_2addr_b64 v26 /*v282*/, v[12:13], v[14:15] offset1:1
	s_set_vgpr_msb 0                        ;  msbs: dst=0 src0=0 src1=0 src2=0
	flat_load_b128 v[12:15], v[4:5] offset:512
	s_wait_xcnt 0x0
	v_add_nc_u64_e32 v[4:5], s[48:49], v[4:5]
	s_wait_loadcnt_dscnt 0x0
	s_set_vgpr_msb 1                        ;  msbs: dst=0 src0=1 src1=0 src2=0
	ds_store_2addr_b64 v27 /*v283*/, v[12:13], v[14:15] offset1:1
	s_set_vgpr_msb 0                        ;  msbs: dst=0 src0=0 src1=0 src2=0
	flat_load_b128 v[16:19], v[4:5] offset:512
	v_mov_b64_e32 v[14:15], v[10:11]
	s_wait_loadcnt_dscnt 0x0
	s_set_vgpr_msb 1                        ;  msbs: dst=0 src0=1 src1=0 src2=0
	ds_store_2addr_b64 v28 /*v284*/, v[16:17], v[18:19] offset1:1
.LBB52_64:                              ;   in Loop: Header=BB52_4 Depth=1
	s_mov_b32 s68, 0
	s_wait_dscnt 0x0
	s_barrier_signal -1
	s_barrier_wait -1
	s_wait_xcnt 0x0
	s_and_saveexec_b32 s69, s6
	s_delay_alu instid0(SALU_CYCLE_1)
	s_xor_b32 s69, exec_lo, s69
; %bb.65:                               ;   in Loop: Header=BB52_4 Depth=1
	s_and_b32 s68, s9, exec_lo
; %bb.66:                               ;   in Loop: Header=BB52_4 Depth=1
	s_or_saveexec_b32 s69, s69
	s_set_vgpr_msb 1                        ;  msbs: dst=0 src0=1 src1=0 src2=0
	v_mov_b64_e32 v[12:13], 0
	v_mov_b32_e32 v3, v8 /*v264*/
	s_xor_b32 exec_lo, exec_lo, s69
	s_set_vgpr_msb 0                        ;  msbs: dst=0 src0=0 src1=0 src2=0
	s_cbranch_execz .LBB52_68
; %bb.67:                               ;   in Loop: Header=BB52_4 Depth=1
	s_set_vgpr_msb 1                        ;  msbs: dst=0 src0=1 src1=0 src2=0
	ds_load_b128 v[10:13], v15 /*v271*/
	v_mov_b32_e32 v3, v9 /*v265*/
	s_or_b32 s68, s68, exec_lo
	s_wait_dscnt 0x0
	v_xor_b32_e32 v13, 0x80000000, v13
	ds_store_b64 v9 /*v265*/, v[10:11]
.LBB52_68:                              ;   in Loop: Header=BB52_4 Depth=1
	s_or_b32 exec_lo, exec_lo, s69
	s_and_saveexec_b32 s69, s68
; %bb.69:                               ;   in Loop: Header=BB52_4 Depth=1
	s_set_vgpr_msb 0                        ;  msbs: dst=0 src0=0 src1=0 src2=0
	ds_store_b64 v3, v[12:13] offset:8
; %bb.70:                               ;   in Loop: Header=BB52_4 Depth=1
	s_or_b32 exec_lo, exec_lo, s69
	s_mov_b32 s68, 0
                                        ; implicit-def: $vgpr12_vgpr13
	s_and_saveexec_b32 s69, s14
	s_delay_alu instid0(SALU_CYCLE_1)
	s_xor_b32 s69, exec_lo, s69
	s_cbranch_execnz .LBB52_168
; %bb.71:                               ;   in Loop: Header=BB52_4 Depth=1
	s_or_saveexec_b32 s69, s69
	s_set_vgpr_msb 1                        ;  msbs: dst=0 src0=1 src1=0 src2=0
	v_mov_b32_e32 v3, v29 /*v285*/
	s_xor_b32 exec_lo, exec_lo, s69
	s_set_vgpr_msb 0                        ;  msbs: dst=0 src0=0 src1=0 src2=0
	s_cbranch_execnz .LBB52_169
.LBB52_72:                              ;   in Loop: Header=BB52_4 Depth=1
	s_or_b32 exec_lo, exec_lo, s69
	s_and_saveexec_b32 s69, s68
.LBB52_73:                              ;   in Loop: Header=BB52_4 Depth=1
	ds_store_b64 v3, v[12:13] offset:8
.LBB52_74:                              ;   in Loop: Header=BB52_4 Depth=1
	s_or_b32 exec_lo, exec_lo, s69
	s_mov_b32 s68, 0
	s_and_saveexec_b32 s69, s7
	s_delay_alu instid0(SALU_CYCLE_1)
	s_xor_b32 s69, exec_lo, s69
; %bb.75:                               ;   in Loop: Header=BB52_4 Depth=1
	s_and_b32 s68, s8, exec_lo
; %bb.76:                               ;   in Loop: Header=BB52_4 Depth=1
	s_or_saveexec_b32 s69, s69
	v_mov_b64_e32 v[12:13], 0
	s_set_vgpr_msb 1                        ;  msbs: dst=0 src0=1 src1=0 src2=0
	v_mov_b32_e32 v3, v8 /*v264*/
	s_xor_b32 exec_lo, exec_lo, s69
	s_set_vgpr_msb 0                        ;  msbs: dst=0 src0=0 src1=0 src2=0
	s_cbranch_execz .LBB52_78
; %bb.77:                               ;   in Loop: Header=BB52_4 Depth=1
	s_set_vgpr_msb 1                        ;  msbs: dst=0 src0=1 src1=0 src2=0
	ds_load_b128 v[10:13], v16 /*v272*/ offset:528
	v_mov_b32_e32 v3, v30 /*v286*/
	s_or_b32 s68, s68, exec_lo
	s_wait_dscnt 0x0
	v_xor_b32_e32 v13, 0x80000000, v13
	ds_store_b64 v30 /*v286*/, v[10:11]
.LBB52_78:                              ;   in Loop: Header=BB52_4 Depth=1
	s_or_b32 exec_lo, exec_lo, s69
	s_and_saveexec_b32 s69, s68
; %bb.79:                               ;   in Loop: Header=BB52_4 Depth=1
	s_set_vgpr_msb 0                        ;  msbs: dst=0 src0=0 src1=0 src2=0
	ds_store_b64 v3, v[12:13] offset:8
; %bb.80:                               ;   in Loop: Header=BB52_4 Depth=1
	s_or_b32 exec_lo, exec_lo, s69
	s_mov_b32 s68, 0
	s_and_saveexec_b32 s69, s10
	s_delay_alu instid0(SALU_CYCLE_1)
	s_xor_b32 s69, exec_lo, s69
; %bb.81:                               ;   in Loop: Header=BB52_4 Depth=1
	s_and_b32 s68, s11, exec_lo
; %bb.82:                               ;   in Loop: Header=BB52_4 Depth=1
	s_or_saveexec_b32 s69, s69
	v_mov_b64_e32 v[12:13], 0
	s_set_vgpr_msb 1                        ;  msbs: dst=0 src0=1 src1=0 src2=0
	v_mov_b32_e32 v3, v8 /*v264*/
	s_xor_b32 exec_lo, exec_lo, s69
	s_set_vgpr_msb 0                        ;  msbs: dst=0 src0=0 src1=0 src2=0
	s_cbranch_execz .LBB52_84
; %bb.83:                               ;   in Loop: Header=BB52_4 Depth=1
	s_set_vgpr_msb 1                        ;  msbs: dst=0 src0=1 src1=0 src2=0
	ds_load_b128 v[10:13], v16 /*v272*/ offset:1056
	v_mov_b32_e32 v3, v31 /*v287*/
	s_or_b32 s68, s68, exec_lo
	s_wait_dscnt 0x0
	v_xor_b32_e32 v13, 0x80000000, v13
	ds_store_b64 v31 /*v287*/, v[10:11]
.LBB52_84:                              ;   in Loop: Header=BB52_4 Depth=1
	s_or_b32 exec_lo, exec_lo, s69
	s_and_saveexec_b32 s69, s68
; %bb.85:                               ;   in Loop: Header=BB52_4 Depth=1
	s_set_vgpr_msb 0                        ;  msbs: dst=0 src0=0 src1=0 src2=0
	ds_store_b64 v3, v[12:13] offset:8
; %bb.86:                               ;   in Loop: Header=BB52_4 Depth=1
	s_or_b32 exec_lo, exec_lo, s69
	s_wait_dscnt 0x0
	s_barrier_signal -1
	s_barrier_wait -1
	s_set_vgpr_msb 1                        ;  msbs: dst=0 src0=1 src1=0 src2=0
	ds_load_b128 v[10:13], v15 /*v271*/
	ds_load_b128 v[16:19], v14 /*v270*/ offset:512
	ds_load_b128 v[20:23], v14 /*v270*/ offset:528
	ds_load_b128 v[24:27], v16 /*v272*/
	s_wait_dscnt 0x2
	s_set_vgpr_msb 0                        ;  msbs: dst=0 src0=0 src1=0 src2=0
	v_mul_f64_e32 v[4:5], v[18:19], v[12:13]
	v_mul_f64_e32 v[34:35], v[16:17], v[12:13]
	s_wait_dscnt 0x0
	v_mul_f64_e32 v[36:37], v[22:23], v[26:27]
	v_mul_f64_e32 v[38:39], v[20:21], v[26:27]
	s_delay_alu instid0(VALU_DEP_4) | instskip(NEXT) | instid1(VALU_DEP_4)
	v_fma_f64 v[4:5], v[16:17], v[10:11], -v[4:5]
	v_fmac_f64_e32 v[34:35], v[18:19], v[10:11]
	s_set_vgpr_msb 1                        ;  msbs: dst=0 src0=1 src1=0 src2=0
	ds_load_b128 v[10:13], v16 /*v272*/ offset:528
	ds_load_b128 v[16:19], v14 /*v270*/ offset:544
	;; [unrolled: 1-line block ×4, first 2 shown]
	s_set_vgpr_msb 0                        ;  msbs: dst=0 src0=0 src1=0 src2=0
	v_fma_f64 v[20:21], v[20:21], v[24:25], -v[36:37]
	v_fmac_f64_e32 v[38:39], v[22:23], v[24:25]
	s_wait_dscnt 0x0
	s_barrier_signal -1
	s_barrier_wait -1
	v_mul_f64_e32 v[40:41], v[18:19], v[12:13]
	v_mul_f64_e32 v[12:13], v[16:17], v[12:13]
	;; [unrolled: 1-line block ×4, first 2 shown]
	v_add_f64_e32 v[4:5], 0, v[4:5]
	v_add_f64_e32 v[22:23], 0, v[34:35]
	v_fma_f64 v[16:17], v[16:17], v[10:11], -v[40:41]
	v_fmac_f64_e32 v[12:13], v[18:19], v[10:11]
	v_fma_f64 v[18:19], v[26:27], v[30:31], -v[24:25]
	v_fmac_f64_e32 v[32:33], v[28:29], v[30:31]
	v_add_f64_e32 v[4:5], v[4:5], v[20:21]
	v_add_f64_e32 v[10:11], v[22:23], v[38:39]
	s_delay_alu instid0(VALU_DEP_2) | instskip(NEXT) | instid1(VALU_DEP_2)
	v_add_f64_e32 v[4:5], v[4:5], v[16:17]
	v_add_f64_e32 v[12:13], v[10:11], v[12:13]
	s_delay_alu instid0(VALU_DEP_2) | instskip(NEXT) | instid1(VALU_DEP_2)
	v_add_f64_e32 v[10:11], v[4:5], v[18:19]
	v_add_f64_e32 v[12:13], v[12:13], v[32:33]
	s_set_vgpr_msb 1                        ;  msbs: dst=0 src0=1 src1=0 src2=0
	ds_store_b128 v22 /*v278*/, v[10:13]
	s_wait_dscnt 0x0
	s_barrier_signal -1
	s_barrier_wait -1
	s_and_saveexec_b32 s68, s21
	s_set_vgpr_msb 0                        ;  msbs: dst=0 src0=0 src1=0 src2=0
	s_cbranch_execz .LBB52_88
; %bb.87:                               ;   in Loop: Header=BB52_4 Depth=1
	s_set_vgpr_msb 1                        ;  msbs: dst=0 src0=1 src1=0 src2=0
	ds_load_b128 v[4:7], v17 /*v273*/
	ds_load_b128 v[8:11], v17 /*v273*/ offset:16
	s_wait_dscnt 0x0
	s_set_vgpr_msb 0                        ;  msbs: dst=0 src0=0 src1=0 src2=0
	v_add_f64_e32 v[12:13], v[8:9], v[4:5]
	v_add_f64_e32 v[16:17], v[10:11], v[6:7]
	s_set_vgpr_msb 1                        ;  msbs: dst=0 src0=1 src1=0 src2=0
	ds_load_b128 v[4:7], v17 /*v273*/ offset:32
	ds_load_b128 v[8:11], v17 /*v273*/ offset:48
	s_wait_dscnt 0x1
	s_set_vgpr_msb 0                        ;  msbs: dst=0 src0=0 src1=0 src2=0
	v_add_f64_e32 v[4:5], v[12:13], v[4:5]
	v_add_f64_e32 v[6:7], v[16:17], v[6:7]
	s_wait_dscnt 0x0
	s_delay_alu instid0(VALU_DEP_2) | instskip(NEXT) | instid1(VALU_DEP_2)
	v_add_f64_e32 v[12:13], v[4:5], v[8:9]
	v_add_f64_e32 v[16:17], v[6:7], v[10:11]
	s_set_vgpr_msb 1                        ;  msbs: dst=0 src0=1 src1=0 src2=0
	ds_load_b128 v[4:7], v17 /*v273*/ offset:64
	ds_load_b128 v[8:11], v17 /*v273*/ offset:80
	s_wait_dscnt 0x1
	s_set_vgpr_msb 0                        ;  msbs: dst=0 src0=0 src1=0 src2=0
	v_add_f64_e32 v[4:5], v[12:13], v[4:5]
	v_add_f64_e32 v[6:7], v[16:17], v[6:7]
	s_wait_dscnt 0x0
	s_delay_alu instid0(VALU_DEP_2) | instskip(NEXT) | instid1(VALU_DEP_2)
	v_add_f64_e32 v[12:13], v[4:5], v[8:9]
	v_add_f64_e32 v[16:17], v[6:7], v[10:11]
	s_set_vgpr_msb 1                        ;  msbs: dst=0 src0=1 src1=0 src2=0
	ds_load_b128 v[4:7], v17 /*v273*/ offset:96
	ds_load_b128 v[8:11], v17 /*v273*/ offset:112
	s_wait_dscnt 0x1
	s_set_vgpr_msb 0                        ;  msbs: dst=0 src0=0 src1=0 src2=0
	v_add_f64_e32 v[4:5], v[12:13], v[4:5]
	v_add_f64_e32 v[12:13], v[16:17], v[6:7]
	s_wait_dscnt 0x0
	s_delay_alu instid0(VALU_DEP_2) | instskip(NEXT) | instid1(VALU_DEP_2)
	v_add_f64_e32 v[6:7], v[4:5], v[8:9]
	v_add_f64_e32 v[8:9], v[12:13], v[10:11]
.LBB52_88:                              ;   in Loop: Header=BB52_4 Depth=1
	s_or_b32 exec_lo, exec_lo, s68
	v_add_nc_u64_e32 v[10:11], s[62:63], v[14:15]
	s_and_b32 vcc_lo, exec_lo, s74
	s_mov_b32 s68, -1
	s_barrier_signal -1
	s_barrier_wait -1
                                        ; implicit-def: $vgpr4_vgpr5
	s_cbranch_vccz .LBB52_100
; %bb.89:                               ;   in Loop: Header=BB52_4 Depth=1
	s_and_saveexec_b32 s68, s20
	s_delay_alu instid0(SALU_CYCLE_1)
	s_xor_b32 s68, exec_lo, s68
; %bb.90:                               ;   in Loop: Header=BB52_4 Depth=1
	v_dual_mov_b32 v3, v2 :: v_dual_mov_b32 v4, v2
	v_mov_b32_e32 v5, v2
	s_set_vgpr_msb 1                        ;  msbs: dst=0 src0=1 src1=0 src2=0
	ds_store_b128 v7 /*v263*/, v[2:5]
; %bb.91:                               ;   in Loop: Header=BB52_4 Depth=1
	s_or_saveexec_b32 s68, s68
	s_set_vgpr_msb 0                        ;  msbs: dst=0 src0=0 src1=0 src2=0
	v_lshl_add_u64 v[4:5], v[224:225], 4, v[14:15]
	s_delay_alu instid0(VALU_DEP_1) | instskip(NEXT) | instid1(VALU_DEP_1)
	v_lshl_add_u64 v[4:5], s[42:43], 4, v[4:5]
	v_add_nc_u64_e32 v[4:5], s[64:65], v[4:5]
	s_delay_alu instid0(VALU_DEP_1)
	v_dual_cndmask_b32 v13, v5, v11, s1 :: v_dual_cndmask_b32 v12, v4, v10, s1
	s_xor_b32 exec_lo, exec_lo, s68
	s_cbranch_execnz .LBB52_182
; %bb.92:                               ;   in Loop: Header=BB52_4 Depth=1
	s_or_b32 exec_lo, exec_lo, s68
	s_and_saveexec_b32 s68, s13
	s_delay_alu instid0(SALU_CYCLE_1)
	s_xor_b32 s68, exec_lo, s68
	s_cbranch_execnz .LBB52_183
.LBB52_93:                              ;   in Loop: Header=BB52_4 Depth=1
	s_and_not1_saveexec_b32 s68, s68
	s_cbranch_execnz .LBB52_184
.LBB52_94:                              ;   in Loop: Header=BB52_4 Depth=1
	s_or_b32 exec_lo, exec_lo, s68
	s_and_saveexec_b32 s68, s16
	s_delay_alu instid0(SALU_CYCLE_1)
	s_xor_b32 s68, exec_lo, s68
	s_cbranch_execnz .LBB52_185
.LBB52_95:                              ;   in Loop: Header=BB52_4 Depth=1
	s_and_not1_saveexec_b32 s68, s68
	s_cbranch_execnz .LBB52_186
.LBB52_96:                              ;   in Loop: Header=BB52_4 Depth=1
	s_or_b32 exec_lo, exec_lo, s68
	s_and_saveexec_b32 s68, s17
	s_delay_alu instid0(SALU_CYCLE_1)
	s_xor_b32 s68, exec_lo, s68
	s_cbranch_execnz .LBB52_187
.LBB52_97:                              ;   in Loop: Header=BB52_4 Depth=1
	s_and_not1_saveexec_b32 s68, s68
	s_cbranch_execz .LBB52_99
.LBB52_98:                              ;   in Loop: Header=BB52_4 Depth=1
	v_add_nc_u64_e32 v[4:5], s[52:53], v[12:13]
	flat_load_b128 v[16:19], v[4:5]
	s_wait_loadcnt_dscnt 0x0
	s_set_vgpr_msb 1                        ;  msbs: dst=0 src0=1 src1=0 src2=0
	ds_store_2addr_b64 v28 /*v284*/, v[16:17], v[18:19] offset1:1
.LBB52_99:                              ;   in Loop: Header=BB52_4 Depth=1
	s_wait_xcnt 0x0
	s_or_b32 exec_lo, exec_lo, s68
	s_set_vgpr_msb 0                        ;  msbs: dst=0 src0=0 src1=0 src2=0
	v_mov_b32_e32 v227, v2
	s_mov_b32 s68, 0
	s_delay_alu instid0(VALU_DEP_1) | instskip(NEXT) | instid1(VALU_DEP_1)
	v_add_nc_u64_e32 v[4:5], v[12:13], v[226:227]
	v_lshl_add_u64 v[4:5], s[58:59], 4, v[4:5]
	s_delay_alu instid0(VALU_DEP_1) | instskip(NEXT) | instid1(VALU_DEP_1)
	v_add_nc_u64_e32 v[4:5], 16, v[4:5]
	v_dual_cndmask_b32 v5, v5, v11, s1 :: v_dual_cndmask_b32 v4, v4, v10, s1
.LBB52_100:                             ;   in Loop: Header=BB52_4 Depth=1
	s_and_b32 vcc_lo, exec_lo, s68
	s_cbranch_vccz .LBB52_102
; %bb.101:                              ;   in Loop: Header=BB52_4 Depth=1
	flat_load_b128 v[16:19], v[10:11]
	v_add_nc_u64_e32 v[4:5], s[48:49], v[14:15]
	s_wait_loadcnt_dscnt 0x0
	s_set_vgpr_msb 1                        ;  msbs: dst=0 src0=1 src1=0 src2=0
	ds_store_2addr_b64 v7 /*v263*/, v[16:17], v[18:19] offset1:1
	s_set_vgpr_msb 0                        ;  msbs: dst=0 src0=0 src1=0 src2=0
	flat_load_b128 v[12:15], v[4:5] offset:-512
	s_wait_xcnt 0x0
	v_add_nc_u64_e32 v[4:5], s[48:49], v[4:5]
	s_wait_loadcnt_dscnt 0x0
	s_set_vgpr_msb 1                        ;  msbs: dst=0 src0=1 src1=0 src2=0
	ds_store_2addr_b64 v26 /*v282*/, v[12:13], v[14:15] offset1:1
	s_set_vgpr_msb 0                        ;  msbs: dst=0 src0=0 src1=0 src2=0
	flat_load_b128 v[12:15], v[4:5] offset:-512
	s_wait_xcnt 0x0
	;; [unrolled: 7-line block ×3, first 2 shown]
	v_mov_b64_e32 v[4:5], v[10:11]
	s_wait_loadcnt_dscnt 0x0
	s_set_vgpr_msb 1                        ;  msbs: dst=0 src0=1 src1=0 src2=0
	ds_store_2addr_b64 v28 /*v284*/, v[12:13], v[14:15] offset1:1
.LBB52_102:                             ;   in Loop: Header=BB52_4 Depth=1
	s_set_vgpr_msb 5                        ;  msbs: dst=0 src0=1 src1=1 src2=0
	v_dual_add_nc_u32 v3, v9 /*v265*/, v18 /*v274*/ :: v_dual_add_nc_u32 v14, v14 /*v270*/, v18 /*v274*/
	s_wait_dscnt 0x0
	s_barrier_signal -1
	s_barrier_wait -1
	s_set_vgpr_msb 0                        ;  msbs: dst=0 src0=0 src1=0 src2=0
	ds_load_b128 v[10:13], v3
	ds_load_b128 v[14:17], v14
	s_set_vgpr_msb 1                        ;  msbs: dst=0 src0=1 src1=0 src2=0
	ds_load_b128 v[18:21], v23 /*v279*/ offset:128
	ds_load_b128 v[22:25], v22 /*v278*/ offset:128
	;; [unrolled: 1-line block ×4, first 2 shown]
	s_wait_dscnt 0x2
	s_set_vgpr_msb 0                        ;  msbs: dst=0 src0=0 src1=0 src2=0
	v_mul_f64_e32 v[36:37], v[24:25], v[20:21]
	v_mul_f64_e32 v[34:35], v[12:13], v[16:17]
	;; [unrolled: 1-line block ×4, first 2 shown]
	s_delay_alu instid0(VALU_DEP_4) | instskip(NEXT) | instid1(VALU_DEP_4)
	v_fmac_f64_e32 v[36:37], v[22:23], v[18:19]
	v_fmac_f64_e32 v[34:35], v[10:11], v[14:15]
	s_delay_alu instid0(VALU_DEP_4)
	v_fma_f64 v[38:39], v[10:11], v[16:17], -v[12:13]
	s_set_vgpr_msb 1                        ;  msbs: dst=0 src0=1 src1=0 src2=0
	ds_load_b128 v[10:13], v23 /*v279*/ offset:256
	ds_load_b128 v[14:17], v23 /*v279*/ offset:384
	s_set_vgpr_msb 0                        ;  msbs: dst=0 src0=0 src1=0 src2=0
	v_fma_f64 v[18:19], v[22:23], v[20:21], -v[24:25]
	s_wait_dscnt 0x1
	v_mul_f64_e32 v[40:41], v[28:29], v[12:13]
	v_mul_f64_e32 v[28:29], v[28:29], v[10:11]
	s_wait_dscnt 0x0
	v_mul_f64_e32 v[24:25], v[32:33], v[16:17]
	v_mul_f64_e32 v[32:33], v[32:33], v[14:15]
	v_add_f64_e32 v[20:21], 0, v[34:35]
	v_add_f64_e32 v[22:23], 0, v[38:39]
	v_fmac_f64_e32 v[40:41], v[26:27], v[10:11]
	v_fma_f64 v[10:11], v[26:27], v[12:13], -v[28:29]
	v_fmac_f64_e32 v[24:25], v[30:31], v[14:15]
	v_fma_f64 v[14:15], v[30:31], v[16:17], -v[32:33]
	v_add_f64_e32 v[12:13], v[20:21], v[36:37]
	v_add_f64_e32 v[18:19], v[22:23], v[18:19]
	s_delay_alu instid0(VALU_DEP_2) | instskip(NEXT) | instid1(VALU_DEP_2)
	v_add_f64_e32 v[12:13], v[12:13], v[40:41]
	v_add_f64_e32 v[10:11], v[18:19], v[10:11]
	s_delay_alu instid0(VALU_DEP_2) | instskip(NEXT) | instid1(VALU_DEP_2)
	v_add_f64_e32 v[44:45], v[12:13], v[24:25]
	v_add_f64_e32 v[46:47], v[10:11], v[14:15]
	s_set_vgpr_msb 1                        ;  msbs: dst=0 src0=1 src1=0 src2=0
	ds_load_b128 v[34:37], v14 /*v270*/ offset:512
	ds_load_b128 v[26:29], v14 /*v270*/ offset:528
	;; [unrolled: 1-line block ×4, first 2 shown]
	ds_load_b128 v[38:41], v15 /*v271*/
	ds_load_b128 v[30:33], v16 /*v272*/
	ds_load_b128 v[22:25], v16 /*v272*/ offset:528
	ds_load_b128 v[18:21], v16 /*v272*/ offset:1056
	s_wait_dscnt 0x0
	s_barrier_signal -1
	s_barrier_wait -1
	ds_store_b128 v22 /*v278*/, v[44:47]
	s_wait_dscnt 0x0
	s_barrier_signal -1
	s_barrier_wait -1
	s_and_saveexec_b32 s68, s21
	s_set_vgpr_msb 0                        ;  msbs: dst=0 src0=0 src1=0 src2=0
	s_cbranch_execz .LBB52_104
; %bb.103:                              ;   in Loop: Header=BB52_4 Depth=1
	s_set_vgpr_msb 1                        ;  msbs: dst=0 src0=1 src1=0 src2=0
	ds_load_b128 v[44:47], v17 /*v273*/
	ds_load_b128 v[48:51], v17 /*v273*/ offset:16
	s_wait_dscnt 0x1
	s_set_vgpr_msb 0                        ;  msbs: dst=0 src0=0 src1=0 src2=0
	v_add_f64_e32 v[6:7], v[6:7], v[44:45]
	v_add_f64_e32 v[8:9], v[8:9], v[46:47]
	s_wait_dscnt 0x0
	s_delay_alu instid0(VALU_DEP_2) | instskip(NEXT) | instid1(VALU_DEP_2)
	v_add_f64_e32 v[48:49], v[6:7], v[48:49]
	v_add_f64_e32 v[50:51], v[8:9], v[50:51]
	s_set_vgpr_msb 1                        ;  msbs: dst=0 src0=1 src1=0 src2=0
	ds_load_b128 v[6:9], v17 /*v273*/ offset:32
	ds_load_b128 v[44:47], v17 /*v273*/ offset:48
	s_wait_dscnt 0x1
	s_set_vgpr_msb 0                        ;  msbs: dst=0 src0=0 src1=0 src2=0
	v_add_f64_e32 v[6:7], v[48:49], v[6:7]
	v_add_f64_e32 v[8:9], v[50:51], v[8:9]
	s_wait_dscnt 0x0
	s_delay_alu instid0(VALU_DEP_2) | instskip(NEXT) | instid1(VALU_DEP_2)
	v_add_f64_e32 v[48:49], v[6:7], v[44:45]
	v_add_f64_e32 v[50:51], v[8:9], v[46:47]
	s_set_vgpr_msb 1                        ;  msbs: dst=0 src0=1 src1=0 src2=0
	ds_load_b128 v[6:9], v17 /*v273*/ offset:64
	;; [unrolled: 11-line block ×3, first 2 shown]
	ds_load_b128 v[44:47], v17 /*v273*/ offset:112
	s_wait_dscnt 0x1
	s_set_vgpr_msb 0                        ;  msbs: dst=0 src0=0 src1=0 src2=0
	v_add_f64_e32 v[6:7], v[48:49], v[6:7]
	v_add_f64_e32 v[8:9], v[50:51], v[8:9]
	s_wait_dscnt 0x0
	s_delay_alu instid0(VALU_DEP_2) | instskip(NEXT) | instid1(VALU_DEP_2)
	v_add_f64_e32 v[6:7], v[6:7], v[44:45]
	v_add_f64_e32 v[8:9], v[8:9], v[46:47]
.LBB52_104:                             ;   in Loop: Header=BB52_4 Depth=1
	s_or_b32 exec_lo, exec_lo, s68
	v_mul_f64_e32 v[44:45], v[36:37], v[40:41]
	v_mul_f64_e32 v[40:41], v[34:35], v[40:41]
	;; [unrolled: 1-line block ×4, first 2 shown]
	s_barrier_signal -1
	s_barrier_wait -1
	s_delay_alu instid0(VALU_DEP_4) | instskip(NEXT) | instid1(VALU_DEP_4)
	v_fma_f64 v[34:35], v[34:35], v[38:39], -v[44:45]
	v_fmac_f64_e32 v[40:41], v[36:37], v[38:39]
	v_mul_f64_e32 v[36:37], v[16:17], v[24:25]
	v_mul_f64_e32 v[24:25], v[14:15], v[24:25]
	v_fma_f64 v[26:27], v[26:27], v[30:31], -v[46:47]
	v_fmac_f64_e32 v[32:33], v[28:29], v[30:31]
	v_add_f64_e32 v[28:29], 0, v[34:35]
	v_add_f64_e32 v[30:31], 0, v[40:41]
	v_mul_f64_e32 v[34:35], v[12:13], v[20:21]
	v_mul_f64_e32 v[20:21], v[10:11], v[20:21]
	v_fma_f64 v[14:15], v[14:15], v[22:23], -v[36:37]
	v_fmac_f64_e32 v[24:25], v[16:17], v[22:23]
	v_add_f64_e32 v[16:17], v[28:29], v[26:27]
	v_add_f64_e32 v[22:23], v[30:31], v[32:33]
	v_fma_f64 v[10:11], v[10:11], v[18:19], -v[34:35]
	v_fmac_f64_e32 v[20:21], v[12:13], v[18:19]
	s_delay_alu instid0(VALU_DEP_4) | instskip(NEXT) | instid1(VALU_DEP_4)
	v_add_f64_e32 v[12:13], v[16:17], v[14:15]
	v_add_f64_e32 v[14:15], v[22:23], v[24:25]
	s_delay_alu instid0(VALU_DEP_2) | instskip(NEXT) | instid1(VALU_DEP_2)
	v_add_f64_e32 v[10:11], v[12:13], v[10:11]
	v_add_f64_e32 v[12:13], v[14:15], v[20:21]
	s_set_vgpr_msb 1                        ;  msbs: dst=0 src0=1 src1=0 src2=0
	ds_store_b128 v22 /*v278*/, v[10:13]
	s_wait_dscnt 0x0
	s_barrier_signal -1
	s_barrier_wait -1
	s_and_saveexec_b32 s68, s15
	s_set_vgpr_msb 0                        ;  msbs: dst=0 src0=0 src1=0 src2=0
	s_cbranch_execz .LBB52_106
; %bb.105:                              ;   in Loop: Header=BB52_4 Depth=1
	s_set_vgpr_msb 1                        ;  msbs: dst=0 src0=1 src1=0 src2=0
	ds_load_b128 v[10:13], v17 /*v273*/
	ds_load_b128 v[14:17], v17 /*v273*/ offset:16
	s_wait_dscnt 0x1
	s_set_vgpr_msb 0                        ;  msbs: dst=0 src0=0 src1=0 src2=0
	v_add_f64_e32 v[6:7], v[6:7], v[10:11]
	v_add_f64_e32 v[8:9], v[8:9], v[12:13]
	s_wait_dscnt 0x0
	s_delay_alu instid0(VALU_DEP_2) | instskip(NEXT) | instid1(VALU_DEP_2)
	v_add_f64_e32 v[14:15], v[6:7], v[14:15]
	v_add_f64_e32 v[16:17], v[8:9], v[16:17]
	s_set_vgpr_msb 1                        ;  msbs: dst=0 src0=1 src1=0 src2=0
	ds_load_b128 v[6:9], v17 /*v273*/ offset:32
	ds_load_b128 v[10:13], v17 /*v273*/ offset:48
	s_wait_dscnt 0x1
	s_set_vgpr_msb 0                        ;  msbs: dst=0 src0=0 src1=0 src2=0
	v_add_f64_e32 v[6:7], v[14:15], v[6:7]
	v_add_f64_e32 v[8:9], v[16:17], v[8:9]
	s_wait_dscnt 0x0
	s_delay_alu instid0(VALU_DEP_2) | instskip(NEXT) | instid1(VALU_DEP_2)
	v_add_f64_e32 v[14:15], v[6:7], v[10:11]
	v_add_f64_e32 v[16:17], v[8:9], v[12:13]
	s_set_vgpr_msb 1                        ;  msbs: dst=0 src0=1 src1=0 src2=0
	ds_load_b128 v[6:9], v17 /*v273*/ offset:64
	;; [unrolled: 11-line block ×3, first 2 shown]
	ds_load_b128 v[10:13], v17 /*v273*/ offset:112
	s_wait_dscnt 0x1
	s_set_vgpr_msb 0                        ;  msbs: dst=0 src0=0 src1=0 src2=0
	v_add_f64_e32 v[6:7], v[14:15], v[6:7]
	v_add_f64_e32 v[8:9], v[16:17], v[8:9]
	s_wait_dscnt 0x0
	s_delay_alu instid0(VALU_DEP_2) | instskip(NEXT) | instid1(VALU_DEP_2)
	v_add_f64_e32 v[6:7], v[6:7], v[10:11]
	v_add_f64_e32 v[8:9], v[8:9], v[12:13]
.LBB52_106:                             ;   in Loop: Header=BB52_4 Depth=1
	s_or_b32 exec_lo, exec_lo, s68
	s_mul_u64 s[68:69], s[40:41], s[22:23]
	s_and_not1_b32 vcc_lo, exec_lo, s75
	s_lshl_b64 s[68:69], s[68:69], 4
	s_delay_alu instid0(SALU_CYCLE_1)
	s_add_nc_u64 s[68:69], s[46:47], s[68:69]
	s_barrier_signal -1
	s_barrier_wait -1
	s_cbranch_vccnz .LBB52_164
; %bb.107:                              ;   in Loop: Header=BB52_4 Depth=1
	v_add_nc_u64_e32 v[228:229], v[4:5], v[192:193]
	v_add_nc_u64_e32 v[230:231], v[4:5], v[194:195]
	;; [unrolled: 1-line block ×14, first 2 shown]
	s_set_vgpr_msb 64                       ;  msbs: dst=1 src0=0 src1=0 src2=0
	v_add_nc_u64_e32 v[0:1] /*v[256:257]*/, v[4:5], v[220:221]
	v_add_nc_u64_e32 v[2:3] /*v[258:259]*/, v[4:5], v[222:223]
	v_lshl_add_u64 v[4:5] /*v[260:261]*/, s[56:57], 4, v[42:43]
	s_mov_b32 s70, s78
	s_mov_b32 s79, s38
	s_delay_alu instid0(SALU_CYCLE_1)
	s_cmp_eq_u32 s76, s79
	s_cselect_b32 s80, s37, 0
	s_and_saveexec_b32 s81, s0
	s_set_vgpr_msb 0                        ;  msbs: dst=0 src0=0 src1=0 src2=0
	s_cbranch_execz .LBB52_112
.LBB52_108:                             ;   in Loop: Header=BB52_4 Depth=1
	s_set_vgpr_msb 4                        ;  msbs: dst=0 src0=0 src1=1 src2=0
	v_cmp_le_i32_e32 vcc_lo, s80, v6 /*v262*/
	s_cmp_lg_u32 s80, 0
	s_cselect_b32 s71, -1, 0
	s_delay_alu instid0(SALU_CYCLE_1) | instskip(NEXT) | instid1(SALU_CYCLE_1)
	s_and_b32 s71, s71, vcc_lo
	s_and_saveexec_b32 s82, s71
	s_delay_alu instid0(SALU_CYCLE_1)
	s_xor_b32 s71, exec_lo, s82
; %bb.109:                              ;   in Loop: Header=BB52_4 Depth=1
	v_dual_mov_b32 v3, v2 :: v_dual_mov_b32 v4, v2
	v_mov_b32_e32 v5, v2
	s_set_vgpr_msb 1                        ;  msbs: dst=0 src0=1 src1=0 src2=0
	ds_store_b128 v32 /*v288*/, v[2:5]
; %bb.110:                              ;   in Loop: Header=BB52_4 Depth=1
	s_and_not1_saveexec_b32 s71, s71
	s_set_vgpr_msb 0                        ;  msbs: dst=0 src0=0 src1=0 src2=0
	s_cbranch_execz .LBB52_112
; %bb.111:                              ;   in Loop: Header=BB52_4 Depth=1
	s_ashr_i32 s71, s70, 31
	s_delay_alu instid0(SALU_CYCLE_1)
	s_mul_u64 s[82:83], s[34:35], s[70:71]
	s_set_vgpr_msb 16                       ;  msbs: dst=0 src0=0 src1=0 src2=1
	v_lshl_add_u64 v[4:5], s[82:83], 4, v[4:5] /*v[260:261]*/
	flat_load_b128 v[10:13], v[4:5]
	s_wait_loadcnt_dscnt 0x0
	s_set_vgpr_msb 1                        ;  msbs: dst=0 src0=1 src1=0 src2=0
	ds_store_2addr_b64 v32 /*v288*/, v[10:11], v[12:13] offset1:1
.LBB52_112:                             ;   Parent Loop BB52_4 Depth=1
                                        ; =>  This Inner Loop Header: Depth=2
	s_wait_xcnt 0x0
	s_or_b32 exec_lo, exec_lo, s81
	s_cmp_eq_u32 s80, 0
	s_set_vgpr_msb 0                        ;  msbs: dst=0 src0=0 src1=0 src2=0
	v_add_nc_u64_e32 v[4:5], v[236:237], v[186:187]
	s_cselect_b32 s71, -1, 0
	s_cmp_lg_u32 s80, 0
	s_wait_dscnt 0x0
	s_cselect_b32 s81, -1, 0
	s_barrier_signal -1
	s_and_b32 vcc_lo, exec_lo, s81
	s_barrier_wait -1
	s_cbranch_vccz .LBB52_120
; %bb.113:                              ;   in Loop: Header=BB52_112 Depth=2
	v_mov_b64_e32 v[10:11], 0
	v_mov_b64_e32 v[14:15], 0
	;; [unrolled: 1-line block ×3, first 2 shown]
	s_mov_b32 s82, exec_lo
	s_set_vgpr_msb 4                        ;  msbs: dst=0 src0=0 src1=1 src2=0
	v_cmpx_gt_i32_e64 s80, v19 /*v275*/
	s_set_vgpr_msb 0                        ;  msbs: dst=0 src0=0 src1=0 src2=0
	s_cbranch_execz .LBB52_115
; %bb.114:                              ;   in Loop: Header=BB52_112 Depth=2
	flat_load_b128 v[14:17], v[4:5]
.LBB52_115:                             ;   in Loop: Header=BB52_112 Depth=2
	s_wait_xcnt 0x0
	s_or_b32 exec_lo, exec_lo, s82
	v_mov_b64_e32 v[12:13], 0
	s_mov_b32 s82, exec_lo
	s_set_vgpr_msb 4                        ;  msbs: dst=0 src0=0 src1=1 src2=0
	v_cmpx_gt_i32_e64 s80, v33 /*v289*/
	s_set_vgpr_msb 0                        ;  msbs: dst=0 src0=0 src1=0 src2=0
	s_cbranch_execz .LBB52_117
; %bb.116:                              ;   in Loop: Header=BB52_112 Depth=2
	v_add_nc_u64_e32 v[10:11], v[232:233], v[186:187]
	flat_load_b128 v[10:13], v[10:11]
.LBB52_117:                             ;   in Loop: Header=BB52_112 Depth=2
	s_wait_xcnt 0x0
	s_or_b32 exec_lo, exec_lo, s82
	v_mov_b64_e32 v[18:19], 0
	v_mov_b64_e32 v[20:21], 0
	s_mov_b32 s82, exec_lo
	s_set_vgpr_msb 4                        ;  msbs: dst=0 src0=0 src1=1 src2=0
	v_cmpx_gt_i32_e64 s80, v34 /*v290*/
	s_set_vgpr_msb 0                        ;  msbs: dst=0 src0=0 src1=0 src2=0
	s_cbranch_execz .LBB52_119
; %bb.118:                              ;   in Loop: Header=BB52_112 Depth=2
	v_add_nc_u64_e32 v[18:19], v[228:229], v[186:187]
	flat_load_b128 v[18:21], v[18:19] offset:-8
.LBB52_119:                             ;   in Loop: Header=BB52_112 Depth=2
	s_wait_xcnt 0x0
	s_or_b32 exec_lo, exec_lo, s82
	s_set_vgpr_msb 4                        ;  msbs: dst=0 src0=0 src1=1 src2=0
	v_cmp_gt_i32_e64 s82, s80, v35 /*v291*/
	s_set_vgpr_msb 0                        ;  msbs: dst=0 src0=0 src1=0 src2=0
	s_branch .LBB52_122
.LBB52_120:                             ;   in Loop: Header=BB52_112 Depth=2
	s_mov_b32 s82, 0
                                        ; implicit-def: $vgpr20_vgpr21
                                        ; implicit-def: $vgpr12_vgpr13
                                        ; implicit-def: $vgpr16_vgpr17
	s_cbranch_execz .LBB52_122
; %bb.121:                              ;   in Loop: Header=BB52_112 Depth=2
	s_wait_loadcnt_dscnt 0x0
	v_add_nc_u64_e32 v[10:11], v[232:233], v[186:187]
	v_add_nc_u64_e32 v[18:19], v[228:229], v[186:187]
	s_or_b32 s82, s82, exec_lo
	flat_load_b128 v[14:17], v[4:5]
	flat_load_b128 v[10:13], v[10:11]
	flat_load_b128 v[18:21], v[18:19] offset:-8
.LBB52_122:                             ;   in Loop: Header=BB52_112 Depth=2
	v_mov_b64_e32 v[22:23], 0
	v_mov_b64_e32 v[24:25], 0
	s_wait_xcnt 0x0
	s_and_saveexec_b32 s83, s82
	s_cbranch_execz .LBB52_124
; %bb.123:                              ;   in Loop: Header=BB52_112 Depth=2
	v_add_nc_u64_e32 v[4:5], v[240:241], v[186:187]
	flat_load_b128 v[22:25], v[4:5]
.LBB52_124:                             ;   in Loop: Header=BB52_112 Depth=2
	s_wait_xcnt 0x0
	s_or_b32 exec_lo, exec_lo, s83
	s_set_vgpr_msb 1                        ;  msbs: dst=0 src0=1 src1=0 src2=0
	ds_load_b128 v[30:33], v25 /*v281*/
	ds_load_b128 v[26:29], v10 /*v266*/
	v_cndmask_b32_e64 v3, 0, 1, s81
	s_and_not1_b32 vcc_lo, exec_lo, s81
	s_wait_loadcnt_dscnt 0x1
	s_set_vgpr_msb 0                        ;  msbs: dst=0 src0=0 src1=0 src2=0
	v_mul_f64_e32 v[42:43], v[16:17], v[32:33]
	v_mul_f64_e32 v[4:5], v[16:17], v[30:31]
	;; [unrolled: 1-line block ×8, first 2 shown]
	v_fmac_f64_e32 v[42:43], v[14:15], v[30:31]
	v_fma_f64 v[44:45], v[14:15], v[32:33], -v[4:5]
	v_fmac_f64_e32 v[46:47], v[10:11], v[30:31]
	v_fma_f64 v[48:49], v[10:11], v[32:33], -v[34:35]
	;; [unrolled: 2-line block ×4, first 2 shown]
	s_set_vgpr_msb 1                        ;  msbs: dst=0 src0=1 src1=0 src2=0
	ds_load_b128 v[38:41], v10 /*v266*/ offset:16
	ds_load_b128 v[34:37], v10 /*v266*/ offset:32
	;; [unrolled: 1-line block ×3, first 2 shown]
	s_set_vgpr_msb 0                        ;  msbs: dst=0 src0=0 src1=0 src2=0
	v_add_nc_u64_e32 v[4:5], v[252:253], v[186:187]
	s_set_vgpr_msb 1                        ;  msbs: dst=0 src0=1 src1=0 src2=0
	ds_store_b128 v20 /*v276*/, v[42:45]
	ds_store_b128 v20 /*v276*/, v[46:49] offset:1072
	ds_store_b128 v20 /*v276*/, v[50:53] offset:2144
	;; [unrolled: 1-line block ×3, first 2 shown]
	s_wait_dscnt 0x0
	s_barrier_signal -1
	s_barrier_wait -1
	ds_load_b128 v[98:101], v11 /*v267*/
	ds_load_b128 v[94:97], v11 /*v267*/ offset:16
	ds_load_b128 v[90:93], v11 /*v267*/ offset:32
	;; [unrolled: 1-line block ×3, first 2 shown]
	s_wait_dscnt 0x0
	s_barrier_signal -1
	s_barrier_wait -1
	s_set_vgpr_msb 0                        ;  msbs: dst=0 src0=0 src1=0 src2=0
	s_cbranch_vccnz .LBB52_132
; %bb.125:                              ;   in Loop: Header=BB52_112 Depth=2
	v_mov_b64_e32 v[42:43], 0
	v_mov_b64_e32 v[46:47], 0
	;; [unrolled: 1-line block ×3, first 2 shown]
	s_mov_b32 s81, exec_lo
	s_set_vgpr_msb 4                        ;  msbs: dst=0 src0=0 src1=1 src2=0
	v_cmpx_gt_i32_e64 s80, v36 /*v292*/
	s_set_vgpr_msb 0                        ;  msbs: dst=0 src0=0 src1=0 src2=0
	s_cbranch_execz .LBB52_127
; %bb.126:                              ;   in Loop: Header=BB52_112 Depth=2
	flat_load_b128 v[46:49], v[4:5]
.LBB52_127:                             ;   in Loop: Header=BB52_112 Depth=2
	s_wait_xcnt 0x0
	s_or_b32 exec_lo, exec_lo, s81
	v_mov_b64_e32 v[44:45], 0
	s_mov_b32 s81, exec_lo
	s_set_vgpr_msb 4                        ;  msbs: dst=0 src0=0 src1=1 src2=0
	v_cmpx_gt_i32_e64 s80, v37 /*v293*/
	s_set_vgpr_msb 0                        ;  msbs: dst=0 src0=0 src1=0 src2=0
	s_cbranch_execz .LBB52_129
; %bb.128:                              ;   in Loop: Header=BB52_112 Depth=2
	v_add_nc_u64_e32 v[42:43], v[248:249], v[186:187]
	flat_load_b128 v[42:45], v[42:43]
.LBB52_129:                             ;   in Loop: Header=BB52_112 Depth=2
	s_wait_xcnt 0x0
	s_or_b32 exec_lo, exec_lo, s81
	v_mov_b64_e32 v[50:51], 0
	v_mov_b64_e32 v[52:53], 0
	s_mov_b32 s81, exec_lo
	s_set_vgpr_msb 4                        ;  msbs: dst=0 src0=0 src1=1 src2=0
	v_cmpx_gt_i32_e64 s80, v38 /*v294*/
	s_set_vgpr_msb 0                        ;  msbs: dst=0 src0=0 src1=0 src2=0
	s_cbranch_execz .LBB52_131
; %bb.130:                              ;   in Loop: Header=BB52_112 Depth=2
	v_add_nc_u64_e32 v[50:51], v[244:245], v[186:187]
	flat_load_b128 v[50:53], v[50:51] offset:-8
.LBB52_131:                             ;   in Loop: Header=BB52_112 Depth=2
	s_wait_xcnt 0x0
	s_or_b32 exec_lo, exec_lo, s81
	s_set_vgpr_msb 4                        ;  msbs: dst=0 src0=0 src1=1 src2=0
	v_cmp_gt_i32_e64 s81, s80, v39 /*v295*/
	s_set_vgpr_msb 0                        ;  msbs: dst=0 src0=0 src1=0 src2=0
	s_branch .LBB52_134
.LBB52_132:                             ;   in Loop: Header=BB52_112 Depth=2
	s_mov_b32 s81, 0
                                        ; implicit-def: $vgpr52_vgpr53
                                        ; implicit-def: $vgpr44_vgpr45
                                        ; implicit-def: $vgpr48_vgpr49
	s_cbranch_execz .LBB52_134
; %bb.133:                              ;   in Loop: Header=BB52_112 Depth=2
	s_wait_loadcnt_dscnt 0x0
	v_add_nc_u64_e32 v[42:43], v[248:249], v[186:187]
	v_add_nc_u64_e32 v[50:51], v[244:245], v[186:187]
	s_or_b32 s81, s81, exec_lo
	flat_load_b128 v[46:49], v[4:5]
	flat_load_b128 v[42:45], v[42:43]
	flat_load_b128 v[50:53], v[50:51] offset:-8
.LBB52_134:                             ;   in Loop: Header=BB52_112 Depth=2
	v_mov_b64_e32 v[54:55], 0
	v_mov_b64_e32 v[56:57], 0
	s_wait_xcnt 0x0
	s_and_saveexec_b32 s82, s81
	s_cbranch_execz .LBB52_136
; %bb.135:                              ;   in Loop: Header=BB52_112 Depth=2
	s_set_vgpr_msb 1                        ;  msbs: dst=0 src0=1 src1=0 src2=0
	v_add_nc_u64_e32 v[4:5], v[0:1] /*v[256:257]*/, v[186:187]
	s_set_vgpr_msb 0                        ;  msbs: dst=0 src0=0 src1=0 src2=0
	flat_load_b128 v[54:57], v[4:5]
.LBB52_136:                             ;   in Loop: Header=BB52_112 Depth=2
	s_wait_xcnt 0x0
	s_or_b32 exec_lo, exec_lo, s82
	s_set_vgpr_msb 1                        ;  msbs: dst=0 src0=1 src1=0 src2=0
	ds_load_b128 v[62:65], v25 /*v281*/
	ds_load_b128 v[58:61], v10 /*v266*/ offset:256
	v_cmp_ne_u32_e32 vcc_lo, 1, v3
	s_and_b32 vcc_lo, exec_lo, vcc_lo
	s_wait_loadcnt_dscnt 0x1
	s_set_vgpr_msb 0                        ;  msbs: dst=0 src0=0 src1=0 src2=0
	v_mul_f64_e32 v[70:71], v[48:49], v[64:65]
	v_mul_f64_e32 v[4:5], v[48:49], v[62:63]
	;; [unrolled: 1-line block ×8, first 2 shown]
	v_fmac_f64_e32 v[70:71], v[46:47], v[62:63]
	v_fma_f64 v[72:73], v[46:47], v[64:65], -v[4:5]
	v_fmac_f64_e32 v[78:79], v[42:43], v[62:63]
	v_fma_f64 v[80:81], v[42:43], v[64:65], -v[66:67]
	;; [unrolled: 2-line block ×4, first 2 shown]
	s_set_vgpr_msb 1                        ;  msbs: dst=0 src0=1 src1=0 src2=0
	ds_load_b128 v[74:77], v10 /*v266*/ offset:272
	ds_load_b128 v[66:69], v10 /*v266*/ offset:288
	;; [unrolled: 1-line block ×3, first 2 shown]
	s_set_vgpr_msb 0                        ;  msbs: dst=0 src0=0 src1=0 src2=0
	v_add_nc_u64_e32 v[4:5], v[250:251], v[186:187]
	s_set_vgpr_msb 1                        ;  msbs: dst=0 src0=1 src1=0 src2=0
	ds_store_b128 v20 /*v276*/, v[70:73]
	ds_store_b128 v20 /*v276*/, v[78:81] offset:1072
	ds_store_b128 v20 /*v276*/, v[82:85] offset:2144
	;; [unrolled: 1-line block ×3, first 2 shown]
	s_wait_dscnt 0x0
	s_barrier_signal -1
	s_barrier_wait -1
	ds_load_b128 v[150:153], v11 /*v267*/
	ds_load_b128 v[146:149], v11 /*v267*/ offset:16
	ds_load_b128 v[138:141], v11 /*v267*/ offset:32
	;; [unrolled: 1-line block ×3, first 2 shown]
	s_wait_dscnt 0x0
	s_barrier_signal -1
	s_barrier_wait -1
	s_set_vgpr_msb 0                        ;  msbs: dst=0 src0=0 src1=0 src2=0
	s_cbranch_vccnz .LBB52_144
; %bb.137:                              ;   in Loop: Header=BB52_112 Depth=2
	v_mov_b64_e32 v[70:71], 0
	v_mov_b64_e32 v[78:79], 0
	;; [unrolled: 1-line block ×3, first 2 shown]
	s_mov_b32 s81, exec_lo
	s_set_vgpr_msb 4                        ;  msbs: dst=0 src0=0 src1=1 src2=0
	v_cmpx_gt_i32_e64 s80, v40 /*v296*/
	s_set_vgpr_msb 0                        ;  msbs: dst=0 src0=0 src1=0 src2=0
	s_cbranch_execz .LBB52_139
; %bb.138:                              ;   in Loop: Header=BB52_112 Depth=2
	flat_load_b128 v[78:81], v[4:5] offset:-8
.LBB52_139:                             ;   in Loop: Header=BB52_112 Depth=2
	s_wait_xcnt 0x0
	s_or_b32 exec_lo, exec_lo, s81
	v_mov_b64_e32 v[72:73], 0
	s_mov_b32 s81, exec_lo
	s_set_vgpr_msb 4                        ;  msbs: dst=0 src0=0 src1=1 src2=0
	v_cmpx_gt_i32_e64 s80, v41 /*v297*/
	s_set_vgpr_msb 0                        ;  msbs: dst=0 src0=0 src1=0 src2=0
	s_cbranch_execz .LBB52_141
; %bb.140:                              ;   in Loop: Header=BB52_112 Depth=2
	v_add_nc_u64_e32 v[70:71], v[254:255], v[186:187]
	flat_load_b128 v[70:73], v[70:71] offset:-8
.LBB52_141:                             ;   in Loop: Header=BB52_112 Depth=2
	s_wait_xcnt 0x0
	s_or_b32 exec_lo, exec_lo, s81
	v_mov_b64_e32 v[82:83], 0
	v_mov_b64_e32 v[84:85], 0
	s_mov_b32 s81, exec_lo
	s_set_vgpr_msb 4                        ;  msbs: dst=0 src0=0 src1=1 src2=0
	v_cmpx_gt_i32_e64 s80, v42 /*v298*/
	s_set_vgpr_msb 0                        ;  msbs: dst=0 src0=0 src1=0 src2=0
	s_cbranch_execz .LBB52_143
; %bb.142:                              ;   in Loop: Header=BB52_112 Depth=2
	s_set_vgpr_msb 1                        ;  msbs: dst=0 src0=1 src1=0 src2=0
	v_add_nc_u64_e32 v[82:83], v[2:3] /*v[258:259]*/, v[186:187]
	s_set_vgpr_msb 0                        ;  msbs: dst=0 src0=0 src1=0 src2=0
	flat_load_b128 v[82:85], v[82:83] offset:-8
.LBB52_143:                             ;   in Loop: Header=BB52_112 Depth=2
	s_wait_xcnt 0x0
	s_or_b32 exec_lo, exec_lo, s81
	s_set_vgpr_msb 4                        ;  msbs: dst=0 src0=0 src1=1 src2=0
	v_cmp_gt_i32_e64 s81, s80, v43 /*v299*/
	s_set_vgpr_msb 0                        ;  msbs: dst=0 src0=0 src1=0 src2=0
	s_branch .LBB52_146
.LBB52_144:                             ;   in Loop: Header=BB52_112 Depth=2
	s_mov_b32 s81, 0
                                        ; implicit-def: $vgpr84_vgpr85
                                        ; implicit-def: $vgpr72_vgpr73
                                        ; implicit-def: $vgpr80_vgpr81
	s_cbranch_execz .LBB52_146
; %bb.145:                              ;   in Loop: Header=BB52_112 Depth=2
	s_wait_loadcnt_dscnt 0x0
	v_add_nc_u64_e32 v[70:71], v[254:255], v[186:187]
	s_set_vgpr_msb 1                        ;  msbs: dst=0 src0=1 src1=0 src2=0
	v_add_nc_u64_e32 v[82:83], v[2:3] /*v[258:259]*/, v[186:187]
	s_or_b32 s81, s81, exec_lo
	s_set_vgpr_msb 0                        ;  msbs: dst=0 src0=0 src1=0 src2=0
	flat_load_b128 v[78:81], v[4:5] offset:-8
	flat_load_b128 v[70:73], v[70:71] offset:-8
	;; [unrolled: 1-line block ×3, first 2 shown]
.LBB52_146:                             ;   in Loop: Header=BB52_112 Depth=2
	v_mov_b64_e32 v[102:103], 0
	v_mov_b64_e32 v[104:105], 0
	s_wait_xcnt 0x0
	s_and_saveexec_b32 s82, s81
	s_cbranch_execz .LBB52_148
; %bb.147:                              ;   in Loop: Header=BB52_112 Depth=2
	v_add_nc_u64_e32 v[4:5], v[246:247], v[186:187]
	flat_load_b128 v[102:105], v[4:5] offset:-8
.LBB52_148:                             ;   in Loop: Header=BB52_112 Depth=2
	s_wait_xcnt 0x0
	s_or_b32 exec_lo, exec_lo, s82
	s_set_vgpr_msb 1                        ;  msbs: dst=0 src0=1 src1=0 src2=0
	ds_load_b128 v[106:109], v25 /*v281*/
	v_cmp_ne_u32_e32 vcc_lo, 1, v3
	s_and_b32 vcc_lo, exec_lo, vcc_lo
	s_wait_loadcnt_dscnt 0x0
	s_set_vgpr_msb 0                        ;  msbs: dst=0 src0=0 src1=0 src2=0
	v_mul_f64_e32 v[118:119], v[80:81], v[108:109]
	v_mul_f64_e32 v[4:5], v[80:81], v[106:107]
	;; [unrolled: 1-line block ×8, first 2 shown]
	v_fmac_f64_e32 v[118:119], v[78:79], v[106:107]
	v_fma_f64 v[120:121], v[78:79], v[108:109], -v[4:5]
	v_fmac_f64_e32 v[126:127], v[70:71], v[106:107]
	v_fma_f64 v[128:129], v[70:71], v[108:109], -v[110:111]
	;; [unrolled: 2-line block ×4, first 2 shown]
	s_set_vgpr_msb 1                        ;  msbs: dst=0 src0=1 src1=0 src2=0
	ds_load_b128 v[122:125], v10 /*v266*/ offset:512
	ds_load_b128 v[114:117], v10 /*v266*/ offset:528
	;; [unrolled: 1-line block ×4, first 2 shown]
	s_set_vgpr_msb 0                        ;  msbs: dst=0 src0=0 src1=0 src2=0
	v_add_nc_u64_e32 v[4:5], v[234:235], v[186:187]
	s_set_vgpr_msb 1                        ;  msbs: dst=0 src0=1 src1=0 src2=0
	ds_store_b128 v20 /*v276*/, v[118:121]
	ds_store_b128 v20 /*v276*/, v[126:129] offset:1072
	ds_store_b128 v20 /*v276*/, v[130:133] offset:2144
	ds_store_b128 v20 /*v276*/, v[142:145] offset:3216
	s_wait_dscnt 0x0
	s_barrier_signal -1
	s_barrier_wait -1
	ds_load_b128 v[182:185], v11 /*v267*/
	ds_load_b128 v[178:181], v11 /*v267*/ offset:16
	ds_load_b128 v[174:177], v11 /*v267*/ offset:32
	;; [unrolled: 1-line block ×3, first 2 shown]
	s_wait_dscnt 0x0
	s_barrier_signal -1
	s_barrier_wait -1
	s_set_vgpr_msb 0                        ;  msbs: dst=0 src0=0 src1=0 src2=0
	s_cbranch_vccnz .LBB52_156
; %bb.149:                              ;   in Loop: Header=BB52_112 Depth=2
	v_mov_b64_e32 v[118:119], 0
	v_mov_b64_e32 v[126:127], 0
	;; [unrolled: 1-line block ×3, first 2 shown]
	s_mov_b32 s81, exec_lo
	s_set_vgpr_msb 4                        ;  msbs: dst=0 src0=0 src1=1 src2=0
	v_cmpx_gt_i32_e64 s80, v44 /*v300*/
	s_set_vgpr_msb 0                        ;  msbs: dst=0 src0=0 src1=0 src2=0
	s_cbranch_execz .LBB52_151
; %bb.150:                              ;   in Loop: Header=BB52_112 Depth=2
	flat_load_b128 v[126:129], v[4:5] offset:-8
.LBB52_151:                             ;   in Loop: Header=BB52_112 Depth=2
	s_wait_xcnt 0x0
	s_or_b32 exec_lo, exec_lo, s81
	v_mov_b64_e32 v[120:121], 0
	s_mov_b32 s81, exec_lo
	s_set_vgpr_msb 4                        ;  msbs: dst=0 src0=0 src1=1 src2=0
	v_cmpx_gt_i32_e64 s80, v45 /*v301*/
	s_set_vgpr_msb 0                        ;  msbs: dst=0 src0=0 src1=0 src2=0
	s_cbranch_execz .LBB52_153
; %bb.152:                              ;   in Loop: Header=BB52_112 Depth=2
	v_add_nc_u64_e32 v[118:119], v[238:239], v[186:187]
	flat_load_b128 v[118:121], v[118:119] offset:-8
.LBB52_153:                             ;   in Loop: Header=BB52_112 Depth=2
	s_wait_xcnt 0x0
	s_or_b32 exec_lo, exec_lo, s81
	v_mov_b64_e32 v[130:131], 0
	v_mov_b64_e32 v[132:133], 0
	s_mov_b32 s81, exec_lo
	s_set_vgpr_msb 4                        ;  msbs: dst=0 src0=0 src1=1 src2=0
	v_cmpx_gt_i32_e64 s80, v46 /*v302*/
	s_set_vgpr_msb 0                        ;  msbs: dst=0 src0=0 src1=0 src2=0
	s_cbranch_execz .LBB52_155
; %bb.154:                              ;   in Loop: Header=BB52_112 Depth=2
	v_add_nc_u64_e32 v[130:131], v[242:243], v[186:187]
	flat_load_b128 v[130:133], v[130:131]
.LBB52_155:                             ;   in Loop: Header=BB52_112 Depth=2
	s_wait_xcnt 0x0
	s_or_b32 exec_lo, exec_lo, s81
	s_set_vgpr_msb 4                        ;  msbs: dst=0 src0=0 src1=1 src2=0
	v_cmp_gt_i32_e64 s81, s80, v47 /*v303*/
	s_set_vgpr_msb 0                        ;  msbs: dst=0 src0=0 src1=0 src2=0
	s_branch .LBB52_158
.LBB52_156:                             ;   in Loop: Header=BB52_112 Depth=2
	s_mov_b32 s81, 0
                                        ; implicit-def: $vgpr132_vgpr133
                                        ; implicit-def: $vgpr120_vgpr121
                                        ; implicit-def: $vgpr128_vgpr129
	s_cbranch_execz .LBB52_158
; %bb.157:                              ;   in Loop: Header=BB52_112 Depth=2
	s_wait_loadcnt_dscnt 0x0
	v_add_nc_u64_e32 v[118:119], v[238:239], v[186:187]
	v_add_nc_u64_e32 v[130:131], v[242:243], v[186:187]
	s_or_b32 s81, s81, exec_lo
	flat_load_b128 v[126:129], v[4:5] offset:-8
	flat_load_b128 v[118:121], v[118:119] offset:-8
	flat_load_b128 v[130:133], v[130:131]
.LBB52_158:                             ;   in Loop: Header=BB52_112 Depth=2
	v_mov_b64_e32 v[142:143], 0
	v_mov_b64_e32 v[144:145], 0
	s_wait_xcnt 0x0
	s_and_saveexec_b32 s82, s81
	s_cbranch_execz .LBB52_160
; %bb.159:                              ;   in Loop: Header=BB52_112 Depth=2
	v_add_nc_u64_e32 v[4:5], v[230:231], v[186:187]
	flat_load_b128 v[142:145], v[4:5] offset:-8
.LBB52_160:                             ;   in Loop: Header=BB52_112 Depth=2
	s_wait_xcnt 0x0
	s_or_b32 exec_lo, exec_lo, s82
	s_set_vgpr_msb 1                        ;  msbs: dst=0 src0=1 src1=0 src2=0
	ds_load_b128 v[158:161], v25 /*v281*/
	ds_load_b128 v[154:157], v10 /*v266*/ offset:768
	v_add_f64_e32 v[150:151], 0, v[150:151]
	v_add_f64_e32 v[152:153], 0, v[152:153]
	s_set_vgpr_msb 4                        ;  msbs: dst=0 src0=0 src1=1 src2=0
	v_cmp_gt_i32_e32 vcc_lo, s80, v6 /*v262*/
	s_or_b32 s71, s71, vcc_lo
	s_delay_alu instid0(SALU_CYCLE_1)
	s_and_b32 s80, s18, s71
	s_wait_loadcnt_dscnt 0x1
	s_set_vgpr_msb 64                       ;  msbs: dst=1 src0=0 src1=0 src2=0
	v_mul_f64_e32 v[48:49] /*v[304:305]*/, v[128:129], v[160:161]
	s_set_vgpr_msb 0                        ;  msbs: dst=0 src0=0 src1=0 src2=0
	v_mul_f64_e32 v[4:5], v[128:129], v[158:159]
	s_set_vgpr_msb 64                       ;  msbs: dst=1 src0=0 src1=0 src2=0
	v_mul_f64_e32 v[52:53] /*v[308:309]*/, v[120:121], v[160:161]
	s_set_vgpr_msb 0                        ;  msbs: dst=0 src0=0 src1=0 src2=0
	v_mul_f64_e32 v[162:163], v[120:121], v[158:159]
	;; [unrolled: 4-line block ×4, first 2 shown]
	v_add_f64_e32 v[146:147], v[150:151], v[146:147]
	v_add_f64_e32 v[148:149], v[152:153], v[148:149]
	s_set_vgpr_msb 64                       ;  msbs: dst=1 src0=0 src1=0 src2=0
	v_fmac_f64_e32 v[48:49] /*v[304:305]*/, v[126:127], v[158:159]
	v_fma_f64 v[50:51] /*v[306:307]*/, v[126:127], v[160:161], -v[4:5]
	v_fmac_f64_e32 v[52:53] /*v[308:309]*/, v[118:119], v[158:159]
	v_fma_f64 v[54:55] /*v[310:311]*/, v[118:119], v[160:161], -v[162:163]
	;; [unrolled: 2-line block ×4, first 2 shown]
	s_set_vgpr_msb 1                        ;  msbs: dst=0 src0=1 src1=0 src2=0
	ds_load_b128 v[166:169], v10 /*v266*/ offset:784
	ds_load_b128 v[162:165], v10 /*v266*/ offset:800
	;; [unrolled: 1-line block ×3, first 2 shown]
	v_add_f64_e32 v[4:5], 0, v[182:183]
	v_add_f64_e32 v[182:183], 0, v[184:185]
	;; [unrolled: 1-line block ×3, first 2 shown]
	s_set_vgpr_msb 5                        ;  msbs: dst=0 src0=1 src1=1 src2=0
	ds_store_b128 v20 /*v276*/, v[48:51] /*v[304:307]*/
	ds_store_b128 v20 /*v276*/, v[52:55] /*v[308:311]*/ offset:1072
	ds_store_b128 v20 /*v276*/, v[56:59] /*v[312:315]*/ offset:2144
	;; [unrolled: 1-line block ×3, first 2 shown]
	s_wait_dscnt 0x0
	s_barrier_signal -1
	s_barrier_wait -1
	s_set_vgpr_msb 0x41                     ;  msbs: dst=1 src0=1 src1=0 src2=0
	ds_load_b128 v[48:51] /*v[304:307]*/, v11 /*v267*/
	v_add_f64_e32 v[52:53] /*v[308:309]*/, 0, v[100:101]
	s_set_vgpr_msb 1                        ;  msbs: dst=0 src0=1 src1=0 src2=0
	ds_load_b128 v[98:101], v11 /*v267*/ offset:16
	s_set_vgpr_msb 0                        ;  msbs: dst=0 src0=0 src1=0 src2=0
	v_add_f64_e32 v[150:151], v[184:185], v[94:95]
	v_add_f64_e32 v[4:5], v[4:5], v[178:179]
	;; [unrolled: 1-line block ×5, first 2 shown]
	s_wait_dscnt 0x1
	s_set_vgpr_msb 0x44                     ;  msbs: dst=1 src0=0 src1=1 src2=0
	v_add_f64_e32 v[48:49] /*v[304:305]*/, 0, v[48:49] /*v[304:305]*/
	v_add_f64_e32 v[50:51] /*v[306:307]*/, 0, v[50:51] /*v[306:307]*/
	s_set_vgpr_msb 1                        ;  msbs: dst=0 src0=1 src1=0 src2=0
	v_add_f64_e32 v[152:153], v[52:53] /*v[308:309]*/, v[96:97]
	ds_load_b128 v[94:97], v11 /*v267*/ offset:32
	s_set_vgpr_msb 0                        ;  msbs: dst=0 src0=0 src1=0 src2=0
	v_add_f64_e32 v[146:147], v[150:151], v[90:91]
	v_add_f64_e32 v[4:5], v[4:5], v[174:175]
	;; [unrolled: 1-line block ×3, first 2 shown]
	s_wait_dscnt 0x1
	s_set_vgpr_msb 1                        ;  msbs: dst=0 src0=1 src1=0 src2=0
	v_add_f64_e32 v[98:99], v[48:49] /*v[304:305]*/, v[98:99]
	v_add_f64_e32 v[100:101], v[50:51] /*v[306:307]*/, v[100:101]
	s_set_vgpr_msb 0                        ;  msbs: dst=0 src0=0 src1=0 src2=0
	v_add_f64_e32 v[148:149], v[152:153], v[92:93]
	s_set_vgpr_msb 1                        ;  msbs: dst=0 src0=1 src1=0 src2=0
	ds_load_b128 v[90:93], v11 /*v267*/ offset:48
	s_set_vgpr_msb 0                        ;  msbs: dst=0 src0=0 src1=0 src2=0
	v_add_f64_e32 v[86:87], v[146:147], v[86:87]
	s_wait_dscnt 0x0
	s_barrier_signal -1
	s_barrier_wait -1
	v_add_f64_e32 v[150:151], v[98:99], v[94:95]
	v_add_f64_e32 v[152:153], v[100:101], v[96:97]
	;; [unrolled: 1-line block ×9, first 2 shown]
	s_set_vgpr_msb 1                        ;  msbs: dst=0 src0=1 src1=0 src2=0
	ds_store_b128 v24 /*v280*/, v[86:89]
	ds_store_b128 v24 /*v280*/, v[98:101] offset:256
	ds_store_b128 v24 /*v280*/, v[94:97] offset:512
	;; [unrolled: 1-line block ×3, first 2 shown]
	s_wait_dscnt 0x0
	s_barrier_signal -1
	s_barrier_wait -1
	s_and_saveexec_b32 s71, s80
	s_set_vgpr_msb 0                        ;  msbs: dst=0 src0=0 src1=0 src2=0
	s_cbranch_execz .LBB52_162
; %bb.161:                              ;   in Loop: Header=BB52_112 Depth=2
	s_set_vgpr_msb 1                        ;  msbs: dst=0 src0=1 src1=0 src2=0
	ds_load_b128 v[86:89], v12 /*v268*/
	ds_load_b128 v[90:93], v12 /*v268*/ offset:16
	s_set_vgpr_msb 4                        ;  msbs: dst=0 src0=0 src1=1 src2=0
	v_add_nc_u32_e32 v3, s70, v6 /*v262*/
	s_wait_dscnt 0x0
	s_set_vgpr_msb 0                        ;  msbs: dst=0 src0=0 src1=0 src2=0
	v_add_f64_e32 v[4:5], v[90:91], v[86:87]
	v_add_f64_e32 v[94:95], v[92:93], v[88:89]
	s_set_vgpr_msb 1                        ;  msbs: dst=0 src0=1 src1=0 src2=0
	ds_load_b128 v[86:89], v12 /*v268*/ offset:32
	ds_load_b128 v[90:93], v12 /*v268*/ offset:48
	s_wait_dscnt 0x1
	s_set_vgpr_msb 0                        ;  msbs: dst=0 src0=0 src1=0 src2=0
	v_add_f64_e32 v[4:5], v[4:5], v[86:87]
	v_add_f64_e32 v[86:87], v[94:95], v[88:89]
	s_wait_dscnt 0x0
	s_delay_alu instid0(VALU_DEP_2) | instskip(NEXT) | instid1(VALU_DEP_2)
	v_add_f64_e32 v[4:5], v[4:5], v[90:91]
	v_add_f64_e32 v[94:95], v[86:87], v[92:93]
	s_set_vgpr_msb 1                        ;  msbs: dst=0 src0=1 src1=0 src2=0
	ds_load_b128 v[86:89], v12 /*v268*/ offset:64
	ds_load_b128 v[90:93], v12 /*v268*/ offset:80
	s_wait_dscnt 0x1
	s_set_vgpr_msb 0                        ;  msbs: dst=0 src0=0 src1=0 src2=0
	v_add_f64_e32 v[4:5], v[4:5], v[86:87]
	v_add_f64_e32 v[86:87], v[94:95], v[88:89]
	s_wait_dscnt 0x0
	s_delay_alu instid0(VALU_DEP_2) | instskip(NEXT) | instid1(VALU_DEP_2)
	;; [unrolled: 11-line block ×6, first 2 shown]
	v_add_f64_e32 v[4:5], v[4:5], v[90:91]
	v_add_f64_e32 v[94:95], v[86:87], v[92:93]
	s_set_vgpr_msb 1                        ;  msbs: dst=0 src0=1 src1=0 src2=0
	ds_load_b128 v[86:89], v12 /*v268*/ offset:224
	ds_load_b128 v[90:93], v13 /*v269*/
	s_wait_dscnt 0x1
	s_set_vgpr_msb 0                        ;  msbs: dst=0 src0=0 src1=0 src2=0
	v_add_f64_e32 v[4:5], v[4:5], v[86:87]
	v_add_f64_e32 v[88:89], v[94:95], v[88:89]
	s_wait_dscnt 0x0
	s_delay_alu instid0(VALU_DEP_2) | instskip(NEXT) | instid1(VALU_DEP_2)
	v_add_f64_e32 v[86:87], v[4:5], v[90:91]
	v_add_f64_e32 v[88:89], v[88:89], v[92:93]
	global_store_b128 v3, v[86:89], s[68:69] scale_offset
.LBB52_162:                             ;   in Loop: Header=BB52_112 Depth=2
	s_wait_xcnt 0x0
	s_or_b32 exec_lo, exec_lo, s71
	v_mul_f64_e32 v[4:5], v[16:17], v[28:29]
	v_mul_f64_e32 v[28:29], v[14:15], v[28:29]
	;; [unrolled: 1-line block ×4, first 2 shown]
	v_add_nc_u64_e32 v[228:229], s[60:61], v[228:229]
	v_add_nc_u64_e32 v[230:231], s[60:61], v[230:231]
	;; [unrolled: 1-line block ×14, first 2 shown]
	s_set_vgpr_msb 0x44                     ;  msbs: dst=1 src0=0 src1=1 src2=0
	v_add_nc_u64_e32 v[0:1] /*v[256:257]*/, s[60:61], v[0:1] /*v[256:257]*/
	v_add_nc_u64_e32 v[2:3] /*v[258:259]*/, s[60:61], v[2:3] /*v[258:259]*/
	s_add_co_i32 s71, s79, 1
	s_add_co_i32 s79, s79, 2
	;; [unrolled: 1-line block ×3, first 2 shown]
	s_cmp_ge_u32 s79, s36
	s_wait_storecnt 0x0
	s_barrier_signal -1
	s_barrier_wait -1
	s_set_vgpr_msb 0                        ;  msbs: dst=0 src0=0 src1=0 src2=0
	v_fma_f64 v[4:5], v[14:15], v[26:27], -v[4:5]
	v_fmac_f64_e32 v[28:29], v[16:17], v[26:27]
	v_mul_f64_e32 v[14:15], v[20:21], v[36:37]
	v_mul_f64_e32 v[16:17], v[18:19], v[36:37]
	v_fma_f64 v[10:11], v[10:11], v[38:39], -v[86:87]
	v_fmac_f64_e32 v[40:41], v[12:13], v[38:39]
	v_mul_f64_e32 v[12:13], v[22:23], v[32:33]
	v_add_f64_e32 v[4:5], v[6:7], v[4:5]
	v_add_f64_e32 v[6:7], v[8:9], v[28:29]
	v_mul_f64_e32 v[8:9], v[24:25], v[32:33]
	v_fma_f64 v[14:15], v[18:19], v[34:35], -v[14:15]
	v_fmac_f64_e32 v[16:17], v[20:21], v[34:35]
	v_mul_f64_e32 v[18:19], v[46:47], v[60:61]
	v_fmac_f64_e32 v[12:13], v[24:25], v[30:31]
	v_add_f64_e32 v[4:5], v[4:5], v[10:11]
	v_add_f64_e32 v[6:7], v[6:7], v[40:41]
	v_mul_f64_e32 v[10:11], v[48:49], v[60:61]
	v_fma_f64 v[8:9], v[22:23], v[30:31], -v[8:9]
	v_fmac_f64_e32 v[18:19], v[48:49], v[58:59]
	v_add_f64_e32 v[4:5], v[4:5], v[14:15]
	v_add_f64_e32 v[6:7], v[6:7], v[16:17]
	v_mul_f64_e32 v[14:15], v[44:45], v[76:77]
	v_mul_f64_e32 v[16:17], v[42:43], v[76:77]
	v_fma_f64 v[10:11], v[46:47], v[58:59], -v[10:11]
	v_add_f64_e32 v[4:5], v[4:5], v[8:9]
	v_add_f64_e32 v[6:7], v[6:7], v[12:13]
	v_mul_f64_e32 v[8:9], v[52:53], v[68:69]
	v_mul_f64_e32 v[12:13], v[50:51], v[68:69]
	v_fma_f64 v[14:15], v[42:43], v[74:75], -v[14:15]
	v_fmac_f64_e32 v[16:17], v[44:45], v[74:75]
	v_add_f64_e32 v[4:5], v[4:5], v[10:11]
	v_add_f64_e32 v[6:7], v[6:7], v[18:19]
	v_mul_f64_e32 v[10:11], v[56:57], v[64:65]
	v_mul_f64_e32 v[18:19], v[54:55], v[64:65]
	v_fma_f64 v[8:9], v[50:51], v[66:67], -v[8:9]
	v_fmac_f64_e32 v[12:13], v[52:53], v[66:67]
	;; [unrolled: 6-line block ×10, first 2 shown]
	v_add_f64_e32 v[4:5], v[4:5], v[10:11]
	v_add_f64_e32 v[6:7], v[6:7], v[18:19]
	v_fma_f64 v[8:9], v[142:143], v[158:159], -v[8:9]
	v_fmac_f64_e32 v[12:13], v[144:145], v[158:159]
	s_delay_alu instid0(VALU_DEP_4) | instskip(NEXT) | instid1(VALU_DEP_4)
	v_add_f64_e32 v[4:5], v[4:5], v[14:15]
	v_add_f64_e32 v[10:11], v[6:7], v[16:17]
	s_delay_alu instid0(VALU_DEP_2) | instskip(NEXT) | instid1(VALU_DEP_2)
	v_add_f64_e32 v[6:7], v[4:5], v[8:9]
	v_add_f64_e32 v[8:9], v[10:11], v[12:13]
	s_cbranch_scc1 .LBB52_164
; %bb.163:                              ;   in Loop: Header=BB52_112 Depth=2
	s_mov_b32 s79, s71
	s_delay_alu instid0(SALU_CYCLE_1)
	s_cmp_eq_u32 s76, s79
	s_cselect_b32 s80, s37, 0
	s_and_saveexec_b32 s81, s0
	s_cbranch_execnz .LBB52_108
	s_branch .LBB52_112
.LBB52_164:                             ;   in Loop: Header=BB52_4 Depth=1
	s_set_vgpr_msb 1                        ;  msbs: dst=0 src0=1 src1=0 src2=0
	ds_store_b128 v21 /*v277*/, v[6:9]
	s_wait_dscnt 0x0
	s_barrier_signal -1
	s_barrier_wait -1
	s_and_saveexec_b32 s70, s77
	s_set_vgpr_msb 0                        ;  msbs: dst=0 src0=0 src1=0 src2=0
	s_cbranch_execz .LBB52_2
; %bb.165:                              ;   in Loop: Header=BB52_4 Depth=1
	ds_load_b128 v[4:7], v186 offset:1072
	ds_load_b128 v[8:11], v186
	s_wait_dscnt 0x0
	v_add_f64_e32 v[12:13], v[4:5], v[8:9]
	v_add_f64_e32 v[14:15], v[6:7], v[10:11]
	ds_load_b128 v[4:7], v186 offset:2144
	ds_load_b128 v[8:11], v186 offset:3216
	s_wait_dscnt 0x1
	v_add_f64_e32 v[4:5], v[12:13], v[4:5]
	v_add_f64_e32 v[6:7], v[14:15], v[6:7]
	s_wait_dscnt 0x0
	s_delay_alu instid0(VALU_DEP_2) | instskip(NEXT) | instid1(VALU_DEP_2)
	v_add_f64_e32 v[4:5], v[4:5], v[8:9]
	v_add_f64_e32 v[6:7], v[6:7], v[10:11]
	v_lshl_add_u64 v[8:9], v[190:191], 4, s[68:69]
	global_store_b128 v[8:9], v[4:7], off
	s_branch .LBB52_2
.LBB52_166:                             ;   in Loop: Header=BB52_4 Depth=1
	s_set_vgpr_msb 1                        ;  msbs: dst=0 src0=1 src1=0 src2=0
	ds_load_b128 v[4:7], v16 /*v272*/
	s_mov_b32 s68, exec_lo
	s_wait_dscnt 0x0
	v_xor_b32_e32 v7, 0x80000000, v7
	ds_store_b64 v29 /*v285*/, v[4:5]
	s_or_saveexec_b32 s69, s69
	v_mov_b32_e32 v3, v29 /*v285*/
	s_xor_b32 exec_lo, exec_lo, s69
	s_set_vgpr_msb 0                        ;  msbs: dst=0 src0=0 src1=0 src2=0
	s_cbranch_execz .LBB52_34
.LBB52_167:                             ;   in Loop: Header=BB52_4 Depth=1
	v_mov_b64_e32 v[6:7], 0
	s_set_vgpr_msb 1                        ;  msbs: dst=0 src0=1 src1=0 src2=0
	v_mov_b32_e32 v3, v8 /*v264*/
	s_and_not1_b32 s68, s68, exec_lo
	s_and_b32 s70, s19, exec_lo
	s_delay_alu instid0(SALU_CYCLE_1)
	s_or_b32 s68, s68, s70
	s_or_b32 exec_lo, exec_lo, s69
	s_and_saveexec_b32 s69, s68
	s_set_vgpr_msb 0                        ;  msbs: dst=0 src0=0 src1=0 src2=0
	s_cbranch_execnz .LBB52_35
	s_branch .LBB52_36
.LBB52_168:                             ;   in Loop: Header=BB52_4 Depth=1
	s_set_vgpr_msb 1                        ;  msbs: dst=0 src0=1 src1=0 src2=0
	ds_load_b128 v[10:13], v16 /*v272*/
	s_mov_b32 s68, exec_lo
	s_wait_dscnt 0x0
	v_xor_b32_e32 v13, 0x80000000, v13
	ds_store_b64 v29 /*v285*/, v[10:11]
	s_or_saveexec_b32 s69, s69
	v_mov_b32_e32 v3, v29 /*v285*/
	s_xor_b32 exec_lo, exec_lo, s69
	s_set_vgpr_msb 0                        ;  msbs: dst=0 src0=0 src1=0 src2=0
	s_cbranch_execz .LBB52_72
.LBB52_169:                             ;   in Loop: Header=BB52_4 Depth=1
	v_mov_b64_e32 v[12:13], 0
	s_set_vgpr_msb 1                        ;  msbs: dst=0 src0=1 src1=0 src2=0
	v_mov_b32_e32 v3, v8 /*v264*/
	s_and_not1_b32 s68, s68, exec_lo
	s_and_b32 s70, s19, exec_lo
	s_delay_alu instid0(SALU_CYCLE_1)
	s_or_b32 s68, s68, s70
	s_or_b32 exec_lo, exec_lo, s69
	s_and_saveexec_b32 s69, s68
	s_set_vgpr_msb 0                        ;  msbs: dst=0 src0=0 src1=0 src2=0
	s_cbranch_execnz .LBB52_73
	s_branch .LBB52_74
.LBB52_170:                             ;   in Loop: Header=BB52_4 Depth=1
	flat_load_b128 v[10:13], v[8:9]
	s_wait_loadcnt_dscnt 0x0
	s_set_vgpr_msb 1                        ;  msbs: dst=0 src0=1 src1=0 src2=0
	ds_store_2addr_b64 v7 /*v263*/, v[10:11], v[12:13] offset1:1
	s_wait_xcnt 0x0
	s_or_b32 exec_lo, exec_lo, s68
	s_and_saveexec_b32 s68, s3
	s_delay_alu instid0(SALU_CYCLE_1)
	s_xor_b32 s68, exec_lo, s68
	s_set_vgpr_msb 0                        ;  msbs: dst=0 src0=0 src1=0 src2=0
	s_cbranch_execz .LBB52_17
.LBB52_171:                             ;   in Loop: Header=BB52_4 Depth=1
	v_dual_mov_b32 v3, v2 :: v_dual_mov_b32 v4, v2
	v_mov_b32_e32 v5, v2
	s_set_vgpr_msb 1                        ;  msbs: dst=0 src0=1 src1=0 src2=0
	ds_store_b128 v26 /*v282*/, v[2:5]
	s_and_not1_saveexec_b32 s68, s68
	s_set_vgpr_msb 0                        ;  msbs: dst=0 src0=0 src1=0 src2=0
	s_cbranch_execz .LBB52_18
.LBB52_172:                             ;   in Loop: Header=BB52_4 Depth=1
	v_add_nc_u64_e32 v[4:5], s[48:49], v[8:9]
	flat_load_b128 v[10:13], v[4:5]
	s_wait_loadcnt_dscnt 0x0
	s_set_vgpr_msb 1                        ;  msbs: dst=0 src0=1 src1=0 src2=0
	ds_store_2addr_b64 v26 /*v282*/, v[10:11], v[12:13] offset1:1
	s_wait_xcnt 0x0
	s_or_b32 exec_lo, exec_lo, s68
	s_and_saveexec_b32 s68, s4
	s_delay_alu instid0(SALU_CYCLE_1)
	s_xor_b32 s68, exec_lo, s68
	s_set_vgpr_msb 0                        ;  msbs: dst=0 src0=0 src1=0 src2=0
	s_cbranch_execz .LBB52_19
.LBB52_173:                             ;   in Loop: Header=BB52_4 Depth=1
	v_dual_mov_b32 v3, v2 :: v_dual_mov_b32 v4, v2
	v_mov_b32_e32 v5, v2
	s_set_vgpr_msb 1                        ;  msbs: dst=0 src0=1 src1=0 src2=0
	ds_store_b128 v27 /*v283*/, v[2:5]
	s_and_not1_saveexec_b32 s68, s68
	s_set_vgpr_msb 0                        ;  msbs: dst=0 src0=0 src1=0 src2=0
	s_cbranch_execz .LBB52_20
.LBB52_174:                             ;   in Loop: Header=BB52_4 Depth=1
	v_add_nc_u64_e32 v[4:5], s[50:51], v[8:9]
	flat_load_b128 v[10:13], v[4:5]
	s_wait_loadcnt_dscnt 0x0
	s_set_vgpr_msb 1                        ;  msbs: dst=0 src0=1 src1=0 src2=0
	ds_store_2addr_b64 v27 /*v283*/, v[10:11], v[12:13] offset1:1
	s_wait_xcnt 0x0
	s_or_b32 exec_lo, exec_lo, s68
	s_and_saveexec_b32 s68, s5
	s_delay_alu instid0(SALU_CYCLE_1)
	s_xor_b32 s68, exec_lo, s68
	s_set_vgpr_msb 0                        ;  msbs: dst=0 src0=0 src1=0 src2=0
	s_cbranch_execz .LBB52_21
.LBB52_175:                             ;   in Loop: Header=BB52_4 Depth=1
	v_dual_mov_b32 v3, v2 :: v_dual_mov_b32 v4, v2
	v_mov_b32_e32 v5, v2
	s_set_vgpr_msb 1                        ;  msbs: dst=0 src0=1 src1=0 src2=0
	ds_store_b128 v28 /*v284*/, v[2:5]
	s_and_not1_saveexec_b32 s68, s68
	s_set_vgpr_msb 0                        ;  msbs: dst=0 src0=0 src1=0 src2=0
	s_cbranch_execnz .LBB52_22
	s_branch .LBB52_23
.LBB52_176:                             ;   in Loop: Header=BB52_4 Depth=1
	flat_load_b128 v[16:19], v[14:15]
	s_wait_loadcnt_dscnt 0x0
	s_set_vgpr_msb 1                        ;  msbs: dst=0 src0=1 src1=0 src2=0
	ds_store_2addr_b64 v7 /*v263*/, v[16:17], v[18:19] offset1:1
	s_wait_xcnt 0x0
	s_or_b32 exec_lo, exec_lo, s68
	s_and_saveexec_b32 s68, s13
	s_delay_alu instid0(SALU_CYCLE_1)
	s_xor_b32 s68, exec_lo, s68
	s_set_vgpr_msb 0                        ;  msbs: dst=0 src0=0 src1=0 src2=0
	s_cbranch_execz .LBB52_55
.LBB52_177:                             ;   in Loop: Header=BB52_4 Depth=1
	v_dual_mov_b32 v3, v2 :: v_dual_mov_b32 v4, v2
	v_mov_b32_e32 v5, v2
	s_set_vgpr_msb 1                        ;  msbs: dst=0 src0=1 src1=0 src2=0
	ds_store_b128 v26 /*v282*/, v[2:5]
	s_and_not1_saveexec_b32 s68, s68
	s_set_vgpr_msb 0                        ;  msbs: dst=0 src0=0 src1=0 src2=0
	s_cbranch_execz .LBB52_56
.LBB52_178:                             ;   in Loop: Header=BB52_4 Depth=1
	v_add_nc_u64_e32 v[4:5], s[48:49], v[14:15]
	flat_load_b128 v[16:19], v[4:5]
	s_wait_loadcnt_dscnt 0x0
	s_set_vgpr_msb 1                        ;  msbs: dst=0 src0=1 src1=0 src2=0
	ds_store_2addr_b64 v26 /*v282*/, v[16:17], v[18:19] offset1:1
	s_wait_xcnt 0x0
	s_or_b32 exec_lo, exec_lo, s68
	s_and_saveexec_b32 s68, s16
	s_delay_alu instid0(SALU_CYCLE_1)
	s_xor_b32 s68, exec_lo, s68
	s_set_vgpr_msb 0                        ;  msbs: dst=0 src0=0 src1=0 src2=0
	s_cbranch_execz .LBB52_57
.LBB52_179:                             ;   in Loop: Header=BB52_4 Depth=1
	v_dual_mov_b32 v3, v2 :: v_dual_mov_b32 v4, v2
	v_mov_b32_e32 v5, v2
	s_set_vgpr_msb 1                        ;  msbs: dst=0 src0=1 src1=0 src2=0
	ds_store_b128 v27 /*v283*/, v[2:5]
	s_and_not1_saveexec_b32 s68, s68
	s_set_vgpr_msb 0                        ;  msbs: dst=0 src0=0 src1=0 src2=0
	s_cbranch_execz .LBB52_58
.LBB52_180:                             ;   in Loop: Header=BB52_4 Depth=1
	v_add_nc_u64_e32 v[4:5], s[50:51], v[14:15]
	flat_load_b128 v[16:19], v[4:5]
	s_wait_loadcnt_dscnt 0x0
	s_set_vgpr_msb 1                        ;  msbs: dst=0 src0=1 src1=0 src2=0
	ds_store_2addr_b64 v27 /*v283*/, v[16:17], v[18:19] offset1:1
	s_wait_xcnt 0x0
	s_or_b32 exec_lo, exec_lo, s68
	s_and_saveexec_b32 s68, s17
	s_delay_alu instid0(SALU_CYCLE_1)
	s_xor_b32 s68, exec_lo, s68
	s_set_vgpr_msb 0                        ;  msbs: dst=0 src0=0 src1=0 src2=0
	s_cbranch_execz .LBB52_59
.LBB52_181:                             ;   in Loop: Header=BB52_4 Depth=1
	v_dual_mov_b32 v3, v2 :: v_dual_mov_b32 v4, v2
	v_mov_b32_e32 v5, v2
	s_set_vgpr_msb 1                        ;  msbs: dst=0 src0=1 src1=0 src2=0
	ds_store_b128 v28 /*v284*/, v[2:5]
	s_and_not1_saveexec_b32 s68, s68
	s_set_vgpr_msb 0                        ;  msbs: dst=0 src0=0 src1=0 src2=0
	s_cbranch_execnz .LBB52_60
	s_branch .LBB52_61
.LBB52_182:                             ;   in Loop: Header=BB52_4 Depth=1
	flat_load_b128 v[16:19], v[12:13]
	s_wait_loadcnt_dscnt 0x0
	s_set_vgpr_msb 1                        ;  msbs: dst=0 src0=1 src1=0 src2=0
	ds_store_2addr_b64 v7 /*v263*/, v[16:17], v[18:19] offset1:1
	s_wait_xcnt 0x0
	s_or_b32 exec_lo, exec_lo, s68
	s_and_saveexec_b32 s68, s13
	s_delay_alu instid0(SALU_CYCLE_1)
	s_xor_b32 s68, exec_lo, s68
	s_set_vgpr_msb 0                        ;  msbs: dst=0 src0=0 src1=0 src2=0
	s_cbranch_execz .LBB52_93
.LBB52_183:                             ;   in Loop: Header=BB52_4 Depth=1
	v_dual_mov_b32 v3, v2 :: v_dual_mov_b32 v4, v2
	v_mov_b32_e32 v5, v2
	s_set_vgpr_msb 1                        ;  msbs: dst=0 src0=1 src1=0 src2=0
	ds_store_b128 v26 /*v282*/, v[2:5]
	s_and_not1_saveexec_b32 s68, s68
	s_set_vgpr_msb 0                        ;  msbs: dst=0 src0=0 src1=0 src2=0
	s_cbranch_execz .LBB52_94
.LBB52_184:                             ;   in Loop: Header=BB52_4 Depth=1
	v_add_nc_u64_e32 v[4:5], s[48:49], v[12:13]
	flat_load_b128 v[16:19], v[4:5]
	s_wait_loadcnt_dscnt 0x0
	s_set_vgpr_msb 1                        ;  msbs: dst=0 src0=1 src1=0 src2=0
	ds_store_2addr_b64 v26 /*v282*/, v[16:17], v[18:19] offset1:1
	s_wait_xcnt 0x0
	s_or_b32 exec_lo, exec_lo, s68
	s_and_saveexec_b32 s68, s16
	s_delay_alu instid0(SALU_CYCLE_1)
	s_xor_b32 s68, exec_lo, s68
	s_set_vgpr_msb 0                        ;  msbs: dst=0 src0=0 src1=0 src2=0
	s_cbranch_execz .LBB52_95
.LBB52_185:                             ;   in Loop: Header=BB52_4 Depth=1
	v_dual_mov_b32 v3, v2 :: v_dual_mov_b32 v4, v2
	v_mov_b32_e32 v5, v2
	s_set_vgpr_msb 1                        ;  msbs: dst=0 src0=1 src1=0 src2=0
	ds_store_b128 v27 /*v283*/, v[2:5]
	s_and_not1_saveexec_b32 s68, s68
	s_set_vgpr_msb 0                        ;  msbs: dst=0 src0=0 src1=0 src2=0
	s_cbranch_execz .LBB52_96
.LBB52_186:                             ;   in Loop: Header=BB52_4 Depth=1
	v_add_nc_u64_e32 v[4:5], s[50:51], v[12:13]
	flat_load_b128 v[16:19], v[4:5]
	s_wait_loadcnt_dscnt 0x0
	s_set_vgpr_msb 1                        ;  msbs: dst=0 src0=1 src1=0 src2=0
	ds_store_2addr_b64 v27 /*v283*/, v[16:17], v[18:19] offset1:1
	s_wait_xcnt 0x0
	s_or_b32 exec_lo, exec_lo, s68
	s_and_saveexec_b32 s68, s17
	s_delay_alu instid0(SALU_CYCLE_1)
	s_xor_b32 s68, exec_lo, s68
	s_set_vgpr_msb 0                        ;  msbs: dst=0 src0=0 src1=0 src2=0
	s_cbranch_execz .LBB52_97
.LBB52_187:                             ;   in Loop: Header=BB52_4 Depth=1
	v_dual_mov_b32 v3, v2 :: v_dual_mov_b32 v4, v2
	v_mov_b32_e32 v5, v2
	s_set_vgpr_msb 1                        ;  msbs: dst=0 src0=1 src1=0 src2=0
	ds_store_b128 v28 /*v284*/, v[2:5]
	s_and_not1_saveexec_b32 s68, s68
	s_set_vgpr_msb 0                        ;  msbs: dst=0 src0=0 src1=0 src2=0
	s_cbranch_execnz .LBB52_98
	s_branch .LBB52_99
.LBB52_188:
	s_sendmsg sendmsg(MSG_DEALLOC_VGPRS)
	s_endpgm
	.section	.rodata,"a",@progbits
	.p2align	6, 0x0
	.amdhsa_kernel _ZL26rocblas_hemvn_kernel_upperILb1ELi64ELi4ELi33ELi32ELi16El19rocblas_complex_numIdEPKPKS1_PS1_EviT6_lT7_lT5_lS8_lS9_lS7_lT8_i
		.amdhsa_group_segment_fixed_size 19200
		.amdhsa_private_segment_fixed_size 0
		.amdhsa_kernarg_size 392
		.amdhsa_user_sgpr_count 2
		.amdhsa_user_sgpr_dispatch_ptr 0
		.amdhsa_user_sgpr_queue_ptr 0
		.amdhsa_user_sgpr_kernarg_segment_ptr 1
		.amdhsa_user_sgpr_dispatch_id 0
		.amdhsa_user_sgpr_kernarg_preload_length 0
		.amdhsa_user_sgpr_kernarg_preload_offset 0
		.amdhsa_user_sgpr_private_segment_size 0
		.amdhsa_wavefront_size32 1
		.amdhsa_uses_dynamic_stack 0
		.amdhsa_enable_private_segment 0
		.amdhsa_system_sgpr_workgroup_id_x 1
		.amdhsa_system_sgpr_workgroup_id_y 0
		.amdhsa_system_sgpr_workgroup_id_z 1
		.amdhsa_system_sgpr_workgroup_info 0
		.amdhsa_system_vgpr_workitem_id 1
		.amdhsa_next_free_vgpr 320
		.amdhsa_next_free_sgpr 84
		.amdhsa_named_barrier_count 0
		.amdhsa_reserve_vcc 1
		.amdhsa_float_round_mode_32 0
		.amdhsa_float_round_mode_16_64 0
		.amdhsa_float_denorm_mode_32 3
		.amdhsa_float_denorm_mode_16_64 3
		.amdhsa_fp16_overflow 0
		.amdhsa_memory_ordered 1
		.amdhsa_forward_progress 1
		.amdhsa_inst_pref_size 86
		.amdhsa_round_robin_scheduling 0
		.amdhsa_exception_fp_ieee_invalid_op 0
		.amdhsa_exception_fp_denorm_src 0
		.amdhsa_exception_fp_ieee_div_zero 0
		.amdhsa_exception_fp_ieee_overflow 0
		.amdhsa_exception_fp_ieee_underflow 0
		.amdhsa_exception_fp_ieee_inexact 0
		.amdhsa_exception_int_div_zero 0
	.end_amdhsa_kernel
	.section	.text._ZL26rocblas_hemvn_kernel_upperILb1ELi64ELi4ELi33ELi32ELi16El19rocblas_complex_numIdEPKPKS1_PS1_EviT6_lT7_lT5_lS8_lS9_lS7_lT8_i,"axG",@progbits,_ZL26rocblas_hemvn_kernel_upperILb1ELi64ELi4ELi33ELi32ELi16El19rocblas_complex_numIdEPKPKS1_PS1_EviT6_lT7_lT5_lS8_lS9_lS7_lT8_i,comdat
.Lfunc_end52:
	.size	_ZL26rocblas_hemvn_kernel_upperILb1ELi64ELi4ELi33ELi32ELi16El19rocblas_complex_numIdEPKPKS1_PS1_EviT6_lT7_lT5_lS8_lS9_lS7_lT8_i, .Lfunc_end52-_ZL26rocblas_hemvn_kernel_upperILb1ELi64ELi4ELi33ELi32ELi16El19rocblas_complex_numIdEPKPKS1_PS1_EviT6_lT7_lT5_lS8_lS9_lS7_lT8_i
                                        ; -- End function
	.set _ZL26rocblas_hemvn_kernel_upperILb1ELi64ELi4ELi33ELi32ELi16El19rocblas_complex_numIdEPKPKS1_PS1_EviT6_lT7_lT5_lS8_lS9_lS7_lT8_i.num_vgpr, 320
	.set _ZL26rocblas_hemvn_kernel_upperILb1ELi64ELi4ELi33ELi32ELi16El19rocblas_complex_numIdEPKPKS1_PS1_EviT6_lT7_lT5_lS8_lS9_lS7_lT8_i.num_agpr, 0
	.set _ZL26rocblas_hemvn_kernel_upperILb1ELi64ELi4ELi33ELi32ELi16El19rocblas_complex_numIdEPKPKS1_PS1_EviT6_lT7_lT5_lS8_lS9_lS7_lT8_i.numbered_sgpr, 84
	.set _ZL26rocblas_hemvn_kernel_upperILb1ELi64ELi4ELi33ELi32ELi16El19rocblas_complex_numIdEPKPKS1_PS1_EviT6_lT7_lT5_lS8_lS9_lS7_lT8_i.num_named_barrier, 0
	.set _ZL26rocblas_hemvn_kernel_upperILb1ELi64ELi4ELi33ELi32ELi16El19rocblas_complex_numIdEPKPKS1_PS1_EviT6_lT7_lT5_lS8_lS9_lS7_lT8_i.private_seg_size, 0
	.set _ZL26rocblas_hemvn_kernel_upperILb1ELi64ELi4ELi33ELi32ELi16El19rocblas_complex_numIdEPKPKS1_PS1_EviT6_lT7_lT5_lS8_lS9_lS7_lT8_i.uses_vcc, 1
	.set _ZL26rocblas_hemvn_kernel_upperILb1ELi64ELi4ELi33ELi32ELi16El19rocblas_complex_numIdEPKPKS1_PS1_EviT6_lT7_lT5_lS8_lS9_lS7_lT8_i.uses_flat_scratch, 0
	.set _ZL26rocblas_hemvn_kernel_upperILb1ELi64ELi4ELi33ELi32ELi16El19rocblas_complex_numIdEPKPKS1_PS1_EviT6_lT7_lT5_lS8_lS9_lS7_lT8_i.has_dyn_sized_stack, 0
	.set _ZL26rocblas_hemvn_kernel_upperILb1ELi64ELi4ELi33ELi32ELi16El19rocblas_complex_numIdEPKPKS1_PS1_EviT6_lT7_lT5_lS8_lS9_lS7_lT8_i.has_recursion, 0
	.set _ZL26rocblas_hemvn_kernel_upperILb1ELi64ELi4ELi33ELi32ELi16El19rocblas_complex_numIdEPKPKS1_PS1_EviT6_lT7_lT5_lS8_lS9_lS7_lT8_i.has_indirect_call, 0
	.section	.AMDGPU.csdata,"",@progbits
; Kernel info:
; codeLenInByte = 10912
; TotalNumSgprs: 86
; NumVgprs: 320
; ScratchSize: 0
; MemoryBound: 1
; FloatMode: 240
; IeeeMode: 1
; LDSByteSize: 19200 bytes/workgroup (compile time only)
; SGPRBlocks: 0
; VGPRBlocks: 19
; NumSGPRsForWavesPerEU: 86
; NumVGPRsForWavesPerEU: 320
; NamedBarCnt: 0
; Occupancy: 3
; WaveLimiterHint : 1
; COMPUTE_PGM_RSRC2:SCRATCH_EN: 0
; COMPUTE_PGM_RSRC2:USER_SGPR: 2
; COMPUTE_PGM_RSRC2:TRAP_HANDLER: 0
; COMPUTE_PGM_RSRC2:TGID_X_EN: 1
; COMPUTE_PGM_RSRC2:TGID_Y_EN: 0
; COMPUTE_PGM_RSRC2:TGID_Z_EN: 1
; COMPUTE_PGM_RSRC2:TIDIG_COMP_CNT: 1
	.section	.text._ZL36rocblas_hemvn_kernel_upper_block_sumILi64El19rocblas_complex_numIdEPKPS1_S1_EviT1_lS5_lT2_lT0_lPT3_i,"axG",@progbits,_ZL36rocblas_hemvn_kernel_upper_block_sumILi64El19rocblas_complex_numIdEPKPS1_S1_EviT1_lS5_lT2_lT0_lPT3_i,comdat
	.globl	_ZL36rocblas_hemvn_kernel_upper_block_sumILi64El19rocblas_complex_numIdEPKPS1_S1_EviT1_lS5_lT2_lT0_lPT3_i ; -- Begin function _ZL36rocblas_hemvn_kernel_upper_block_sumILi64El19rocblas_complex_numIdEPKPS1_S1_EviT1_lS5_lT2_lT0_lPT3_i
	.p2align	8
	.type	_ZL36rocblas_hemvn_kernel_upper_block_sumILi64El19rocblas_complex_numIdEPKPS1_S1_EviT1_lS5_lT2_lT0_lPT3_i,@function
_ZL36rocblas_hemvn_kernel_upper_block_sumILi64El19rocblas_complex_numIdEPKPS1_S1_EviT1_lS5_lT2_lT0_lPT3_i: ; @_ZL36rocblas_hemvn_kernel_upper_block_sumILi64El19rocblas_complex_numIdEPKPS1_S1_EviT1_lS5_lT2_lT0_lPT3_i
; %bb.0:
	s_load_b32 s3, s[0:1], 0x60
	s_bfe_u32 s2, ttmp6, 0x40014
	s_lshr_b32 s4, ttmp7, 16
	s_add_co_i32 s2, s2, 1
	s_bfe_u32 s6, ttmp6, 0x40008
	s_mul_i32 s5, s4, s2
	s_getreg_b32 s2, hwreg(HW_REG_IB_STS2, 6, 4)
	s_add_co_i32 s6, s6, s5
	s_cmp_eq_u32 s2, 0
	s_mov_b32 s17, 0
	s_cselect_b32 s16, s4, s6
	s_wait_kmcnt 0x0
	s_cmp_ge_u32 s16, s3
	s_cbranch_scc1 .LBB53_24
; %bb.1:
	s_clause 0x2
	s_load_b128 s[4:7], s[0:1], 0x8
	s_load_b128 s[8:11], s[0:1], 0x20
	;; [unrolled: 1-line block ×3, first 2 shown]
	s_bfe_u32 s20, ttmp6, 0x4000c
	s_and_b32 s21, ttmp6, 15
	s_add_co_i32 s20, s20, 1
	s_wait_kmcnt 0x0
	v_cmp_neq_f64_e64 s25, s[10:11], 0
	v_cmp_neq_f64_e64 s18, s[4:5], 0
	;; [unrolled: 1-line block ×4, first 2 shown]
	v_cmp_neq_f64_e64 s28, s[8:9], 1.0
	s_or_b32 s26, s18, s19
	s_mul_i32 s18, ttmp9, s20
	s_xor_b32 s22, s26, -1
	s_add_co_i32 s21, s21, s18
	s_cmp_eq_u32 s2, 0
	s_load_b32 s18, s[0:1], 0x0
	s_cselect_b32 s27, ttmp9, s21
	s_load_b64 s[20:21], s[0:1], 0x58
	v_lshl_or_b32 v0, s27, 6, v0
	s_or_b32 s19, s23, s25
	s_delay_alu instid0(SALU_CYCLE_1) | instskip(SKIP_1) | instid1(VALU_DEP_2)
	v_cndmask_b32_e64 v10, 0, 1, s19
	s_xor_b32 s23, s19, -1
	v_ashrrev_i32_e32 v1, 31, v0
	s_delay_alu instid0(VALU_DEP_1)
	v_mul_u64_e32 v[4:5], s[14:15], v[0:1]
	s_load_b64 s[14:15], s[0:1], 0x38
	s_wait_xcnt 0x0
	s_add_nc_u64 s[0:1], s[0:1], 0x68
	s_wait_kmcnt 0x0
	v_cmp_gt_i32_e64 s2, s18, v0
	s_ashr_i32 s19, s18, 31
	v_lshl_add_u64 v[0:1], v[0:1], 4, s[20:21]
	s_cmp_gt_i32 s27, -1
	s_cselect_b32 s24, -1, 0
	s_or_b32 s20, s26, s28
	s_delay_alu instid0(VALU_DEP_1)
	v_add_nc_u64_e32 v[6:7], 8, v[0:1]
	s_or_b32 s25, s20, s25
	s_add_co_i32 s26, s27, 1
	s_lshl_b64 s[18:19], s[18:19], 4
	s_lshl_b64 s[12:13], s[12:13], 4
	s_branch .LBB53_4
.LBB53_2:                               ;   in Loop: Header=BB53_4 Depth=1
	s_wait_xcnt 0x0
	s_or_b32 exec_lo, exec_lo, s28
.LBB53_3:                               ;   in Loop: Header=BB53_4 Depth=1
	s_add_co_i32 s16, s16, 0x10000
	s_delay_alu instid0(SALU_CYCLE_1)
	s_cmp_lt_u32 s16, s3
	s_cbranch_scc0 .LBB53_24
.LBB53_4:                               ; =>This Loop Header: Depth=1
                                        ;     Child Loop BB53_15 Depth 2
	s_and_not1_b32 vcc_lo, exec_lo, s25
	s_cbranch_vccnz .LBB53_3
; %bb.5:                                ;   in Loop: Header=BB53_4 Depth=1
	s_lshl_b64 s[20:21], s[16:17], 3
	s_and_not1_b32 vcc_lo, exec_lo, s22
	s_add_nc_u64 s[20:21], s[14:15], s[20:21]
	s_load_b64 s[20:21], s[20:21], 0x0
	s_wait_kmcnt 0x0
	s_wait_xcnt 0x0
	s_add_nc_u64 s[20:21], s[20:21], s[12:13]
	s_cbranch_vccnz .LBB53_10
; %bb.6:                                ;   in Loop: Header=BB53_4 Depth=1
	s_mov_b32 s28, 0
	s_mov_b32 s27, 0
                                        ; implicit-def: $vgpr2_vgpr3
	s_and_saveexec_b32 s29, s2
	s_cbranch_execz .LBB53_11
; %bb.7:                                ;   in Loop: Header=BB53_4 Depth=1
	v_mov_b64_e32 v[2:3], 0
	v_cmp_ne_u32_e32 vcc_lo, 1, v10
	v_mov_b64_e32 v[0:1], 0
	s_cbranch_vccnz .LBB53_9
; %bb.8:                                ;   in Loop: Header=BB53_4 Depth=1
	v_lshl_add_u64 v[0:1], v[4:5], 4, s[20:21]
	flat_load_b128 v[12:15], v[0:1]
	s_wait_loadcnt_dscnt 0x0
	s_wait_xcnt 0x0
	v_mul_f64_e32 v[0:1], s[10:11], v[14:15]
	v_mul_f64_e32 v[2:3], s[8:9], v[14:15]
	s_delay_alu instid0(VALU_DEP_2) | instskip(NEXT) | instid1(VALU_DEP_2)
	v_fma_f64 v[0:1], s[8:9], v[12:13], -v[0:1]
	v_fmac_f64_e32 v[2:3], s[10:11], v[12:13]
.LBB53_9:                               ;   in Loop: Header=BB53_4 Depth=1
	s_mov_b32 s27, exec_lo
	s_or_b32 exec_lo, exec_lo, s29
	s_delay_alu instid0(SALU_CYCLE_1)
	s_and_b32 vcc_lo, exec_lo, s28
	s_cbranch_vccnz .LBB53_12
	s_branch .LBB53_22
.LBB53_10:                              ;   in Loop: Header=BB53_4 Depth=1
	s_mov_b32 s27, 0
                                        ; implicit-def: $vgpr2_vgpr3
	s_cbranch_execnz .LBB53_12
	s_branch .LBB53_22
.LBB53_11:                              ;   in Loop: Header=BB53_4 Depth=1
	s_or_b32 exec_lo, exec_lo, s29
	s_delay_alu instid0(SALU_CYCLE_1)
	s_and_b32 vcc_lo, exec_lo, s28
	s_cbranch_vccz .LBB53_22
.LBB53_12:                              ;   in Loop: Header=BB53_4 Depth=1
                                        ; implicit-def: $vgpr2_vgpr3
	s_and_saveexec_b32 s28, s2
	s_cbranch_execz .LBB53_21
; %bb.13:                               ;   in Loop: Header=BB53_4 Depth=1
	v_mov_b64_e32 v[0:1], 0
	v_mov_b64_e32 v[8:9], 0
	s_and_not1_b32 vcc_lo, exec_lo, s24
	s_cbranch_vccnz .LBB53_16
; %bb.14:                               ;   in Loop: Header=BB53_4 Depth=1
	s_load_b32 s30, s[0:1], 0x0
	s_mov_b32 s31, s17
	v_mov_b64_e32 v[0:1], 0
	v_mov_b64_e32 v[8:9], 0
	s_mov_b32 s29, s26
	s_wait_kmcnt 0x0
	s_mul_u64 s[30:31], s[18:19], s[30:31]
	s_delay_alu instid0(SALU_CYCLE_1) | instskip(NEXT) | instid1(VALU_DEP_1)
	v_mad_nc_u64_u32 v[2:3], s30, s16, v[6:7]
	v_mad_u32 v3, s31, s16, v3
.LBB53_15:                              ;   Parent Loop BB53_4 Depth=1
                                        ; =>  This Inner Loop Header: Depth=2
	global_load_b128 v[12:15], v[2:3], off offset:-8
	s_wait_xcnt 0x0
	v_add_nc_u64_e32 v[2:3], s[18:19], v[2:3]
	s_add_co_i32 s29, s29, -1
	s_delay_alu instid0(SALU_CYCLE_1)
	s_cmp_eq_u32 s29, 0
	s_wait_loadcnt 0x0
	v_add_f64_e32 v[8:9], v[8:9], v[12:13]
	v_add_f64_e32 v[0:1], v[0:1], v[14:15]
	s_cbranch_scc0 .LBB53_15
.LBB53_16:                              ;   in Loop: Header=BB53_4 Depth=1
	s_delay_alu instid0(VALU_DEP_1) | instskip(SKIP_3) | instid1(VALU_DEP_2)
	v_mul_f64_e32 v[12:13], s[6:7], v[0:1]
	v_mul_f64_e32 v[2:3], s[4:5], v[0:1]
	s_and_b32 vcc_lo, exec_lo, s23
	s_mov_b32 s29, -1
	v_fma_f64 v[0:1], s[4:5], v[8:9], -v[12:13]
	s_delay_alu instid0(VALU_DEP_2)
	v_fmac_f64_e32 v[2:3], s[6:7], v[8:9]
	s_cbranch_vccz .LBB53_18
; %bb.17:                               ;   in Loop: Header=BB53_4 Depth=1
	s_mov_b32 s29, 0
.LBB53_18:                              ;   in Loop: Header=BB53_4 Depth=1
	s_delay_alu instid0(SALU_CYCLE_1)
	s_and_not1_b32 vcc_lo, exec_lo, s29
	s_cbranch_vccnz .LBB53_20
; %bb.19:                               ;   in Loop: Header=BB53_4 Depth=1
	v_lshl_add_u64 v[8:9], v[4:5], 4, s[20:21]
	flat_load_b128 v[12:15], v[8:9]
	s_wait_loadcnt_dscnt 0x0
	s_wait_xcnt 0x0
	v_mul_f64_e32 v[8:9], s[10:11], v[14:15]
	v_mul_f64_e32 v[14:15], s[8:9], v[14:15]
	s_delay_alu instid0(VALU_DEP_2) | instskip(NEXT) | instid1(VALU_DEP_2)
	v_fma_f64 v[8:9], s[8:9], v[12:13], -v[8:9]
	v_fmac_f64_e32 v[14:15], s[10:11], v[12:13]
	s_delay_alu instid0(VALU_DEP_2) | instskip(NEXT) | instid1(VALU_DEP_2)
	v_add_f64_e32 v[0:1], v[0:1], v[8:9]
	v_add_f64_e32 v[2:3], v[2:3], v[14:15]
.LBB53_20:                              ;   in Loop: Header=BB53_4 Depth=1
	s_or_b32 s27, s27, exec_lo
.LBB53_21:                              ;   in Loop: Header=BB53_4 Depth=1
	s_or_b32 exec_lo, exec_lo, s28
.LBB53_22:                              ;   in Loop: Header=BB53_4 Depth=1
	s_and_saveexec_b32 s28, s27
	s_cbranch_execz .LBB53_2
; %bb.23:                               ;   in Loop: Header=BB53_4 Depth=1
	v_lshl_add_u64 v[8:9], v[4:5], 4, s[20:21]
	flat_store_b128 v[8:9], v[0:3]
	s_branch .LBB53_2
.LBB53_24:
	s_endpgm
	.section	.rodata,"a",@progbits
	.p2align	6, 0x0
	.amdhsa_kernel _ZL36rocblas_hemvn_kernel_upper_block_sumILi64El19rocblas_complex_numIdEPKPS1_S1_EviT1_lS5_lT2_lT0_lPT3_i
		.amdhsa_group_segment_fixed_size 0
		.amdhsa_private_segment_fixed_size 0
		.amdhsa_kernarg_size 360
		.amdhsa_user_sgpr_count 2
		.amdhsa_user_sgpr_dispatch_ptr 0
		.amdhsa_user_sgpr_queue_ptr 0
		.amdhsa_user_sgpr_kernarg_segment_ptr 1
		.amdhsa_user_sgpr_dispatch_id 0
		.amdhsa_user_sgpr_kernarg_preload_length 0
		.amdhsa_user_sgpr_kernarg_preload_offset 0
		.amdhsa_user_sgpr_private_segment_size 0
		.amdhsa_wavefront_size32 1
		.amdhsa_uses_dynamic_stack 0
		.amdhsa_enable_private_segment 0
		.amdhsa_system_sgpr_workgroup_id_x 1
		.amdhsa_system_sgpr_workgroup_id_y 0
		.amdhsa_system_sgpr_workgroup_id_z 1
		.amdhsa_system_sgpr_workgroup_info 0
		.amdhsa_system_vgpr_workitem_id 0
		.amdhsa_next_free_vgpr 16
		.amdhsa_next_free_sgpr 32
		.amdhsa_named_barrier_count 0
		.amdhsa_reserve_vcc 1
		.amdhsa_float_round_mode_32 0
		.amdhsa_float_round_mode_16_64 0
		.amdhsa_float_denorm_mode_32 3
		.amdhsa_float_denorm_mode_16_64 3
		.amdhsa_fp16_overflow 0
		.amdhsa_memory_ordered 1
		.amdhsa_forward_progress 1
		.amdhsa_inst_pref_size 7
		.amdhsa_round_robin_scheduling 0
		.amdhsa_exception_fp_ieee_invalid_op 0
		.amdhsa_exception_fp_denorm_src 0
		.amdhsa_exception_fp_ieee_div_zero 0
		.amdhsa_exception_fp_ieee_overflow 0
		.amdhsa_exception_fp_ieee_underflow 0
		.amdhsa_exception_fp_ieee_inexact 0
		.amdhsa_exception_int_div_zero 0
	.end_amdhsa_kernel
	.section	.text._ZL36rocblas_hemvn_kernel_upper_block_sumILi64El19rocblas_complex_numIdEPKPS1_S1_EviT1_lS5_lT2_lT0_lPT3_i,"axG",@progbits,_ZL36rocblas_hemvn_kernel_upper_block_sumILi64El19rocblas_complex_numIdEPKPS1_S1_EviT1_lS5_lT2_lT0_lPT3_i,comdat
.Lfunc_end53:
	.size	_ZL36rocblas_hemvn_kernel_upper_block_sumILi64El19rocblas_complex_numIdEPKPS1_S1_EviT1_lS5_lT2_lT0_lPT3_i, .Lfunc_end53-_ZL36rocblas_hemvn_kernel_upper_block_sumILi64El19rocblas_complex_numIdEPKPS1_S1_EviT1_lS5_lT2_lT0_lPT3_i
                                        ; -- End function
	.set _ZL36rocblas_hemvn_kernel_upper_block_sumILi64El19rocblas_complex_numIdEPKPS1_S1_EviT1_lS5_lT2_lT0_lPT3_i.num_vgpr, 16
	.set _ZL36rocblas_hemvn_kernel_upper_block_sumILi64El19rocblas_complex_numIdEPKPS1_S1_EviT1_lS5_lT2_lT0_lPT3_i.num_agpr, 0
	.set _ZL36rocblas_hemvn_kernel_upper_block_sumILi64El19rocblas_complex_numIdEPKPS1_S1_EviT1_lS5_lT2_lT0_lPT3_i.numbered_sgpr, 32
	.set _ZL36rocblas_hemvn_kernel_upper_block_sumILi64El19rocblas_complex_numIdEPKPS1_S1_EviT1_lS5_lT2_lT0_lPT3_i.num_named_barrier, 0
	.set _ZL36rocblas_hemvn_kernel_upper_block_sumILi64El19rocblas_complex_numIdEPKPS1_S1_EviT1_lS5_lT2_lT0_lPT3_i.private_seg_size, 0
	.set _ZL36rocblas_hemvn_kernel_upper_block_sumILi64El19rocblas_complex_numIdEPKPS1_S1_EviT1_lS5_lT2_lT0_lPT3_i.uses_vcc, 1
	.set _ZL36rocblas_hemvn_kernel_upper_block_sumILi64El19rocblas_complex_numIdEPKPS1_S1_EviT1_lS5_lT2_lT0_lPT3_i.uses_flat_scratch, 0
	.set _ZL36rocblas_hemvn_kernel_upper_block_sumILi64El19rocblas_complex_numIdEPKPS1_S1_EviT1_lS5_lT2_lT0_lPT3_i.has_dyn_sized_stack, 0
	.set _ZL36rocblas_hemvn_kernel_upper_block_sumILi64El19rocblas_complex_numIdEPKPS1_S1_EviT1_lS5_lT2_lT0_lPT3_i.has_recursion, 0
	.set _ZL36rocblas_hemvn_kernel_upper_block_sumILi64El19rocblas_complex_numIdEPKPS1_S1_EviT1_lS5_lT2_lT0_lPT3_i.has_indirect_call, 0
	.section	.AMDGPU.csdata,"",@progbits
; Kernel info:
; codeLenInByte = 816
; TotalNumSgprs: 34
; NumVgprs: 16
; ScratchSize: 0
; MemoryBound: 0
; FloatMode: 240
; IeeeMode: 1
; LDSByteSize: 0 bytes/workgroup (compile time only)
; SGPRBlocks: 0
; VGPRBlocks: 0
; NumSGPRsForWavesPerEU: 34
; NumVGPRsForWavesPerEU: 16
; NamedBarCnt: 0
; Occupancy: 16
; WaveLimiterHint : 1
; COMPUTE_PGM_RSRC2:SCRATCH_EN: 0
; COMPUTE_PGM_RSRC2:USER_SGPR: 2
; COMPUTE_PGM_RSRC2:TRAP_HANDLER: 0
; COMPUTE_PGM_RSRC2:TGID_X_EN: 1
; COMPUTE_PGM_RSRC2:TGID_Y_EN: 0
; COMPUTE_PGM_RSRC2:TGID_Z_EN: 1
; COMPUTE_PGM_RSRC2:TIDIG_COMP_CNT: 0
	.section	.text._ZL26rocblas_hemvn_kernel_upperILb1ELi64ELi4ELi33ELi32ELi16Ei19rocblas_complex_numIdEPKPKS1_PS1_EviT6_lT7_lT5_lS8_lS9_lS7_lT8_i,"axG",@progbits,_ZL26rocblas_hemvn_kernel_upperILb1ELi64ELi4ELi33ELi32ELi16Ei19rocblas_complex_numIdEPKPKS1_PS1_EviT6_lT7_lT5_lS8_lS9_lS7_lT8_i,comdat
	.globl	_ZL26rocblas_hemvn_kernel_upperILb1ELi64ELi4ELi33ELi32ELi16Ei19rocblas_complex_numIdEPKPKS1_PS1_EviT6_lT7_lT5_lS8_lS9_lS7_lT8_i ; -- Begin function _ZL26rocblas_hemvn_kernel_upperILb1ELi64ELi4ELi33ELi32ELi16Ei19rocblas_complex_numIdEPKPKS1_PS1_EviT6_lT7_lT5_lS8_lS9_lS7_lT8_i
	.p2align	8
	.type	_ZL26rocblas_hemvn_kernel_upperILb1ELi64ELi4ELi33ELi32ELi16Ei19rocblas_complex_numIdEPKPKS1_PS1_EviT6_lT7_lT5_lS8_lS9_lS7_lT8_i,@function
_ZL26rocblas_hemvn_kernel_upperILb1ELi64ELi4ELi33ELi32ELi16Ei19rocblas_complex_numIdEPKPKS1_PS1_EviT6_lT7_lT5_lS8_lS9_lS7_lT8_i: ; @_ZL26rocblas_hemvn_kernel_upperILb1ELi64ELi4ELi33ELi32ELi16Ei19rocblas_complex_numIdEPKPKS1_PS1_EviT6_lT7_lT5_lS8_lS9_lS7_lT8_i
; %bb.0:
	s_clause 0x1
	s_load_b64 s[2:3], s[0:1], 0x94
	s_load_b32 s33, s[0:1], 0x80
	s_bfe_u32 s4, ttmp6, 0x40014
	s_lshr_b32 s5, ttmp7, 16
	s_add_co_i32 s4, s4, 1
	s_bfe_u32 s6, ttmp6, 0x40008
	s_mul_i32 s4, s5, s4
	s_getreg_b32 s10, hwreg(HW_REG_IB_STS2, 6, 4)
	s_add_co_i32 s6, s6, s4
	s_mov_b32 s23, 0
	s_wait_kmcnt 0x0
	s_lshr_b32 s4, s2, 16
	s_and_b32 s2, s2, 0xffff
	s_and_b32 s3, s3, 0xffff
	s_mul_i32 s2, s4, s2
	s_cmp_eq_u32 s10, 0
	s_mul_i32 s2, s2, s3
	s_cselect_b32 s22, s5, s6
	s_cmp_lg_u32 s2, 0x100
	s_cselect_b32 s2, -1, 0
	s_cmp_ge_u32 s22, s33
	s_cselect_b32 s3, -1, 0
	s_delay_alu instid0(SALU_CYCLE_1) | instskip(NEXT) | instid1(SALU_CYCLE_1)
	s_or_b32 s2, s2, s3
	s_and_b32 vcc_lo, exec_lo, s2
	s_cbranch_vccnz .LBB54_188
; %bb.1:
	s_clause 0x7
	s_load_b128 s[4:7], s[0:1], 0x8
	s_load_b128 s[12:15], s[0:1], 0x60
	s_load_b32 s8, s[0:1], 0x0
	s_load_b64 s[2:3], s[0:1], 0x78
	s_load_b128 s[24:27], s[0:1], 0x20
	s_load_b32 s60, s[0:1], 0x30
	s_load_b128 s[28:31], s[0:1], 0x40
	s_load_b32 s62, s[0:1], 0x50
	s_add_nc_u64 s[16:17], s[0:1], 0x88
	s_wait_xcnt 0x0
	s_bfe_u32 s0, ttmp6, 0x4000c
	s_load_b32 s34, s[16:17], 0x0
	v_bfe_u32 v3, v0, 10, 10
	s_add_co_i32 s0, s0, 1
	s_and_b32 s1, ttmp6, 15
	s_mul_i32 s9, ttmp9, s0
	s_set_vgpr_msb 64                       ;  msbs: dst=1 src0=0 src1=0 src2=0
	v_and_b32_e32 v22 /*v278*/, 0x3ff, v0
	s_set_vgpr_msb 0                        ;  msbs: dst=0 src0=0 src1=0 src2=0
	v_dual_lshlrev_b32 v1, 6, v3 :: v_dual_bitop2_b32 v4, 31, v0 bitop3:0x40
	s_add_co_i32 s1, s1, s9
	v_mov_b32_e32 v2, 0
	s_mov_b32 s35, s23
	s_set_vgpr_msb 0x44                     ;  msbs: dst=1 src0=0 src1=1 src2=0
	v_lshlrev_b32_e32 v23 /*v279*/, 4, v22 /*v278*/
	s_set_vgpr_msb 4                        ;  msbs: dst=0 src0=0 src1=1 src2=0
	v_add_nc_u32_e32 v8, v1, v22 /*v278*/
	s_wait_kmcnt 0x0
	v_cmp_eq_f64_e64 s4, s[4:5], 0
	v_cmp_eq_f64_e64 s5, s[6:7], 0
	v_cmp_neq_f64_e64 s6, s[12:13], 1.0
	v_cmp_neq_f64_e64 s7, s[14:15], 0
	s_ashr_i32 s9, s8, 31
	s_ashr_i32 s61, s60, 31
	s_cmp_eq_u32 s10, 0
	s_mul_u64 s[38:39], s[34:35], s[8:9]
	s_cselect_b32 s36, ttmp9, s1
	s_lshr_b32 s1, s9, 26
	s_add_co_i32 s10, s34, -1
	s_add_co_i32 s1, s8, s1
	s_lshl_b32 s66, s36, 6
	s_and_not1_b32 s1, s1, 63
	s_set_vgpr_msb 0                        ;  msbs: dst=0 src0=0 src1=0 src2=0
	v_dual_lshrrev_b32 v7, 5, v8 :: v_dual_mov_b32 v5, v2
	s_sub_co_i32 s35, s8, s1
	v_lshlrev_b32_e32 v12, 4, v4
	s_set_vgpr_msb 4                        ;  msbs: dst=0 src0=0 src1=1 src2=0
	v_add_nc_u32_e32 v186, s66, v22 /*v278*/
	s_set_vgpr_msb 0                        ;  msbs: dst=0 src0=0 src1=0 src2=0
	v_dual_lshlrev_b32 v11, 2, v7 :: v_dual_lshlrev_b32 v14, 6, v7
	v_add_nc_u32_e32 v6, 8, v7
	v_mul_u32_u24_e32 v16, 0x840, v7
	s_set_vgpr_msb 64                       ;  msbs: dst=1 src0=0 src1=0 src2=0
	v_lshlrev_b32_e32 v30 /*v286*/, 2, v3
	s_set_vgpr_msb 0                        ;  msbs: dst=0 src0=0 src1=0 src2=0
	v_dual_add_nc_u32 v9, 16, v7 :: v_dual_add_nc_u32 v10, 24, v7
	v_lshl_or_b32 v13, v4, 9, v12
	v_or_b32_e32 v15, 1, v11
	s_set_vgpr_msb 64                       ;  msbs: dst=1 src0=0 src1=0 src2=0
	v_add_nc_u32_e32 v39 /*v295*/, v12, v16
	s_set_vgpr_msb 0                        ;  msbs: dst=0 src0=0 src1=0 src2=0
	v_mad_u32 v188, s60, v7, v4
	s_set_vgpr_msb 64                       ;  msbs: dst=1 src0=0 src1=0 src2=0
	v_mad_u32_u24 v24 /*v280*/, 0x210, v7, v12
	v_cmp_eq_u32_e64 s20, 1, v7
	v_mul_i32_i24_e32 v31 /*v287*/, 0xffffffd0, v7
	s_and_b32 s72, s4, s5
	v_add_nc_u32_e32 v32 /*v288*/, 0x4300, v1
	s_or_b32 s73, s6, s7
	s_cmp_eq_u32 s36, s10
	v_cmp_eq_u32_e64 s7, v11, v4
	s_cselect_b32 s42, s35, 0
	v_cmp_gt_u32_e64 s14, 32, v8
	s_cmp_lg_u32 s42, 0
	s_set_vgpr_msb 4                        ;  msbs: dst=0 src0=0 src1=1 src2=0
	v_cmp_gt_i32_e32 vcc_lo, s42, v22 /*v278*/
	s_cselect_b32 s74, -1, 0
	s_cmp_eq_u32 s42, 0
	s_set_vgpr_msb 0                        ;  msbs: dst=0 src0=0 src1=0 src2=0
	v_cmp_gt_u32_e64 s21, 64, v8
	s_cselect_b32 s6, -1, 0
	s_ashr_i32 s37, s36, 31
	s_sub_co_i32 s19, s42, 32
	s_mul_u64 s[4:5], s[8:9], s[36:37]
	v_cmp_le_i32_e64 s17, s19, v6
	s_lshl_b64 s[4:5], s[4:5], 4
	s_or_b32 s56, s6, vcc_lo
	s_add_nc_u64 s[44:45], s[2:3], s[4:5]
	v_cmp_le_i32_e64 s3, s42, v6
	s_set_vgpr_msb 20                       ;  msbs: dst=0 src0=0 src1=1 src2=1
	v_mad_u32 v6, s60, v30 /*v286*/, v22 /*v278*/
	s_set_vgpr_msb 0                        ;  msbs: dst=0 src0=0 src1=0 src2=0
	v_cmp_le_i32_e64 s4, s42, v9
	v_cmp_le_u32_e64 s6, v11, v4
	v_cmp_ge_u32_e64 s8, v11, v4
	v_cmp_le_i32_e64 s18, s19, v9
	v_lshrrev_b32_e32 v9, 4, v8
	v_mul_u32_u24_e32 v17, 0x210, v15
	v_cmp_eq_u32_e64 s9, v15, v4
	v_mul_u32_u24_e32 v15, 33, v4
	s_set_vgpr_msb 64                       ;  msbs: dst=1 src0=0 src1=0 src2=0
	v_add_nc_u32_e32 v26 /*v282*/, v13, v14
	s_set_vgpr_msb 0                        ;  msbs: dst=0 src0=0 src1=0 src2=0
	v_or_b32_e32 v13, 2, v11
	v_dual_ashrrev_i32 v187, 31, v186 :: v_dual_bitop2_b32 v11, 3, v11 bitop3:0x54
	v_cmp_le_i32_e64 s2, s42, v7
	v_cmp_le_i32_e64 s5, s42, v10
	s_delay_alu instid0(VALU_DEP_4)
	v_cmp_le_u32_e64 s10, v13, v4
	v_cmp_eq_u32_e64 s11, v13, v4
	v_lshlrev_b32_e32 v13, 4, v7
	v_cmp_le_u32_e64 s12, v11, v4
	v_cmp_eq_u32_e64 s13, v11, v4
	v_or_b32_e32 v11, 32, v4
	v_cmp_le_i32_e64 s16, s19, v7
	v_cmp_le_i32_e64 s19, s19, v10
	v_dual_ashrrev_i32 v7, 31, v6 :: v_dual_bitop2_b32 v10, 15, v0 bitop3:0x40
	s_delay_alu instid0(VALU_DEP_4)
	v_cmp_gt_i32_e64 s15, s42, v11
	v_dual_lshlrev_b32 v11, 6, v9 :: v_dual_bitop2_b32 v0, 48, v0 bitop3:0x40
	s_lshl_b32 s52, s60, 5
	s_set_vgpr_msb 64                       ;  msbs: dst=1 src0=0 src1=0 src2=0
	v_lshlrev_b32_e32 v27 /*v283*/, 4, v15
	s_ashr_i32 s53, s52, 31
	v_mad_u32_u24 v34 /*v290*/, 0x430, v10, v11
	s_set_vgpr_msb 0                        ;  msbs: dst=0 src0=0 src1=0 src2=0
	v_lshlrev_b32_e32 v11, 4, v0
	v_add_nc_u64_e32 v[0:1], s[52:53], v[6:7]
	v_mul_i32_i24_e32 v15, 0xffffffd0, v9
	s_lshl_b32 s48, s60, 4
	s_mul_i32 s40, s60, s66
	s_lshl_b32 s46, s60, 3
	s_mul_i32 s50, s60, 24
	s_mul_i32 s54, s62, s66
	v_lshlrev_b64_e32 v[8:9], 4, v[0:1]
	s_add_co_i32 s63, s36, 1
	s_ashr_i32 s67, s66, 31
	s_ashr_i32 s41, s40, 31
	;; [unrolled: 1-line block ×3, first 2 shown]
	s_xor_b32 s37, s56, -1
	s_ashr_i32 s47, s46, 31
	v_mad_nc_i64_i32 v[0:1], s48, 48, v[8:9]
	s_ashr_i32 s49, s48, 31
	s_ashr_i32 s51, s50, 31
	s_ashr_i32 s55, s54, 31
	s_cmp_lt_u32 s63, s34
	s_mul_i32 s70, s60, 3
	v_mul_lo_u32 v190, s62, v186
	s_cselect_b32 s75, -1, 0
	s_ashr_i32 s71, s70, 31
	s_lshl_b32 s77, s62, 6
	s_lshl_b32 s64, s60, 1
	s_lshl_b64 s[58:59], s[60:61], 7
	s_lshl_b64 s[68:69], s[60:61], 4
	s_lshl_b64 s[80:81], s[60:61], 5
	s_mul_i32 s60, s62, s63
	s_lshl_b64 s[62:63], s[70:71], 4
	v_lshlrev_b64_e32 v[6:7], 4, v[6:7]
	v_add_nc_u64_e32 v[194:195], s[62:63], v[0:1]
	s_lshl_b64 s[82:83], s[52:53], 4
	s_mul_u64 s[70:71], s[48:49], 48
	v_dual_ashrrev_i32 v189, 31, v188 :: v_dual_ashrrev_i32 v191, 31, v190
	s_set_vgpr_msb 64                       ;  msbs: dst=1 src0=0 src1=0 src2=0
	v_add_nc_u32_e32 v28 /*v284*/, 0x4700, v14
	s_set_vgpr_msb 4                        ;  msbs: dst=0 src0=0 src1=1 src2=0
	v_or_b32_e32 v14, 0xf0, v23 /*v279*/
	s_ashr_i32 s65, s64, 31
	s_add_nc_u64 s[84:85], s[80:81], s[82:83]
	s_add_nc_u64 s[70:71], s[70:71], s[80:81]
	s_lshl_b64 s[80:81], s[48:49], 5
	s_lshl_b64 s[64:65], s[64:65], 4
	;; [unrolled: 1-line block ×3, first 2 shown]
	s_set_vgpr_msb 0                        ;  msbs: dst=0 src0=0 src1=0 src2=0
	v_add_nc_u64_e32 v[206:207], s[70:71], v[8:9]
	s_add_nc_u64 s[70:71], s[80:81], s[82:83]
	s_set_vgpr_msb 64                       ;  msbs: dst=1 src0=0 src1=0 src2=0
	v_mad_u32_u24 v36 /*v292*/, 0x430, v10, v14
	s_set_vgpr_msb 0                        ;  msbs: dst=0 src0=0 src1=0 src2=0
	v_or_b32_e32 v194, 8, v194
	s_set_vgpr_msb 64                       ;  msbs: dst=1 src0=0 src1=0 src2=0
	v_mad_u32_u24 v35 /*v291*/, 0x430, v10, v11
	s_set_vgpr_msb 0                        ;  msbs: dst=0 src0=0 src1=0 src2=0
	v_lshlrev_b64_e32 v[10:11], 4, v[188:189]
	s_add_nc_u64 s[90:91], s[84:85], s[88:89]
	s_add_nc_u64 s[94:95], s[70:71], s[62:63]
	;; [unrolled: 1-line block ×3, first 2 shown]
	v_add_nc_u64_e32 v[212:213], s[70:71], v[6:7]
	s_add_nc_u64 s[70:71], s[70:71], s[68:69]
	s_add_nc_u64 s[80:81], s[84:85], s[80:81]
	v_add_nc_u64_e32 v[192:193], s[84:85], v[6:7]
	v_add_nc_u64_e32 v[198:199], s[64:65], v[0:1]
	v_or_b32_e32 v0, 8, v0
	v_add_nc_u64_e32 v[204:205], s[90:91], v[6:7]
	v_add_nc_u64_e32 v[208:209], s[94:95], v[6:7]
	v_add_nc_u64_e32 v[210:211], s[96:97], v[6:7]
	v_add_nc_u64_e32 v[214:215], s[70:71], v[6:7]
	v_add_nc_u64_e32 v[216:217], s[80:81], v[6:7]
	s_add_nc_u64 s[86:87], s[68:69], s[82:83]
	v_add_nc_u64_e32 v[202:203], s[82:83], v[6:7]
	s_add_nc_u64 s[90:91], s[82:83], s[64:65]
	s_add_nc_u64 s[92:93], s[82:83], s[62:63]
	;; [unrolled: 1-line block ×6, first 2 shown]
	v_cmp_eq_u32_e64 s0, 0, v3
	v_sub_nc_u64_e32 v[196:197], 0, v[10:11]
	v_add_nc_u64_e32 v[200:201], s[86:87], v[6:7]
	v_add_nc_u64_e32 v[218:219], s[90:91], v[6:7]
	;; [unrolled: 1-line block ×7, first 2 shown]
	v_sub_nc_u64_e32 v[230:231], 0, v[4:5]
	v_add_nc_u64_e32 v[234:235], s[68:69], v[0:1]
	v_cmp_gt_i32_e64 s1, s42, v4
	s_set_vgpr_msb 0x41                     ;  msbs: dst=1 src0=1 src1=0 src2=0
	v_mad_u32_u24 v25 /*v281*/, 0x210, v4, v12
	v_dual_add_nc_u32 v29 /*v285*/, v27 /*v283*/, v13 :: v_dual_add_nc_u32 v41 /*v297*/, v34 /*v290*/, v15
	s_set_vgpr_msb 0x50                     ;  msbs: dst=1 src0=0 src1=0 src2=1
	v_mad_u32_u24 v33 /*v289*/, 0x10c0, v3, v23 /*v279*/
	v_mad_u32_u24 v37 /*v293*/, 0x430, v3, v23 /*v279*/
	v_add_nc_u32_e32 v38 /*v294*/, 0x4700, v13
	s_set_vgpr_msb 0                        ;  msbs: dst=0 src0=0 src1=0 src2=0
	v_or_b32_e32 v192, 8, v192
	v_dual_lshlrev_b32 v232, 4, v4 :: v_dual_bitop2_b32 v198, 8, v198 bitop3:0x54
	v_or_b32_e32 v204, 8, v204
	s_set_vgpr_msb 64                       ;  msbs: dst=1 src0=0 src1=0 src2=0
	v_dual_add_nc_u32 v40 /*v296*/, v12, v17 :: v_dual_add_nc_u32 v65 /*v321*/, 64, v186
	s_set_vgpr_msb 0                        ;  msbs: dst=0 src0=0 src1=0 src2=0
	v_or_b32_e32 v208, 8, v208
	v_or_b32_e32 v210, 8, v210
	;; [unrolled: 1-line block ×5, first 2 shown]
	s_set_vgpr_msb 0x44                     ;  msbs: dst=1 src0=0 src1=1 src2=0
	v_add_nc_u32_e32 v42 /*v298*/, 0x4700, v23 /*v279*/
	v_add_nc_u32_e32 v43 /*v299*/, 0x1080, v24 /*v280*/
	;; [unrolled: 1-line block ×4, first 2 shown]
	v_dual_add_nc_u32 v46 /*v302*/, 16, v26 /*v282*/ :: v_dual_add_nc_u32 v47 /*v303*/, 32, v26 /*v282*/
	v_add_nc_u32_e32 v48 /*v304*/, 48, v26 /*v282*/
	v_add_nc_u32_e32 v49 /*v305*/, 0x4300, v23 /*v279*/
	v_dual_add_nc_u32 v53 /*v309*/, 16, v30 /*v286*/ :: v_dual_bitop2_b32 v50 /*v306*/, 1, v30 /*v286*/ bitop3:0x54
	v_dual_add_nc_u32 v54 /*v310*/, 17, v30 /*v286*/ :: v_dual_bitop2_b32 v51 /*v307*/, 2, v30 /*v286*/ bitop3:0x54
	;; [unrolled: 1-line block ×3, first 2 shown]
	v_dual_add_nc_u32 v56 /*v312*/, 19, v30 /*v286*/ :: v_dual_add_nc_u32 v57 /*v313*/, 32, v30 /*v286*/
	v_dual_add_nc_u32 v58 /*v314*/, 33, v30 /*v286*/ :: v_dual_add_nc_u32 v59 /*v315*/, 34, v30 /*v286*/
	;; [unrolled: 1-line block ×4, first 2 shown]
	v_add_nc_u32_e32 v64 /*v320*/, 51, v30 /*v286*/
	s_sub_nc_u64 s[54:55], 0, s[54:55]
	s_add_co_i32 s76, s34, -2
	s_and_b32 s78, s0, s56
	s_sub_nc_u64 s[56:57], 0, s[42:43]
	s_lshl_b32 s79, s60, 6
	s_lshl_b64 s[60:61], s[48:49], 6
	s_mov_b64 s[62:63], 0xfffffffffffffe00
	s_mov_b64 s[64:65], 0xfffffffffffffdf0
	s_lshl_b64 s[30:31], s[30:31], 4
	s_lshl_b64 s[26:27], s[26:27], 4
	;; [unrolled: 1-line block ×3, first 2 shown]
	s_set_vgpr_msb 0                        ;  msbs: dst=0 src0=0 src1=0 src2=0
	s_branch .LBB54_4
.LBB54_2:                               ;   in Loop: Header=BB54_4 Depth=1
	s_wait_xcnt 0x0
	s_or_b32 exec_lo, exec_lo, s70
.LBB54_3:                               ;   in Loop: Header=BB54_4 Depth=1
	s_add_co_i32 s22, s22, 0x10000
	s_delay_alu instid0(SALU_CYCLE_1)
	s_cmp_lt_u32 s22, s33
	s_cbranch_scc0 .LBB54_188
.LBB54_4:                               ; =>This Loop Header: Depth=1
                                        ;     Child Loop BB54_112 Depth 2
	s_and_not1_b32 vcc_lo, exec_lo, s72
	s_mov_b32 s68, -1
	s_cbranch_vccz .LBB54_6
; %bb.5:                                ;   in Loop: Header=BB54_4 Depth=1
	s_and_not1_b32 vcc_lo, exec_lo, s68
	s_cbranch_vccnz .LBB54_3
	s_branch .LBB54_7
.LBB54_6:                               ;   in Loop: Header=BB54_4 Depth=1
	s_and_b32 vcc_lo, exec_lo, s73
	s_cbranch_execnz .LBB54_3
.LBB54_7:                               ;   in Loop: Header=BB54_4 Depth=1
	v_mov_b32_e32 v3, s22
	s_clause 0x1
	global_load_b64 v[4:5], v3, s[28:29] scale_offset
	global_load_b64 v[6:7], v3, s[24:25] scale_offset
	s_wait_loadcnt 0x1
	v_add_nc_u64_e32 v[4:5], s[30:31], v[4:5]
	s_delay_alu instid0(VALU_DEP_1)
	v_lshl_add_u64 v[42:43], v[190:191], 4, v[4:5]
	s_wait_xcnt 0x0
	s_and_saveexec_b32 s68, s0
	s_cbranch_execz .LBB54_12
; %bb.8:                                ;   in Loop: Header=BB54_4 Depth=1
	s_and_saveexec_b32 s69, s37
	s_delay_alu instid0(SALU_CYCLE_1)
	s_xor_b32 s69, exec_lo, s69
; %bb.9:                                ;   in Loop: Header=BB54_4 Depth=1
	v_dual_mov_b32 v3, v2 :: v_dual_mov_b32 v4, v2
	v_mov_b32_e32 v5, v2
	s_set_vgpr_msb 1                        ;  msbs: dst=0 src0=1 src1=0 src2=0
	ds_store_b128 v42 /*v298*/, v[2:5]
; %bb.10:                               ;   in Loop: Header=BB54_4 Depth=1
	s_and_not1_saveexec_b32 s69, s69
	s_set_vgpr_msb 0                        ;  msbs: dst=0 src0=0 src1=0 src2=0
	s_cbranch_execz .LBB54_12
; %bb.11:                               ;   in Loop: Header=BB54_4 Depth=1
	flat_load_b128 v[8:11], v[42:43]
	s_wait_loadcnt_dscnt 0x0
	s_set_vgpr_msb 1                        ;  msbs: dst=0 src0=1 src1=0 src2=0
	ds_store_2addr_b64 v42 /*v298*/, v[8:9], v[10:11] offset1:1
.LBB54_12:                              ;   in Loop: Header=BB54_4 Depth=1
	s_wait_xcnt 0x0
	s_or_b32 exec_lo, exec_lo, s68
	s_wait_loadcnt 0x0
	s_set_vgpr_msb 0                        ;  msbs: dst=0 src0=0 src1=0 src2=0
	v_add_nc_u64_e32 v[4:5], s[26:27], v[6:7]
	s_and_b32 vcc_lo, exec_lo, s74
	s_mov_b32 s68, -1
                                        ; implicit-def: $vgpr10_vgpr11
	s_delay_alu instid0(VALU_DEP_1) | instskip(NEXT) | instid1(VALU_DEP_1)
	v_add_nc_u64_e32 v[4:5], s[66:67], v[4:5]
	v_lshl_add_u64 v[4:5], v[188:189], 4, v[4:5]
	s_delay_alu instid0(VALU_DEP_1)
	v_lshl_add_u64 v[6:7], s[40:41], 4, v[4:5]
	s_cbranch_vccz .LBB54_24
; %bb.13:                               ;   in Loop: Header=BB54_4 Depth=1
	s_and_saveexec_b32 s68, s2
	s_delay_alu instid0(SALU_CYCLE_1)
	s_xor_b32 s68, exec_lo, s68
; %bb.14:                               ;   in Loop: Header=BB54_4 Depth=1
	v_dual_mov_b32 v3, v2 :: v_dual_mov_b32 v4, v2
	v_mov_b32_e32 v5, v2
	s_set_vgpr_msb 1                        ;  msbs: dst=0 src0=1 src1=0 src2=0
	ds_store_b128 v24 /*v280*/, v[2:5]
; %bb.15:                               ;   in Loop: Header=BB54_4 Depth=1
	s_or_saveexec_b32 s68, s68
	s_set_vgpr_msb 0                        ;  msbs: dst=0 src0=0 src1=0 src2=0
	v_lshl_add_u64 v[4:5], v[230:231], 4, v[6:7]
	s_delay_alu instid0(VALU_DEP_1) | instskip(NEXT) | instid1(VALU_DEP_1)
	v_lshl_add_u64 v[4:5], s[42:43], 4, v[4:5]
	v_add_nc_u64_e32 v[4:5], -16, v[4:5]
	s_delay_alu instid0(VALU_DEP_1)
	v_dual_cndmask_b32 v9, v5, v7, s1 :: v_dual_cndmask_b32 v8, v4, v6, s1
	s_xor_b32 exec_lo, exec_lo, s68
	s_cbranch_execnz .LBB54_170
; %bb.16:                               ;   in Loop: Header=BB54_4 Depth=1
	s_or_b32 exec_lo, exec_lo, s68
	s_and_saveexec_b32 s68, s3
	s_delay_alu instid0(SALU_CYCLE_1)
	s_xor_b32 s68, exec_lo, s68
	s_cbranch_execnz .LBB54_171
.LBB54_17:                              ;   in Loop: Header=BB54_4 Depth=1
	s_and_not1_saveexec_b32 s68, s68
	s_cbranch_execnz .LBB54_172
.LBB54_18:                              ;   in Loop: Header=BB54_4 Depth=1
	s_or_b32 exec_lo, exec_lo, s68
	s_and_saveexec_b32 s68, s4
	s_delay_alu instid0(SALU_CYCLE_1)
	s_xor_b32 s68, exec_lo, s68
	s_cbranch_execnz .LBB54_173
.LBB54_19:                              ;   in Loop: Header=BB54_4 Depth=1
	s_and_not1_saveexec_b32 s68, s68
	s_cbranch_execnz .LBB54_174
.LBB54_20:                              ;   in Loop: Header=BB54_4 Depth=1
	s_or_b32 exec_lo, exec_lo, s68
	s_and_saveexec_b32 s68, s5
	s_delay_alu instid0(SALU_CYCLE_1)
	s_xor_b32 s68, exec_lo, s68
	s_cbranch_execnz .LBB54_175
.LBB54_21:                              ;   in Loop: Header=BB54_4 Depth=1
	s_and_not1_saveexec_b32 s68, s68
	s_cbranch_execz .LBB54_23
.LBB54_22:                              ;   in Loop: Header=BB54_4 Depth=1
	v_lshl_add_u64 v[4:5], s[50:51], 4, v[8:9]
	flat_load_b128 v[10:13], v[4:5]
	s_wait_loadcnt_dscnt 0x0
	s_set_vgpr_msb 1                        ;  msbs: dst=0 src0=1 src1=0 src2=0
	ds_store_2addr_b64 v45 /*v301*/, v[10:11], v[12:13] offset1:1
.LBB54_23:                              ;   in Loop: Header=BB54_4 Depth=1
	s_wait_xcnt 0x0
	s_or_b32 exec_lo, exec_lo, s68
	s_set_vgpr_msb 0                        ;  msbs: dst=0 src0=0 src1=0 src2=0
	v_mov_b32_e32 v233, v2
	s_mov_b32 s68, 0
	s_delay_alu instid0(VALU_DEP_1) | instskip(NEXT) | instid1(VALU_DEP_1)
	v_add_nc_u64_e32 v[4:5], v[8:9], v[232:233]
	v_lshl_add_u64 v[4:5], s[56:57], 4, v[4:5]
	s_delay_alu instid0(VALU_DEP_1) | instskip(NEXT) | instid1(VALU_DEP_1)
	v_add_nc_u64_e32 v[4:5], 16, v[4:5]
	v_dual_cndmask_b32 v11, v5, v7, s1 :: v_dual_cndmask_b32 v10, v4, v6, s1
.LBB54_24:                              ;   in Loop: Header=BB54_4 Depth=1
	s_and_b32 vcc_lo, exec_lo, s68
	s_cbranch_vccz .LBB54_26
; %bb.25:                               ;   in Loop: Header=BB54_4 Depth=1
	flat_load_b128 v[8:11], v[6:7]
	v_lshl_add_u64 v[4:5], s[46:47], 4, v[6:7]
	s_wait_loadcnt_dscnt 0x0
	s_set_vgpr_msb 1                        ;  msbs: dst=0 src0=1 src1=0 src2=0
	ds_store_2addr_b64 v24 /*v280*/, v[8:9], v[10:11] offset1:1
	s_set_vgpr_msb 0                        ;  msbs: dst=0 src0=0 src1=0 src2=0
	flat_load_b128 v[8:11], v[4:5]
	s_wait_xcnt 0x0
	v_add_nc_u64_e32 v[4:5], s[58:59], v[4:5]
	s_wait_loadcnt_dscnt 0x0
	s_set_vgpr_msb 1                        ;  msbs: dst=0 src0=1 src1=0 src2=0
	ds_store_2addr_b64 v43 /*v299*/, v[8:9], v[10:11] offset1:1
	s_set_vgpr_msb 0                        ;  msbs: dst=0 src0=0 src1=0 src2=0
	flat_load_b128 v[8:11], v[4:5]
	s_wait_xcnt 0x0
	v_add_nc_u64_e32 v[4:5], s[58:59], v[4:5]
	s_wait_loadcnt_dscnt 0x0
	s_set_vgpr_msb 1                        ;  msbs: dst=0 src0=1 src1=0 src2=0
	ds_store_2addr_b64 v44 /*v300*/, v[8:9], v[10:11] offset1:1
	s_set_vgpr_msb 0                        ;  msbs: dst=0 src0=0 src1=0 src2=0
	flat_load_b128 v[12:15], v[4:5]
	v_mov_b64_e32 v[10:11], v[6:7]
	s_wait_loadcnt_dscnt 0x0
	s_set_vgpr_msb 1                        ;  msbs: dst=0 src0=1 src1=0 src2=0
	ds_store_2addr_b64 v45 /*v301*/, v[12:13], v[14:15] offset1:1
.LBB54_26:                              ;   in Loop: Header=BB54_4 Depth=1
	s_mov_b32 s68, 0
	s_wait_dscnt 0x0
	s_barrier_signal -1
	s_barrier_wait -1
	s_wait_xcnt 0x0
	s_and_saveexec_b32 s69, s6
	s_delay_alu instid0(SALU_CYCLE_1)
	s_xor_b32 s69, exec_lo, s69
; %bb.27:                               ;   in Loop: Header=BB54_4 Depth=1
	s_and_b32 s68, s7, exec_lo
; %bb.28:                               ;   in Loop: Header=BB54_4 Depth=1
	s_or_saveexec_b32 s69, s69
	s_set_vgpr_msb 1                        ;  msbs: dst=0 src0=1 src1=0 src2=0
	v_mov_b64_e32 v[6:7], 0
	v_mov_b32_e32 v3, v25 /*v281*/
	s_xor_b32 exec_lo, exec_lo, s69
	s_set_vgpr_msb 0                        ;  msbs: dst=0 src0=0 src1=0 src2=0
	s_cbranch_execz .LBB54_30
; %bb.29:                               ;   in Loop: Header=BB54_4 Depth=1
	s_set_vgpr_msb 1                        ;  msbs: dst=0 src0=1 src1=0 src2=0
	ds_load_b128 v[4:7], v39 /*v295*/
	v_mov_b32_e32 v3, v26 /*v282*/
	s_or_b32 s68, s68, exec_lo
	s_wait_dscnt 0x0
	v_xor_b32_e32 v7, 0x80000000, v7
	ds_store_b64 v26 /*v282*/, v[4:5]
.LBB54_30:                              ;   in Loop: Header=BB54_4 Depth=1
	s_or_b32 exec_lo, exec_lo, s69
	s_and_saveexec_b32 s69, s68
; %bb.31:                               ;   in Loop: Header=BB54_4 Depth=1
	s_set_vgpr_msb 0                        ;  msbs: dst=0 src0=0 src1=0 src2=0
	ds_store_b64 v3, v[6:7] offset:8
; %bb.32:                               ;   in Loop: Header=BB54_4 Depth=1
	s_or_b32 exec_lo, exec_lo, s69
	s_mov_b32 s68, 0
                                        ; implicit-def: $vgpr6_vgpr7
	s_and_saveexec_b32 s69, s8
	s_delay_alu instid0(SALU_CYCLE_1)
	s_xor_b32 s69, exec_lo, s69
	s_cbranch_execnz .LBB54_166
; %bb.33:                               ;   in Loop: Header=BB54_4 Depth=1
	s_or_saveexec_b32 s69, s69
	s_set_vgpr_msb 1                        ;  msbs: dst=0 src0=1 src1=0 src2=0
	v_mov_b32_e32 v3, v46 /*v302*/
	s_xor_b32 exec_lo, exec_lo, s69
	s_set_vgpr_msb 0                        ;  msbs: dst=0 src0=0 src1=0 src2=0
	s_cbranch_execnz .LBB54_167
.LBB54_34:                              ;   in Loop: Header=BB54_4 Depth=1
	s_or_b32 exec_lo, exec_lo, s69
	s_and_saveexec_b32 s69, s68
.LBB54_35:                              ;   in Loop: Header=BB54_4 Depth=1
	ds_store_b64 v3, v[6:7] offset:8
.LBB54_36:                              ;   in Loop: Header=BB54_4 Depth=1
	s_or_b32 exec_lo, exec_lo, s69
	s_mov_b32 s68, 0
	s_and_saveexec_b32 s69, s10
	s_delay_alu instid0(SALU_CYCLE_1)
	s_xor_b32 s69, exec_lo, s69
; %bb.37:                               ;   in Loop: Header=BB54_4 Depth=1
	s_and_b32 s68, s11, exec_lo
; %bb.38:                               ;   in Loop: Header=BB54_4 Depth=1
	s_or_saveexec_b32 s69, s69
	v_mov_b64_e32 v[6:7], 0
	s_set_vgpr_msb 1                        ;  msbs: dst=0 src0=1 src1=0 src2=0
	v_mov_b32_e32 v3, v25 /*v281*/
	s_xor_b32 exec_lo, exec_lo, s69
	s_set_vgpr_msb 0                        ;  msbs: dst=0 src0=0 src1=0 src2=0
	s_cbranch_execz .LBB54_40
; %bb.39:                               ;   in Loop: Header=BB54_4 Depth=1
	s_set_vgpr_msb 1                        ;  msbs: dst=0 src0=1 src1=0 src2=0
	ds_load_b128 v[4:7], v40 /*v296*/ offset:528
	v_mov_b32_e32 v3, v47 /*v303*/
	s_or_b32 s68, s68, exec_lo
	s_wait_dscnt 0x0
	v_xor_b32_e32 v7, 0x80000000, v7
	ds_store_b64 v47 /*v303*/, v[4:5]
.LBB54_40:                              ;   in Loop: Header=BB54_4 Depth=1
	s_or_b32 exec_lo, exec_lo, s69
	s_and_saveexec_b32 s69, s68
; %bb.41:                               ;   in Loop: Header=BB54_4 Depth=1
	s_set_vgpr_msb 0                        ;  msbs: dst=0 src0=0 src1=0 src2=0
	ds_store_b64 v3, v[6:7] offset:8
; %bb.42:                               ;   in Loop: Header=BB54_4 Depth=1
	s_or_b32 exec_lo, exec_lo, s69
	s_mov_b32 s68, 0
	s_and_saveexec_b32 s69, s12
	s_delay_alu instid0(SALU_CYCLE_1)
	s_xor_b32 s69, exec_lo, s69
; %bb.43:                               ;   in Loop: Header=BB54_4 Depth=1
	s_and_b32 s68, s13, exec_lo
; %bb.44:                               ;   in Loop: Header=BB54_4 Depth=1
	s_or_saveexec_b32 s69, s69
	v_mov_b64_e32 v[6:7], 0
	s_set_vgpr_msb 1                        ;  msbs: dst=0 src0=1 src1=0 src2=0
	v_mov_b32_e32 v3, v25 /*v281*/
	s_xor_b32 exec_lo, exec_lo, s69
	s_set_vgpr_msb 0                        ;  msbs: dst=0 src0=0 src1=0 src2=0
	s_cbranch_execz .LBB54_46
; %bb.45:                               ;   in Loop: Header=BB54_4 Depth=1
	s_set_vgpr_msb 1                        ;  msbs: dst=0 src0=1 src1=0 src2=0
	ds_load_b128 v[4:7], v40 /*v296*/ offset:1056
	v_mov_b32_e32 v3, v48 /*v304*/
	s_or_b32 s68, s68, exec_lo
	s_wait_dscnt 0x0
	v_xor_b32_e32 v7, 0x80000000, v7
	ds_store_b64 v48 /*v304*/, v[4:5]
.LBB54_46:                              ;   in Loop: Header=BB54_4 Depth=1
	s_or_b32 exec_lo, exec_lo, s69
	s_and_saveexec_b32 s69, s68
; %bb.47:                               ;   in Loop: Header=BB54_4 Depth=1
	s_set_vgpr_msb 0                        ;  msbs: dst=0 src0=0 src1=0 src2=0
	ds_store_b64 v3, v[6:7] offset:8
; %bb.48:                               ;   in Loop: Header=BB54_4 Depth=1
	s_or_b32 exec_lo, exec_lo, s69
	s_wait_dscnt 0x0
	s_barrier_signal -1
	s_barrier_wait -1
	s_set_vgpr_msb 1                        ;  msbs: dst=0 src0=1 src1=0 src2=0
	ds_load_b128 v[4:7], v39 /*v295*/
	ds_load_b128 v[12:15], v28 /*v284*/
	ds_load_b128 v[16:19], v28 /*v284*/ offset:16
	ds_load_b128 v[20:23], v40 /*v296*/
	s_wait_dscnt 0x2
	s_set_vgpr_msb 0                        ;  msbs: dst=0 src0=0 src1=0 src2=0
	v_mul_f64_e32 v[8:9], v[14:15], v[6:7]
	v_mul_f64_e32 v[30:31], v[12:13], v[6:7]
	s_wait_dscnt 0x0
	v_mul_f64_e32 v[32:33], v[18:19], v[22:23]
	v_mul_f64_e32 v[34:35], v[16:17], v[22:23]
	s_delay_alu instid0(VALU_DEP_4) | instskip(NEXT) | instid1(VALU_DEP_4)
	v_fma_f64 v[8:9], v[12:13], v[4:5], -v[8:9]
	v_fmac_f64_e32 v[30:31], v[14:15], v[4:5]
	s_set_vgpr_msb 1                        ;  msbs: dst=0 src0=1 src1=0 src2=0
	ds_load_b128 v[4:7], v40 /*v296*/ offset:528
	ds_load_b128 v[12:15], v28 /*v284*/ offset:32
	;; [unrolled: 1-line block ×4, first 2 shown]
	s_set_vgpr_msb 0                        ;  msbs: dst=0 src0=0 src1=0 src2=0
	v_fma_f64 v[16:17], v[16:17], v[20:21], -v[32:33]
	v_fmac_f64_e32 v[34:35], v[18:19], v[20:21]
	s_wait_dscnt 0x0
	s_barrier_signal -1
	s_barrier_wait -1
	v_mul_f64_e32 v[36:37], v[14:15], v[6:7]
	v_mul_f64_e32 v[6:7], v[12:13], v[6:7]
	;; [unrolled: 1-line block ×4, first 2 shown]
	v_add_f64_e32 v[8:9], 0, v[8:9]
	v_add_f64_e32 v[18:19], 0, v[30:31]
	v_fma_f64 v[12:13], v[12:13], v[4:5], -v[36:37]
	v_fmac_f64_e32 v[6:7], v[14:15], v[4:5]
	v_fma_f64 v[14:15], v[22:23], v[26:27], -v[20:21]
	v_fmac_f64_e32 v[28:29], v[24:25], v[26:27]
	v_add_f64_e32 v[4:5], v[8:9], v[16:17]
	v_add_f64_e32 v[8:9], v[18:19], v[34:35]
	s_delay_alu instid0(VALU_DEP_2) | instskip(NEXT) | instid1(VALU_DEP_2)
	v_add_f64_e32 v[4:5], v[4:5], v[12:13]
	v_add_f64_e32 v[6:7], v[8:9], v[6:7]
	v_mov_b64_e32 v[8:9], 0
	s_delay_alu instid0(VALU_DEP_3) | instskip(NEXT) | instid1(VALU_DEP_3)
	v_add_f64_e32 v[12:13], v[4:5], v[14:15]
	v_add_f64_e32 v[14:15], v[6:7], v[28:29]
	v_mov_b64_e32 v[6:7], 0
	s_set_vgpr_msb 1                        ;  msbs: dst=0 src0=1 src1=0 src2=0
	ds_store_b128 v29 /*v285*/, v[12:15]
	s_wait_dscnt 0x0
	s_barrier_signal -1
	s_barrier_wait -1
	s_and_saveexec_b32 s68, s14
	s_set_vgpr_msb 0                        ;  msbs: dst=0 src0=0 src1=0 src2=0
	s_cbranch_execz .LBB54_50
; %bb.49:                               ;   in Loop: Header=BB54_4 Depth=1
	s_set_vgpr_msb 1                        ;  msbs: dst=0 src0=1 src1=0 src2=0
	ds_load_b128 v[4:7], v27 /*v283*/
	ds_load_b128 v[12:15], v27 /*v283*/ offset:16
	s_wait_dscnt 0x0
	s_set_vgpr_msb 0                        ;  msbs: dst=0 src0=0 src1=0 src2=0
	v_add_f64_e32 v[8:9], v[12:13], v[4:5]
	v_add_f64_e32 v[16:17], v[14:15], v[6:7]
	s_set_vgpr_msb 1                        ;  msbs: dst=0 src0=1 src1=0 src2=0
	ds_load_b128 v[4:7], v27 /*v283*/ offset:32
	ds_load_b128 v[12:15], v27 /*v283*/ offset:48
	s_wait_dscnt 0x1
	s_set_vgpr_msb 0                        ;  msbs: dst=0 src0=0 src1=0 src2=0
	v_add_f64_e32 v[4:5], v[8:9], v[4:5]
	v_add_f64_e32 v[6:7], v[16:17], v[6:7]
	s_wait_dscnt 0x0
	s_delay_alu instid0(VALU_DEP_2) | instskip(NEXT) | instid1(VALU_DEP_2)
	v_add_f64_e32 v[8:9], v[4:5], v[12:13]
	v_add_f64_e32 v[16:17], v[6:7], v[14:15]
	s_set_vgpr_msb 1                        ;  msbs: dst=0 src0=1 src1=0 src2=0
	ds_load_b128 v[4:7], v27 /*v283*/ offset:64
	ds_load_b128 v[12:15], v27 /*v283*/ offset:80
	s_wait_dscnt 0x1
	s_set_vgpr_msb 0                        ;  msbs: dst=0 src0=0 src1=0 src2=0
	v_add_f64_e32 v[4:5], v[8:9], v[4:5]
	v_add_f64_e32 v[6:7], v[16:17], v[6:7]
	s_wait_dscnt 0x0
	s_delay_alu instid0(VALU_DEP_2) | instskip(NEXT) | instid1(VALU_DEP_2)
	;; [unrolled: 11-line block ×3, first 2 shown]
	v_add_f64_e32 v[6:7], v[4:5], v[12:13]
	v_add_f64_e32 v[8:9], v[8:9], v[14:15]
.LBB54_50:                              ;   in Loop: Header=BB54_4 Depth=1
	s_or_b32 exec_lo, exec_lo, s68
	v_lshl_add_u64 v[12:13], s[52:53], 4, v[10:11]
	s_and_b32 vcc_lo, exec_lo, s74
	s_mov_b32 s68, -1
	s_barrier_signal -1
	s_delay_alu instid0(VALU_DEP_1)
	v_add_nc_u64_e32 v[10:11], 0x200, v[12:13]
	s_barrier_wait -1
                                        ; implicit-def: $vgpr14_vgpr15
	s_cbranch_vccz .LBB54_62
; %bb.51:                               ;   in Loop: Header=BB54_4 Depth=1
	s_and_saveexec_b32 s68, s16
	s_delay_alu instid0(SALU_CYCLE_1)
	s_xor_b32 s68, exec_lo, s68
; %bb.52:                               ;   in Loop: Header=BB54_4 Depth=1
	v_dual_mov_b32 v3, v2 :: v_dual_mov_b32 v4, v2
	v_mov_b32_e32 v5, v2
	s_set_vgpr_msb 1                        ;  msbs: dst=0 src0=1 src1=0 src2=0
	ds_store_b128 v24 /*v280*/, v[2:5]
; %bb.53:                               ;   in Loop: Header=BB54_4 Depth=1
	s_or_saveexec_b32 s68, s68
	s_set_vgpr_msb 0                        ;  msbs: dst=0 src0=0 src1=0 src2=0
	v_lshl_add_u64 v[4:5], v[230:231], 4, v[12:13]
	s_delay_alu instid0(VALU_DEP_1) | instskip(NEXT) | instid1(VALU_DEP_1)
	v_lshl_add_u64 v[4:5], s[42:43], 4, v[4:5]
	v_add_nc_u64_e32 v[4:5], -16, v[4:5]
	s_delay_alu instid0(VALU_DEP_1)
	v_dual_cndmask_b32 v15, v5, v11, s15 :: v_dual_cndmask_b32 v14, v4, v10, s15
	s_xor_b32 exec_lo, exec_lo, s68
	s_cbranch_execnz .LBB54_176
; %bb.54:                               ;   in Loop: Header=BB54_4 Depth=1
	s_or_b32 exec_lo, exec_lo, s68
	s_and_saveexec_b32 s68, s17
	s_delay_alu instid0(SALU_CYCLE_1)
	s_xor_b32 s68, exec_lo, s68
	s_cbranch_execnz .LBB54_177
.LBB54_55:                              ;   in Loop: Header=BB54_4 Depth=1
	s_and_not1_saveexec_b32 s68, s68
	s_cbranch_execnz .LBB54_178
.LBB54_56:                              ;   in Loop: Header=BB54_4 Depth=1
	s_or_b32 exec_lo, exec_lo, s68
	s_and_saveexec_b32 s68, s18
	s_delay_alu instid0(SALU_CYCLE_1)
	s_xor_b32 s68, exec_lo, s68
	s_cbranch_execnz .LBB54_179
.LBB54_57:                              ;   in Loop: Header=BB54_4 Depth=1
	s_and_not1_saveexec_b32 s68, s68
	s_cbranch_execnz .LBB54_180
.LBB54_58:                              ;   in Loop: Header=BB54_4 Depth=1
	s_or_b32 exec_lo, exec_lo, s68
	s_and_saveexec_b32 s68, s19
	s_delay_alu instid0(SALU_CYCLE_1)
	s_xor_b32 s68, exec_lo, s68
	s_cbranch_execnz .LBB54_181
.LBB54_59:                              ;   in Loop: Header=BB54_4 Depth=1
	s_and_not1_saveexec_b32 s68, s68
	s_cbranch_execz .LBB54_61
.LBB54_60:                              ;   in Loop: Header=BB54_4 Depth=1
	v_lshl_add_u64 v[4:5], s[50:51], 4, v[14:15]
	flat_load_b128 v[16:19], v[4:5]
	s_wait_loadcnt_dscnt 0x0
	s_set_vgpr_msb 1                        ;  msbs: dst=0 src0=1 src1=0 src2=0
	ds_store_2addr_b64 v45 /*v301*/, v[16:17], v[18:19] offset1:1
.LBB54_61:                              ;   in Loop: Header=BB54_4 Depth=1
	s_wait_xcnt 0x0
	s_or_b32 exec_lo, exec_lo, s68
	s_set_vgpr_msb 0                        ;  msbs: dst=0 src0=0 src1=0 src2=0
	v_mov_b32_e32 v233, v2
	s_mov_b32 s68, 0
	s_delay_alu instid0(VALU_DEP_1) | instskip(NEXT) | instid1(VALU_DEP_1)
	v_add_nc_u64_e32 v[4:5], v[14:15], v[232:233]
	v_lshl_add_u64 v[4:5], s[56:57], 4, v[4:5]
	s_delay_alu instid0(VALU_DEP_1) | instskip(NEXT) | instid1(VALU_DEP_1)
	v_add_nc_u64_e32 v[4:5], 0x210, v[4:5]
	v_dual_cndmask_b32 v15, v5, v11, s15 :: v_dual_cndmask_b32 v14, v4, v10, s15
.LBB54_62:                              ;   in Loop: Header=BB54_4 Depth=1
	s_and_b32 vcc_lo, exec_lo, s68
	s_cbranch_vccz .LBB54_64
; %bb.63:                               ;   in Loop: Header=BB54_4 Depth=1
	flat_load_b128 v[14:17], v[10:11]
	v_lshl_add_u64 v[4:5], s[46:47], 4, v[12:13]
	s_wait_loadcnt_dscnt 0x0
	s_set_vgpr_msb 1                        ;  msbs: dst=0 src0=1 src1=0 src2=0
	ds_store_2addr_b64 v24 /*v280*/, v[14:15], v[16:17] offset1:1
	s_set_vgpr_msb 0                        ;  msbs: dst=0 src0=0 src1=0 src2=0
	flat_load_b128 v[12:15], v[4:5] offset:512
	s_wait_xcnt 0x0
	v_add_nc_u64_e32 v[4:5], s[58:59], v[4:5]
	s_wait_loadcnt_dscnt 0x0
	s_set_vgpr_msb 1                        ;  msbs: dst=0 src0=1 src1=0 src2=0
	ds_store_2addr_b64 v43 /*v299*/, v[12:13], v[14:15] offset1:1
	s_set_vgpr_msb 0                        ;  msbs: dst=0 src0=0 src1=0 src2=0
	flat_load_b128 v[12:15], v[4:5] offset:512
	s_wait_xcnt 0x0
	v_add_nc_u64_e32 v[4:5], s[58:59], v[4:5]
	s_wait_loadcnt_dscnt 0x0
	s_set_vgpr_msb 1                        ;  msbs: dst=0 src0=1 src1=0 src2=0
	ds_store_2addr_b64 v44 /*v300*/, v[12:13], v[14:15] offset1:1
	s_set_vgpr_msb 0                        ;  msbs: dst=0 src0=0 src1=0 src2=0
	flat_load_b128 v[16:19], v[4:5] offset:512
	v_mov_b64_e32 v[14:15], v[10:11]
	s_wait_loadcnt_dscnt 0x0
	s_set_vgpr_msb 1                        ;  msbs: dst=0 src0=1 src1=0 src2=0
	ds_store_2addr_b64 v45 /*v301*/, v[16:17], v[18:19] offset1:1
.LBB54_64:                              ;   in Loop: Header=BB54_4 Depth=1
	s_mov_b32 s68, 0
	s_wait_dscnt 0x0
	s_barrier_signal -1
	s_barrier_wait -1
	s_wait_xcnt 0x0
	s_and_saveexec_b32 s69, s6
	s_delay_alu instid0(SALU_CYCLE_1)
	s_xor_b32 s69, exec_lo, s69
; %bb.65:                               ;   in Loop: Header=BB54_4 Depth=1
	s_and_b32 s68, s7, exec_lo
; %bb.66:                               ;   in Loop: Header=BB54_4 Depth=1
	s_or_saveexec_b32 s69, s69
	s_set_vgpr_msb 1                        ;  msbs: dst=0 src0=1 src1=0 src2=0
	v_mov_b64_e32 v[12:13], 0
	v_mov_b32_e32 v3, v25 /*v281*/
	s_xor_b32 exec_lo, exec_lo, s69
	s_set_vgpr_msb 0                        ;  msbs: dst=0 src0=0 src1=0 src2=0
	s_cbranch_execz .LBB54_68
; %bb.67:                               ;   in Loop: Header=BB54_4 Depth=1
	s_set_vgpr_msb 1                        ;  msbs: dst=0 src0=1 src1=0 src2=0
	ds_load_b128 v[10:13], v39 /*v295*/
	v_mov_b32_e32 v3, v26 /*v282*/
	s_or_b32 s68, s68, exec_lo
	s_wait_dscnt 0x0
	v_xor_b32_e32 v13, 0x80000000, v13
	ds_store_b64 v26 /*v282*/, v[10:11]
.LBB54_68:                              ;   in Loop: Header=BB54_4 Depth=1
	s_or_b32 exec_lo, exec_lo, s69
	s_and_saveexec_b32 s69, s68
; %bb.69:                               ;   in Loop: Header=BB54_4 Depth=1
	s_set_vgpr_msb 0                        ;  msbs: dst=0 src0=0 src1=0 src2=0
	ds_store_b64 v3, v[12:13] offset:8
; %bb.70:                               ;   in Loop: Header=BB54_4 Depth=1
	s_or_b32 exec_lo, exec_lo, s69
	s_mov_b32 s68, 0
                                        ; implicit-def: $vgpr12_vgpr13
	s_and_saveexec_b32 s69, s8
	s_delay_alu instid0(SALU_CYCLE_1)
	s_xor_b32 s69, exec_lo, s69
	s_cbranch_execnz .LBB54_168
; %bb.71:                               ;   in Loop: Header=BB54_4 Depth=1
	s_or_saveexec_b32 s69, s69
	s_set_vgpr_msb 1                        ;  msbs: dst=0 src0=1 src1=0 src2=0
	v_mov_b32_e32 v3, v46 /*v302*/
	s_xor_b32 exec_lo, exec_lo, s69
	s_set_vgpr_msb 0                        ;  msbs: dst=0 src0=0 src1=0 src2=0
	s_cbranch_execnz .LBB54_169
.LBB54_72:                              ;   in Loop: Header=BB54_4 Depth=1
	s_or_b32 exec_lo, exec_lo, s69
	s_and_saveexec_b32 s69, s68
.LBB54_73:                              ;   in Loop: Header=BB54_4 Depth=1
	ds_store_b64 v3, v[12:13] offset:8
.LBB54_74:                              ;   in Loop: Header=BB54_4 Depth=1
	s_or_b32 exec_lo, exec_lo, s69
	s_mov_b32 s68, 0
	s_and_saveexec_b32 s69, s10
	s_delay_alu instid0(SALU_CYCLE_1)
	s_xor_b32 s69, exec_lo, s69
; %bb.75:                               ;   in Loop: Header=BB54_4 Depth=1
	s_and_b32 s68, s11, exec_lo
; %bb.76:                               ;   in Loop: Header=BB54_4 Depth=1
	s_or_saveexec_b32 s69, s69
	v_mov_b64_e32 v[12:13], 0
	s_set_vgpr_msb 1                        ;  msbs: dst=0 src0=1 src1=0 src2=0
	v_mov_b32_e32 v3, v25 /*v281*/
	s_xor_b32 exec_lo, exec_lo, s69
	s_set_vgpr_msb 0                        ;  msbs: dst=0 src0=0 src1=0 src2=0
	s_cbranch_execz .LBB54_78
; %bb.77:                               ;   in Loop: Header=BB54_4 Depth=1
	s_set_vgpr_msb 1                        ;  msbs: dst=0 src0=1 src1=0 src2=0
	ds_load_b128 v[10:13], v40 /*v296*/ offset:528
	v_mov_b32_e32 v3, v47 /*v303*/
	s_or_b32 s68, s68, exec_lo
	s_wait_dscnt 0x0
	v_xor_b32_e32 v13, 0x80000000, v13
	ds_store_b64 v47 /*v303*/, v[10:11]
.LBB54_78:                              ;   in Loop: Header=BB54_4 Depth=1
	s_or_b32 exec_lo, exec_lo, s69
	s_and_saveexec_b32 s69, s68
; %bb.79:                               ;   in Loop: Header=BB54_4 Depth=1
	s_set_vgpr_msb 0                        ;  msbs: dst=0 src0=0 src1=0 src2=0
	ds_store_b64 v3, v[12:13] offset:8
; %bb.80:                               ;   in Loop: Header=BB54_4 Depth=1
	s_or_b32 exec_lo, exec_lo, s69
	s_mov_b32 s68, 0
	s_and_saveexec_b32 s69, s12
	s_delay_alu instid0(SALU_CYCLE_1)
	s_xor_b32 s69, exec_lo, s69
; %bb.81:                               ;   in Loop: Header=BB54_4 Depth=1
	s_and_b32 s68, s13, exec_lo
; %bb.82:                               ;   in Loop: Header=BB54_4 Depth=1
	s_or_saveexec_b32 s69, s69
	v_mov_b64_e32 v[12:13], 0
	s_set_vgpr_msb 1                        ;  msbs: dst=0 src0=1 src1=0 src2=0
	v_mov_b32_e32 v3, v25 /*v281*/
	s_xor_b32 exec_lo, exec_lo, s69
	s_set_vgpr_msb 0                        ;  msbs: dst=0 src0=0 src1=0 src2=0
	s_cbranch_execz .LBB54_84
; %bb.83:                               ;   in Loop: Header=BB54_4 Depth=1
	s_set_vgpr_msb 1                        ;  msbs: dst=0 src0=1 src1=0 src2=0
	ds_load_b128 v[10:13], v40 /*v296*/ offset:1056
	v_mov_b32_e32 v3, v48 /*v304*/
	s_or_b32 s68, s68, exec_lo
	s_wait_dscnt 0x0
	v_xor_b32_e32 v13, 0x80000000, v13
	ds_store_b64 v48 /*v304*/, v[10:11]
.LBB54_84:                              ;   in Loop: Header=BB54_4 Depth=1
	s_or_b32 exec_lo, exec_lo, s69
	s_and_saveexec_b32 s69, s68
; %bb.85:                               ;   in Loop: Header=BB54_4 Depth=1
	s_set_vgpr_msb 0                        ;  msbs: dst=0 src0=0 src1=0 src2=0
	ds_store_b64 v3, v[12:13] offset:8
; %bb.86:                               ;   in Loop: Header=BB54_4 Depth=1
	s_or_b32 exec_lo, exec_lo, s69
	s_wait_dscnt 0x0
	s_barrier_signal -1
	s_barrier_wait -1
	s_set_vgpr_msb 1                        ;  msbs: dst=0 src0=1 src1=0 src2=0
	ds_load_b128 v[10:13], v39 /*v295*/
	ds_load_b128 v[16:19], v28 /*v284*/ offset:512
	ds_load_b128 v[20:23], v28 /*v284*/ offset:528
	ds_load_b128 v[24:27], v40 /*v296*/
	s_wait_dscnt 0x2
	s_set_vgpr_msb 0                        ;  msbs: dst=0 src0=0 src1=0 src2=0
	v_mul_f64_e32 v[4:5], v[18:19], v[12:13]
	v_mul_f64_e32 v[34:35], v[16:17], v[12:13]
	s_wait_dscnt 0x0
	v_mul_f64_e32 v[36:37], v[22:23], v[26:27]
	v_mul_f64_e32 v[38:39], v[20:21], v[26:27]
	s_delay_alu instid0(VALU_DEP_4) | instskip(NEXT) | instid1(VALU_DEP_4)
	v_fma_f64 v[4:5], v[16:17], v[10:11], -v[4:5]
	v_fmac_f64_e32 v[34:35], v[18:19], v[10:11]
	s_set_vgpr_msb 1                        ;  msbs: dst=0 src0=1 src1=0 src2=0
	ds_load_b128 v[10:13], v40 /*v296*/ offset:528
	ds_load_b128 v[16:19], v28 /*v284*/ offset:544
	ds_load_b128 v[26:29], v28 /*v284*/ offset:560
	ds_load_b128 v[30:33], v40 /*v296*/ offset:1056
	s_set_vgpr_msb 0                        ;  msbs: dst=0 src0=0 src1=0 src2=0
	v_fma_f64 v[20:21], v[20:21], v[24:25], -v[36:37]
	v_fmac_f64_e32 v[38:39], v[22:23], v[24:25]
	s_wait_dscnt 0x0
	s_barrier_signal -1
	s_barrier_wait -1
	v_mul_f64_e32 v[40:41], v[18:19], v[12:13]
	v_mul_f64_e32 v[12:13], v[16:17], v[12:13]
	;; [unrolled: 1-line block ×4, first 2 shown]
	v_add_f64_e32 v[4:5], 0, v[4:5]
	v_add_f64_e32 v[22:23], 0, v[34:35]
	v_fma_f64 v[16:17], v[16:17], v[10:11], -v[40:41]
	v_fmac_f64_e32 v[12:13], v[18:19], v[10:11]
	v_fma_f64 v[18:19], v[26:27], v[30:31], -v[24:25]
	v_fmac_f64_e32 v[32:33], v[28:29], v[30:31]
	v_add_f64_e32 v[4:5], v[4:5], v[20:21]
	v_add_f64_e32 v[10:11], v[22:23], v[38:39]
	s_delay_alu instid0(VALU_DEP_2) | instskip(NEXT) | instid1(VALU_DEP_2)
	v_add_f64_e32 v[4:5], v[4:5], v[16:17]
	v_add_f64_e32 v[12:13], v[10:11], v[12:13]
	s_delay_alu instid0(VALU_DEP_2) | instskip(NEXT) | instid1(VALU_DEP_2)
	v_add_f64_e32 v[10:11], v[4:5], v[18:19]
	v_add_f64_e32 v[12:13], v[12:13], v[32:33]
	s_set_vgpr_msb 1                        ;  msbs: dst=0 src0=1 src1=0 src2=0
	ds_store_b128 v29 /*v285*/, v[10:13]
	s_wait_dscnt 0x0
	s_barrier_signal -1
	s_barrier_wait -1
	s_and_saveexec_b32 s68, s20
	s_set_vgpr_msb 0                        ;  msbs: dst=0 src0=0 src1=0 src2=0
	s_cbranch_execz .LBB54_88
; %bb.87:                               ;   in Loop: Header=BB54_4 Depth=1
	s_set_vgpr_msb 1                        ;  msbs: dst=0 src0=1 src1=0 src2=0
	ds_load_b128 v[4:7], v27 /*v283*/
	ds_load_b128 v[8:11], v27 /*v283*/ offset:16
	s_wait_dscnt 0x0
	s_set_vgpr_msb 0                        ;  msbs: dst=0 src0=0 src1=0 src2=0
	v_add_f64_e32 v[12:13], v[8:9], v[4:5]
	v_add_f64_e32 v[16:17], v[10:11], v[6:7]
	s_set_vgpr_msb 1                        ;  msbs: dst=0 src0=1 src1=0 src2=0
	ds_load_b128 v[4:7], v27 /*v283*/ offset:32
	ds_load_b128 v[8:11], v27 /*v283*/ offset:48
	s_wait_dscnt 0x1
	s_set_vgpr_msb 0                        ;  msbs: dst=0 src0=0 src1=0 src2=0
	v_add_f64_e32 v[4:5], v[12:13], v[4:5]
	v_add_f64_e32 v[6:7], v[16:17], v[6:7]
	s_wait_dscnt 0x0
	s_delay_alu instid0(VALU_DEP_2) | instskip(NEXT) | instid1(VALU_DEP_2)
	v_add_f64_e32 v[12:13], v[4:5], v[8:9]
	v_add_f64_e32 v[16:17], v[6:7], v[10:11]
	s_set_vgpr_msb 1                        ;  msbs: dst=0 src0=1 src1=0 src2=0
	ds_load_b128 v[4:7], v27 /*v283*/ offset:64
	ds_load_b128 v[8:11], v27 /*v283*/ offset:80
	s_wait_dscnt 0x1
	s_set_vgpr_msb 0                        ;  msbs: dst=0 src0=0 src1=0 src2=0
	v_add_f64_e32 v[4:5], v[12:13], v[4:5]
	v_add_f64_e32 v[6:7], v[16:17], v[6:7]
	s_wait_dscnt 0x0
	s_delay_alu instid0(VALU_DEP_2) | instskip(NEXT) | instid1(VALU_DEP_2)
	v_add_f64_e32 v[12:13], v[4:5], v[8:9]
	v_add_f64_e32 v[16:17], v[6:7], v[10:11]
	s_set_vgpr_msb 1                        ;  msbs: dst=0 src0=1 src1=0 src2=0
	ds_load_b128 v[4:7], v27 /*v283*/ offset:96
	ds_load_b128 v[8:11], v27 /*v283*/ offset:112
	s_wait_dscnt 0x1
	s_set_vgpr_msb 0                        ;  msbs: dst=0 src0=0 src1=0 src2=0
	v_add_f64_e32 v[4:5], v[12:13], v[4:5]
	v_add_f64_e32 v[12:13], v[16:17], v[6:7]
	s_wait_dscnt 0x0
	s_delay_alu instid0(VALU_DEP_2) | instskip(NEXT) | instid1(VALU_DEP_2)
	v_add_f64_e32 v[6:7], v[4:5], v[8:9]
	v_add_f64_e32 v[8:9], v[12:13], v[10:11]
.LBB54_88:                              ;   in Loop: Header=BB54_4 Depth=1
	s_or_b32 exec_lo, exec_lo, s68
	v_add_nc_u64_e32 v[10:11], s[62:63], v[14:15]
	s_and_b32 vcc_lo, exec_lo, s74
	s_mov_b32 s68, -1
	s_barrier_signal -1
	s_barrier_wait -1
                                        ; implicit-def: $vgpr4_vgpr5
	s_cbranch_vccz .LBB54_100
; %bb.89:                               ;   in Loop: Header=BB54_4 Depth=1
	s_and_saveexec_b32 s68, s16
	s_delay_alu instid0(SALU_CYCLE_1)
	s_xor_b32 s68, exec_lo, s68
; %bb.90:                               ;   in Loop: Header=BB54_4 Depth=1
	v_dual_mov_b32 v3, v2 :: v_dual_mov_b32 v4, v2
	v_mov_b32_e32 v5, v2
	s_set_vgpr_msb 1                        ;  msbs: dst=0 src0=1 src1=0 src2=0
	ds_store_b128 v24 /*v280*/, v[2:5]
; %bb.91:                               ;   in Loop: Header=BB54_4 Depth=1
	s_or_saveexec_b32 s68, s68
	s_set_vgpr_msb 0                        ;  msbs: dst=0 src0=0 src1=0 src2=0
	v_lshl_add_u64 v[4:5], v[230:231], 4, v[14:15]
	s_delay_alu instid0(VALU_DEP_1) | instskip(NEXT) | instid1(VALU_DEP_1)
	v_lshl_add_u64 v[4:5], s[42:43], 4, v[4:5]
	v_add_nc_u64_e32 v[4:5], s[64:65], v[4:5]
	s_delay_alu instid0(VALU_DEP_1)
	v_dual_cndmask_b32 v13, v5, v11, s1 :: v_dual_cndmask_b32 v12, v4, v10, s1
	s_xor_b32 exec_lo, exec_lo, s68
	s_cbranch_execnz .LBB54_182
; %bb.92:                               ;   in Loop: Header=BB54_4 Depth=1
	s_or_b32 exec_lo, exec_lo, s68
	s_and_saveexec_b32 s68, s17
	s_delay_alu instid0(SALU_CYCLE_1)
	s_xor_b32 s68, exec_lo, s68
	s_cbranch_execnz .LBB54_183
.LBB54_93:                              ;   in Loop: Header=BB54_4 Depth=1
	s_and_not1_saveexec_b32 s68, s68
	s_cbranch_execnz .LBB54_184
.LBB54_94:                              ;   in Loop: Header=BB54_4 Depth=1
	s_or_b32 exec_lo, exec_lo, s68
	s_and_saveexec_b32 s68, s18
	s_delay_alu instid0(SALU_CYCLE_1)
	s_xor_b32 s68, exec_lo, s68
	s_cbranch_execnz .LBB54_185
.LBB54_95:                              ;   in Loop: Header=BB54_4 Depth=1
	s_and_not1_saveexec_b32 s68, s68
	s_cbranch_execnz .LBB54_186
.LBB54_96:                              ;   in Loop: Header=BB54_4 Depth=1
	s_or_b32 exec_lo, exec_lo, s68
	s_and_saveexec_b32 s68, s19
	s_delay_alu instid0(SALU_CYCLE_1)
	s_xor_b32 s68, exec_lo, s68
	s_cbranch_execnz .LBB54_187
.LBB54_97:                              ;   in Loop: Header=BB54_4 Depth=1
	s_and_not1_saveexec_b32 s68, s68
	s_cbranch_execz .LBB54_99
.LBB54_98:                              ;   in Loop: Header=BB54_4 Depth=1
	v_lshl_add_u64 v[4:5], s[50:51], 4, v[12:13]
	flat_load_b128 v[16:19], v[4:5]
	s_wait_loadcnt_dscnt 0x0
	s_set_vgpr_msb 1                        ;  msbs: dst=0 src0=1 src1=0 src2=0
	ds_store_2addr_b64 v45 /*v301*/, v[16:17], v[18:19] offset1:1
.LBB54_99:                              ;   in Loop: Header=BB54_4 Depth=1
	s_wait_xcnt 0x0
	s_or_b32 exec_lo, exec_lo, s68
	s_set_vgpr_msb 0                        ;  msbs: dst=0 src0=0 src1=0 src2=0
	v_mov_b32_e32 v233, v2
	s_mov_b32 s68, 0
	s_delay_alu instid0(VALU_DEP_1) | instskip(NEXT) | instid1(VALU_DEP_1)
	v_add_nc_u64_e32 v[4:5], v[12:13], v[232:233]
	v_lshl_add_u64 v[4:5], s[56:57], 4, v[4:5]
	s_delay_alu instid0(VALU_DEP_1) | instskip(NEXT) | instid1(VALU_DEP_1)
	v_add_nc_u64_e32 v[4:5], 16, v[4:5]
	v_dual_cndmask_b32 v5, v5, v11, s1 :: v_dual_cndmask_b32 v4, v4, v10, s1
.LBB54_100:                             ;   in Loop: Header=BB54_4 Depth=1
	s_and_b32 vcc_lo, exec_lo, s68
	s_cbranch_vccz .LBB54_102
; %bb.101:                              ;   in Loop: Header=BB54_4 Depth=1
	flat_load_b128 v[16:19], v[10:11]
	v_lshl_add_u64 v[4:5], s[46:47], 4, v[14:15]
	s_wait_loadcnt_dscnt 0x0
	s_set_vgpr_msb 1                        ;  msbs: dst=0 src0=1 src1=0 src2=0
	ds_store_2addr_b64 v24 /*v280*/, v[16:17], v[18:19] offset1:1
	s_set_vgpr_msb 0                        ;  msbs: dst=0 src0=0 src1=0 src2=0
	flat_load_b128 v[12:15], v[4:5] offset:-512
	s_wait_xcnt 0x0
	v_add_nc_u64_e32 v[4:5], s[58:59], v[4:5]
	s_wait_loadcnt_dscnt 0x0
	s_set_vgpr_msb 1                        ;  msbs: dst=0 src0=1 src1=0 src2=0
	ds_store_2addr_b64 v43 /*v299*/, v[12:13], v[14:15] offset1:1
	s_set_vgpr_msb 0                        ;  msbs: dst=0 src0=0 src1=0 src2=0
	flat_load_b128 v[12:15], v[4:5] offset:-512
	s_wait_xcnt 0x0
	v_add_nc_u64_e32 v[4:5], s[58:59], v[4:5]
	s_wait_loadcnt_dscnt 0x0
	s_set_vgpr_msb 1                        ;  msbs: dst=0 src0=1 src1=0 src2=0
	ds_store_2addr_b64 v44 /*v300*/, v[12:13], v[14:15] offset1:1
	s_set_vgpr_msb 0                        ;  msbs: dst=0 src0=0 src1=0 src2=0
	flat_load_b128 v[12:15], v[4:5] offset:-512
	s_wait_xcnt 0x0
	v_mov_b64_e32 v[4:5], v[10:11]
	s_wait_loadcnt_dscnt 0x0
	s_set_vgpr_msb 1                        ;  msbs: dst=0 src0=1 src1=0 src2=0
	ds_store_2addr_b64 v45 /*v301*/, v[12:13], v[14:15] offset1:1
.LBB54_102:                             ;   in Loop: Header=BB54_4 Depth=1
	s_set_vgpr_msb 5                        ;  msbs: dst=0 src0=1 src1=1 src2=0
	v_dual_add_nc_u32 v3, v26 /*v282*/, v31 /*v287*/ :: v_dual_add_nc_u32 v14, v28 /*v284*/, v31 /*v287*/
	s_wait_dscnt 0x0
	s_barrier_signal -1
	s_barrier_wait -1
	s_set_vgpr_msb 0                        ;  msbs: dst=0 src0=0 src1=0 src2=0
	ds_load_b128 v[10:13], v3
	ds_load_b128 v[14:17], v14
	s_set_vgpr_msb 1                        ;  msbs: dst=0 src0=1 src1=0 src2=0
	ds_load_b128 v[18:21], v38 /*v294*/ offset:128
	ds_load_b128 v[22:25], v29 /*v285*/ offset:128
	ds_load_b128 v[26:29], v29 /*v285*/ offset:256
	ds_load_b128 v[30:33], v29 /*v285*/ offset:384
	s_wait_dscnt 0x2
	s_set_vgpr_msb 0                        ;  msbs: dst=0 src0=0 src1=0 src2=0
	v_mul_f64_e32 v[36:37], v[24:25], v[20:21]
	v_mul_f64_e32 v[34:35], v[12:13], v[16:17]
	;; [unrolled: 1-line block ×4, first 2 shown]
	s_delay_alu instid0(VALU_DEP_4) | instskip(NEXT) | instid1(VALU_DEP_4)
	v_fmac_f64_e32 v[36:37], v[22:23], v[18:19]
	v_fmac_f64_e32 v[34:35], v[10:11], v[14:15]
	s_delay_alu instid0(VALU_DEP_4)
	v_fma_f64 v[38:39], v[10:11], v[16:17], -v[12:13]
	s_set_vgpr_msb 1                        ;  msbs: dst=0 src0=1 src1=0 src2=0
	ds_load_b128 v[10:13], v38 /*v294*/ offset:256
	ds_load_b128 v[14:17], v38 /*v294*/ offset:384
	s_set_vgpr_msb 0                        ;  msbs: dst=0 src0=0 src1=0 src2=0
	v_fma_f64 v[18:19], v[22:23], v[20:21], -v[24:25]
	s_wait_dscnt 0x1
	v_mul_f64_e32 v[40:41], v[28:29], v[12:13]
	v_mul_f64_e32 v[28:29], v[28:29], v[10:11]
	s_wait_dscnt 0x0
	v_mul_f64_e32 v[24:25], v[32:33], v[16:17]
	v_mul_f64_e32 v[32:33], v[32:33], v[14:15]
	v_add_f64_e32 v[20:21], 0, v[34:35]
	v_add_f64_e32 v[22:23], 0, v[38:39]
	v_fmac_f64_e32 v[40:41], v[26:27], v[10:11]
	v_fma_f64 v[10:11], v[26:27], v[12:13], -v[28:29]
	v_fmac_f64_e32 v[24:25], v[30:31], v[14:15]
	v_fma_f64 v[14:15], v[30:31], v[16:17], -v[32:33]
	v_add_f64_e32 v[12:13], v[20:21], v[36:37]
	v_add_f64_e32 v[18:19], v[22:23], v[18:19]
	s_delay_alu instid0(VALU_DEP_2) | instskip(NEXT) | instid1(VALU_DEP_2)
	v_add_f64_e32 v[12:13], v[12:13], v[40:41]
	v_add_f64_e32 v[10:11], v[18:19], v[10:11]
	s_delay_alu instid0(VALU_DEP_2) | instskip(NEXT) | instid1(VALU_DEP_2)
	v_add_f64_e32 v[44:45], v[12:13], v[24:25]
	v_add_f64_e32 v[46:47], v[10:11], v[14:15]
	s_set_vgpr_msb 1                        ;  msbs: dst=0 src0=1 src1=0 src2=0
	ds_load_b128 v[34:37], v28 /*v284*/ offset:512
	ds_load_b128 v[26:29], v28 /*v284*/ offset:528
	ds_load_b128 v[14:17], v28 /*v284*/ offset:544
	ds_load_b128 v[10:13], v28 /*v284*/ offset:560
	ds_load_b128 v[38:41], v39 /*v295*/
	ds_load_b128 v[30:33], v40 /*v296*/
	ds_load_b128 v[22:25], v40 /*v296*/ offset:528
	ds_load_b128 v[18:21], v40 /*v296*/ offset:1056
	s_wait_dscnt 0x0
	s_barrier_signal -1
	s_barrier_wait -1
	ds_store_b128 v29 /*v285*/, v[44:47]
	s_wait_dscnt 0x0
	s_barrier_signal -1
	s_barrier_wait -1
	s_and_saveexec_b32 s68, s20
	s_set_vgpr_msb 0                        ;  msbs: dst=0 src0=0 src1=0 src2=0
	s_cbranch_execz .LBB54_104
; %bb.103:                              ;   in Loop: Header=BB54_4 Depth=1
	s_set_vgpr_msb 1                        ;  msbs: dst=0 src0=1 src1=0 src2=0
	ds_load_b128 v[44:47], v27 /*v283*/
	ds_load_b128 v[48:51], v27 /*v283*/ offset:16
	s_wait_dscnt 0x1
	s_set_vgpr_msb 0                        ;  msbs: dst=0 src0=0 src1=0 src2=0
	v_add_f64_e32 v[6:7], v[6:7], v[44:45]
	v_add_f64_e32 v[8:9], v[8:9], v[46:47]
	s_wait_dscnt 0x0
	s_delay_alu instid0(VALU_DEP_2) | instskip(NEXT) | instid1(VALU_DEP_2)
	v_add_f64_e32 v[48:49], v[6:7], v[48:49]
	v_add_f64_e32 v[50:51], v[8:9], v[50:51]
	s_set_vgpr_msb 1                        ;  msbs: dst=0 src0=1 src1=0 src2=0
	ds_load_b128 v[6:9], v27 /*v283*/ offset:32
	ds_load_b128 v[44:47], v27 /*v283*/ offset:48
	s_wait_dscnt 0x1
	s_set_vgpr_msb 0                        ;  msbs: dst=0 src0=0 src1=0 src2=0
	v_add_f64_e32 v[6:7], v[48:49], v[6:7]
	v_add_f64_e32 v[8:9], v[50:51], v[8:9]
	s_wait_dscnt 0x0
	s_delay_alu instid0(VALU_DEP_2) | instskip(NEXT) | instid1(VALU_DEP_2)
	v_add_f64_e32 v[48:49], v[6:7], v[44:45]
	v_add_f64_e32 v[50:51], v[8:9], v[46:47]
	s_set_vgpr_msb 1                        ;  msbs: dst=0 src0=1 src1=0 src2=0
	ds_load_b128 v[6:9], v27 /*v283*/ offset:64
	;; [unrolled: 11-line block ×3, first 2 shown]
	ds_load_b128 v[44:47], v27 /*v283*/ offset:112
	s_wait_dscnt 0x1
	s_set_vgpr_msb 0                        ;  msbs: dst=0 src0=0 src1=0 src2=0
	v_add_f64_e32 v[6:7], v[48:49], v[6:7]
	v_add_f64_e32 v[8:9], v[50:51], v[8:9]
	s_wait_dscnt 0x0
	s_delay_alu instid0(VALU_DEP_2) | instskip(NEXT) | instid1(VALU_DEP_2)
	v_add_f64_e32 v[6:7], v[6:7], v[44:45]
	v_add_f64_e32 v[8:9], v[8:9], v[46:47]
.LBB54_104:                             ;   in Loop: Header=BB54_4 Depth=1
	s_or_b32 exec_lo, exec_lo, s68
	v_mul_f64_e32 v[44:45], v[36:37], v[40:41]
	v_mul_f64_e32 v[40:41], v[34:35], v[40:41]
	;; [unrolled: 1-line block ×4, first 2 shown]
	s_barrier_signal -1
	s_barrier_wait -1
	s_delay_alu instid0(VALU_DEP_4) | instskip(NEXT) | instid1(VALU_DEP_4)
	v_fma_f64 v[34:35], v[34:35], v[38:39], -v[44:45]
	v_fmac_f64_e32 v[40:41], v[36:37], v[38:39]
	v_mul_f64_e32 v[36:37], v[16:17], v[24:25]
	v_mul_f64_e32 v[24:25], v[14:15], v[24:25]
	v_fma_f64 v[26:27], v[26:27], v[30:31], -v[46:47]
	v_fmac_f64_e32 v[32:33], v[28:29], v[30:31]
	v_add_f64_e32 v[28:29], 0, v[34:35]
	v_add_f64_e32 v[30:31], 0, v[40:41]
	v_mul_f64_e32 v[34:35], v[12:13], v[20:21]
	v_mul_f64_e32 v[20:21], v[10:11], v[20:21]
	v_fma_f64 v[14:15], v[14:15], v[22:23], -v[36:37]
	v_fmac_f64_e32 v[24:25], v[16:17], v[22:23]
	v_add_f64_e32 v[16:17], v[28:29], v[26:27]
	v_add_f64_e32 v[22:23], v[30:31], v[32:33]
	v_fma_f64 v[10:11], v[10:11], v[18:19], -v[34:35]
	v_fmac_f64_e32 v[20:21], v[12:13], v[18:19]
	s_delay_alu instid0(VALU_DEP_4) | instskip(NEXT) | instid1(VALU_DEP_4)
	v_add_f64_e32 v[12:13], v[16:17], v[14:15]
	v_add_f64_e32 v[14:15], v[22:23], v[24:25]
	s_delay_alu instid0(VALU_DEP_2) | instskip(NEXT) | instid1(VALU_DEP_2)
	v_add_f64_e32 v[10:11], v[12:13], v[10:11]
	v_add_f64_e32 v[12:13], v[14:15], v[20:21]
	s_set_vgpr_msb 1                        ;  msbs: dst=0 src0=1 src1=0 src2=0
	ds_store_b128 v29 /*v285*/, v[10:13]
	s_wait_dscnt 0x0
	s_barrier_signal -1
	s_barrier_wait -1
	s_and_saveexec_b32 s68, s14
	s_set_vgpr_msb 0                        ;  msbs: dst=0 src0=0 src1=0 src2=0
	s_cbranch_execz .LBB54_106
; %bb.105:                              ;   in Loop: Header=BB54_4 Depth=1
	s_set_vgpr_msb 1                        ;  msbs: dst=0 src0=1 src1=0 src2=0
	ds_load_b128 v[10:13], v27 /*v283*/
	ds_load_b128 v[14:17], v27 /*v283*/ offset:16
	s_wait_dscnt 0x1
	s_set_vgpr_msb 0                        ;  msbs: dst=0 src0=0 src1=0 src2=0
	v_add_f64_e32 v[6:7], v[6:7], v[10:11]
	v_add_f64_e32 v[8:9], v[8:9], v[12:13]
	s_wait_dscnt 0x0
	s_delay_alu instid0(VALU_DEP_2) | instskip(NEXT) | instid1(VALU_DEP_2)
	v_add_f64_e32 v[14:15], v[6:7], v[14:15]
	v_add_f64_e32 v[16:17], v[8:9], v[16:17]
	s_set_vgpr_msb 1                        ;  msbs: dst=0 src0=1 src1=0 src2=0
	ds_load_b128 v[6:9], v27 /*v283*/ offset:32
	ds_load_b128 v[10:13], v27 /*v283*/ offset:48
	s_wait_dscnt 0x1
	s_set_vgpr_msb 0                        ;  msbs: dst=0 src0=0 src1=0 src2=0
	v_add_f64_e32 v[6:7], v[14:15], v[6:7]
	v_add_f64_e32 v[8:9], v[16:17], v[8:9]
	s_wait_dscnt 0x0
	s_delay_alu instid0(VALU_DEP_2) | instskip(NEXT) | instid1(VALU_DEP_2)
	v_add_f64_e32 v[14:15], v[6:7], v[10:11]
	v_add_f64_e32 v[16:17], v[8:9], v[12:13]
	s_set_vgpr_msb 1                        ;  msbs: dst=0 src0=1 src1=0 src2=0
	ds_load_b128 v[6:9], v27 /*v283*/ offset:64
	;; [unrolled: 11-line block ×3, first 2 shown]
	ds_load_b128 v[10:13], v27 /*v283*/ offset:112
	s_wait_dscnt 0x1
	s_set_vgpr_msb 0                        ;  msbs: dst=0 src0=0 src1=0 src2=0
	v_add_f64_e32 v[6:7], v[14:15], v[6:7]
	v_add_f64_e32 v[8:9], v[16:17], v[8:9]
	s_wait_dscnt 0x0
	s_delay_alu instid0(VALU_DEP_2) | instskip(NEXT) | instid1(VALU_DEP_2)
	v_add_f64_e32 v[6:7], v[6:7], v[10:11]
	v_add_f64_e32 v[8:9], v[8:9], v[12:13]
.LBB54_106:                             ;   in Loop: Header=BB54_4 Depth=1
	s_or_b32 exec_lo, exec_lo, s68
	s_mul_u64 s[68:69], s[38:39], s[22:23]
	s_and_not1_b32 vcc_lo, exec_lo, s75
	s_lshl_b64 s[68:69], s[68:69], 4
	s_delay_alu instid0(SALU_CYCLE_1)
	s_add_nc_u64 s[68:69], s[44:45], s[68:69]
	s_barrier_signal -1
	s_barrier_wait -1
	s_cbranch_vccnz .LBB54_164
; %bb.107:                              ;   in Loop: Header=BB54_4 Depth=1
	v_add_nc_u64_e32 v[236:237], v[4:5], v[192:193]
	v_add_nc_u64_e32 v[238:239], v[4:5], v[194:195]
	;; [unrolled: 1-line block ×10, first 2 shown]
	s_set_vgpr_msb 64                       ;  msbs: dst=1 src0=0 src1=0 src2=0
	v_add_nc_u64_e32 v[0:1] /*v[256:257]*/, v[4:5], v[204:205]
	v_add_nc_u64_e32 v[2:3] /*v[258:259]*/, v[4:5], v[208:209]
	;; [unrolled: 1-line block ×10, first 2 shown]
	v_lshl_add_u64 v[20:21] /*v[276:277]*/, s[54:55], 4, v[42:43]
	s_set_vgpr_msb 1                        ;  msbs: dst=0 src0=1 src1=0 src2=0
	v_mov_b32_e32 v233, v65 /*v321*/
	s_mov_b32 s70, s79
	s_mov_b32 s80, s36
	s_delay_alu instid0(SALU_CYCLE_1)
	s_cmp_eq_u32 s76, s80
	s_cselect_b32 s81, s35, 0
	s_and_saveexec_b32 s82, s0
	s_set_vgpr_msb 0                        ;  msbs: dst=0 src0=0 src1=0 src2=0
	s_cbranch_execz .LBB54_112
.LBB54_108:                             ;   in Loop: Header=BB54_4 Depth=1
	s_set_vgpr_msb 4                        ;  msbs: dst=0 src0=0 src1=1 src2=0
	v_cmp_le_i32_e32 vcc_lo, s81, v22 /*v278*/
	s_cmp_lg_u32 s81, 0
	s_cselect_b32 s71, -1, 0
	s_delay_alu instid0(SALU_CYCLE_1) | instskip(NEXT) | instid1(SALU_CYCLE_1)
	s_and_b32 s71, s71, vcc_lo
	s_and_saveexec_b32 s83, s71
	s_delay_alu instid0(SALU_CYCLE_1)
	s_xor_b32 s71, exec_lo, s83
; %bb.109:                              ;   in Loop: Header=BB54_4 Depth=1
	v_dual_mov_b32 v3, v2 :: v_dual_mov_b32 v4, v2
	v_mov_b32_e32 v5, v2
	s_set_vgpr_msb 1                        ;  msbs: dst=0 src0=1 src1=0 src2=0
	ds_store_b128 v49 /*v305*/, v[2:5]
; %bb.110:                              ;   in Loop: Header=BB54_4 Depth=1
	s_and_not1_saveexec_b32 s71, s71
	s_set_vgpr_msb 0                        ;  msbs: dst=0 src0=0 src1=0 src2=0
	s_cbranch_execz .LBB54_112
; %bb.111:                              ;   in Loop: Header=BB54_4 Depth=1
	s_ashr_i32 s71, s70, 31
	s_set_vgpr_msb 16                       ;  msbs: dst=0 src0=0 src1=0 src2=1
	v_lshl_add_u64 v[4:5], s[70:71], 4, v[20:21] /*v[276:277]*/
	flat_load_b128 v[10:13], v[4:5]
	s_wait_loadcnt_dscnt 0x0
	s_set_vgpr_msb 1                        ;  msbs: dst=0 src0=1 src1=0 src2=0
	ds_store_2addr_b64 v49 /*v305*/, v[10:11], v[12:13] offset1:1
.LBB54_112:                             ;   Parent Loop BB54_4 Depth=1
                                        ; =>  This Inner Loop Header: Depth=2
	s_wait_xcnt 0x0
	s_or_b32 exec_lo, exec_lo, s82
	s_cmp_eq_u32 s81, 0
	s_set_vgpr_msb 0                        ;  msbs: dst=0 src0=0 src1=0 src2=0
	v_add_nc_u64_e32 v[4:5], v[244:245], v[196:197]
	s_cselect_b32 s71, -1, 0
	s_cmp_lg_u32 s81, 0
	s_wait_dscnt 0x0
	s_cselect_b32 s82, -1, 0
	s_barrier_signal -1
	s_and_b32 vcc_lo, exec_lo, s82
	s_barrier_wait -1
	s_cbranch_vccz .LBB54_120
; %bb.113:                              ;   in Loop: Header=BB54_112 Depth=2
	v_mov_b64_e32 v[10:11], 0
	v_mov_b64_e32 v[14:15], 0
	v_mov_b64_e32 v[16:17], 0
	s_mov_b32 s83, exec_lo
	s_set_vgpr_msb 4                        ;  msbs: dst=0 src0=0 src1=1 src2=0
	v_cmpx_gt_i32_e64 s81, v30 /*v286*/
	s_set_vgpr_msb 0                        ;  msbs: dst=0 src0=0 src1=0 src2=0
	s_cbranch_execz .LBB54_115
; %bb.114:                              ;   in Loop: Header=BB54_112 Depth=2
	flat_load_b128 v[14:17], v[4:5]
.LBB54_115:                             ;   in Loop: Header=BB54_112 Depth=2
	s_wait_xcnt 0x0
	s_or_b32 exec_lo, exec_lo, s83
	v_mov_b64_e32 v[12:13], 0
	s_mov_b32 s83, exec_lo
	s_set_vgpr_msb 4                        ;  msbs: dst=0 src0=0 src1=1 src2=0
	v_cmpx_gt_i32_e64 s81, v50 /*v306*/
	s_set_vgpr_msb 0                        ;  msbs: dst=0 src0=0 src1=0 src2=0
	s_cbranch_execz .LBB54_117
; %bb.116:                              ;   in Loop: Header=BB54_112 Depth=2
	v_add_nc_u64_e32 v[10:11], v[240:241], v[196:197]
	flat_load_b128 v[10:13], v[10:11]
.LBB54_117:                             ;   in Loop: Header=BB54_112 Depth=2
	s_wait_xcnt 0x0
	s_or_b32 exec_lo, exec_lo, s83
	v_mov_b64_e32 v[18:19], 0
	v_mov_b64_e32 v[20:21], 0
	s_mov_b32 s83, exec_lo
	s_set_vgpr_msb 4                        ;  msbs: dst=0 src0=0 src1=1 src2=0
	v_cmpx_gt_i32_e64 s81, v51 /*v307*/
	s_set_vgpr_msb 0                        ;  msbs: dst=0 src0=0 src1=0 src2=0
	s_cbranch_execz .LBB54_119
; %bb.118:                              ;   in Loop: Header=BB54_112 Depth=2
	v_add_nc_u64_e32 v[18:19], v[248:249], v[196:197]
	flat_load_b128 v[18:21], v[18:19]
.LBB54_119:                             ;   in Loop: Header=BB54_112 Depth=2
	s_wait_xcnt 0x0
	s_or_b32 exec_lo, exec_lo, s83
	s_set_vgpr_msb 4                        ;  msbs: dst=0 src0=0 src1=1 src2=0
	v_cmp_gt_i32_e64 s83, s81, v52 /*v308*/
	s_set_vgpr_msb 0                        ;  msbs: dst=0 src0=0 src1=0 src2=0
	s_branch .LBB54_122
.LBB54_120:                             ;   in Loop: Header=BB54_112 Depth=2
	s_mov_b32 s83, 0
                                        ; implicit-def: $vgpr20_vgpr21
                                        ; implicit-def: $vgpr12_vgpr13
                                        ; implicit-def: $vgpr16_vgpr17
	s_cbranch_execz .LBB54_122
; %bb.121:                              ;   in Loop: Header=BB54_112 Depth=2
	s_wait_loadcnt_dscnt 0x0
	v_add_nc_u64_e32 v[10:11], v[240:241], v[196:197]
	v_add_nc_u64_e32 v[18:19], v[236:237], v[196:197]
	s_or_b32 s83, s83, exec_lo
	flat_load_b128 v[14:17], v[4:5]
	flat_load_b128 v[10:13], v[10:11]
	flat_load_b128 v[18:21], v[18:19] offset:-8
.LBB54_122:                             ;   in Loop: Header=BB54_112 Depth=2
	v_mov_b64_e32 v[22:23], 0
	v_mov_b64_e32 v[24:25], 0
	s_wait_xcnt 0x0
	s_and_saveexec_b32 s84, s83
	s_cbranch_execz .LBB54_124
; %bb.123:                              ;   in Loop: Header=BB54_112 Depth=2
	v_add_nc_u64_e32 v[4:5], v[252:253], v[196:197]
	flat_load_b128 v[22:25], v[4:5]
.LBB54_124:                             ;   in Loop: Header=BB54_112 Depth=2
	s_wait_xcnt 0x0
	s_or_b32 exec_lo, exec_lo, s84
	s_set_vgpr_msb 1                        ;  msbs: dst=0 src0=1 src1=0 src2=0
	ds_load_b128 v[30:33], v42 /*v298*/
	ds_load_b128 v[26:29], v32 /*v288*/
	v_cndmask_b32_e64 v3, 0, 1, s82
	s_and_not1_b32 vcc_lo, exec_lo, s82
	s_wait_loadcnt_dscnt 0x1
	s_set_vgpr_msb 0                        ;  msbs: dst=0 src0=0 src1=0 src2=0
	v_mul_f64_e32 v[42:43], v[16:17], v[32:33]
	v_mul_f64_e32 v[4:5], v[16:17], v[30:31]
	;; [unrolled: 1-line block ×8, first 2 shown]
	v_fmac_f64_e32 v[42:43], v[14:15], v[30:31]
	v_fma_f64 v[44:45], v[14:15], v[32:33], -v[4:5]
	v_fmac_f64_e32 v[46:47], v[10:11], v[30:31]
	v_fma_f64 v[48:49], v[10:11], v[32:33], -v[34:35]
	v_fmac_f64_e32 v[50:51], v[18:19], v[30:31]
	v_fma_f64 v[52:53], v[18:19], v[32:33], -v[36:37]
	v_fmac_f64_e32 v[54:55], v[22:23], v[30:31]
	v_fma_f64 v[56:57], v[22:23], v[32:33], -v[38:39]
	s_set_vgpr_msb 1                        ;  msbs: dst=0 src0=1 src1=0 src2=0
	ds_load_b128 v[38:41], v32 /*v288*/ offset:16
	ds_load_b128 v[34:37], v32 /*v288*/ offset:32
	;; [unrolled: 1-line block ×3, first 2 shown]
	v_add_nc_u64_e32 v[4:5], v[8:9] /*v[264:265]*/, v[196:197]
	ds_store_b128 v33 /*v289*/, v[42:45]
	ds_store_b128 v33 /*v289*/, v[46:49] offset:1072
	ds_store_b128 v33 /*v289*/, v[50:53] offset:2144
	;; [unrolled: 1-line block ×3, first 2 shown]
	s_wait_dscnt 0x0
	s_barrier_signal -1
	s_barrier_wait -1
	ds_load_b128 v[98:101], v34 /*v290*/
	ds_load_b128 v[94:97], v34 /*v290*/ offset:16
	ds_load_b128 v[90:93], v34 /*v290*/ offset:32
	ds_load_b128 v[82:85], v34 /*v290*/ offset:48
	s_wait_dscnt 0x0
	s_barrier_signal -1
	s_barrier_wait -1
	s_set_vgpr_msb 0                        ;  msbs: dst=0 src0=0 src1=0 src2=0
	s_cbranch_vccnz .LBB54_132
; %bb.125:                              ;   in Loop: Header=BB54_112 Depth=2
	v_mov_b64_e32 v[42:43], 0
	v_mov_b64_e32 v[46:47], 0
	;; [unrolled: 1-line block ×3, first 2 shown]
	s_mov_b32 s82, exec_lo
	s_set_vgpr_msb 4                        ;  msbs: dst=0 src0=0 src1=1 src2=0
	v_cmpx_gt_i32_e64 s81, v53 /*v309*/
	s_set_vgpr_msb 0                        ;  msbs: dst=0 src0=0 src1=0 src2=0
	s_cbranch_execz .LBB54_127
; %bb.126:                              ;   in Loop: Header=BB54_112 Depth=2
	flat_load_b128 v[46:49], v[4:5]
.LBB54_127:                             ;   in Loop: Header=BB54_112 Depth=2
	s_wait_xcnt 0x0
	s_or_b32 exec_lo, exec_lo, s82
	v_mov_b64_e32 v[44:45], 0
	s_mov_b32 s82, exec_lo
	s_set_vgpr_msb 4                        ;  msbs: dst=0 src0=0 src1=1 src2=0
	v_cmpx_gt_i32_e64 s81, v54 /*v310*/
	s_set_vgpr_msb 0                        ;  msbs: dst=0 src0=0 src1=0 src2=0
	s_cbranch_execz .LBB54_129
; %bb.128:                              ;   in Loop: Header=BB54_112 Depth=2
	s_set_vgpr_msb 1                        ;  msbs: dst=0 src0=1 src1=0 src2=0
	v_add_nc_u64_e32 v[42:43], v[4:5] /*v[260:261]*/, v[196:197]
	s_set_vgpr_msb 0                        ;  msbs: dst=0 src0=0 src1=0 src2=0
	flat_load_b128 v[42:45], v[42:43]
.LBB54_129:                             ;   in Loop: Header=BB54_112 Depth=2
	s_wait_xcnt 0x0
	s_or_b32 exec_lo, exec_lo, s82
	v_mov_b64_e32 v[50:51], 0
	v_mov_b64_e32 v[52:53], 0
	s_mov_b32 s82, exec_lo
	s_set_vgpr_msb 4                        ;  msbs: dst=0 src0=0 src1=1 src2=0
	v_cmpx_gt_i32_e64 s81, v55 /*v311*/
	s_set_vgpr_msb 0                        ;  msbs: dst=0 src0=0 src1=0 src2=0
	s_cbranch_execz .LBB54_131
; %bb.130:                              ;   in Loop: Header=BB54_112 Depth=2
	s_set_vgpr_msb 1                        ;  msbs: dst=0 src0=1 src1=0 src2=0
	v_add_nc_u64_e32 v[50:51], v[12:13] /*v[268:269]*/, v[196:197]
	s_set_vgpr_msb 0                        ;  msbs: dst=0 src0=0 src1=0 src2=0
	flat_load_b128 v[50:53], v[50:51]
.LBB54_131:                             ;   in Loop: Header=BB54_112 Depth=2
	s_wait_xcnt 0x0
	s_or_b32 exec_lo, exec_lo, s82
	s_set_vgpr_msb 4                        ;  msbs: dst=0 src0=0 src1=1 src2=0
	v_cmp_gt_i32_e64 s82, s81, v56 /*v312*/
	s_set_vgpr_msb 0                        ;  msbs: dst=0 src0=0 src1=0 src2=0
	s_branch .LBB54_134
.LBB54_132:                             ;   in Loop: Header=BB54_112 Depth=2
	s_mov_b32 s82, 0
                                        ; implicit-def: $vgpr52_vgpr53
                                        ; implicit-def: $vgpr44_vgpr45
                                        ; implicit-def: $vgpr48_vgpr49
	s_cbranch_execz .LBB54_134
; %bb.133:                              ;   in Loop: Header=BB54_112 Depth=2
	s_wait_loadcnt_dscnt 0x0
	s_set_vgpr_msb 1                        ;  msbs: dst=0 src0=1 src1=0 src2=0
	v_add_nc_u64_e32 v[42:43], v[4:5] /*v[260:261]*/, v[196:197]
	v_add_nc_u64_e32 v[50:51], v[0:1] /*v[256:257]*/, v[196:197]
	s_or_b32 s82, s82, exec_lo
	s_set_vgpr_msb 0                        ;  msbs: dst=0 src0=0 src1=0 src2=0
	flat_load_b128 v[46:49], v[4:5]
	flat_load_b128 v[42:45], v[42:43]
	flat_load_b128 v[50:53], v[50:51] offset:-8
.LBB54_134:                             ;   in Loop: Header=BB54_112 Depth=2
	v_mov_b64_e32 v[54:55], 0
	v_mov_b64_e32 v[56:57], 0
	s_wait_xcnt 0x0
	s_and_saveexec_b32 s83, s82
	s_cbranch_execz .LBB54_136
; %bb.135:                              ;   in Loop: Header=BB54_112 Depth=2
	s_set_vgpr_msb 1                        ;  msbs: dst=0 src0=1 src1=0 src2=0
	v_add_nc_u64_e32 v[4:5], v[16:17] /*v[272:273]*/, v[196:197]
	s_set_vgpr_msb 0                        ;  msbs: dst=0 src0=0 src1=0 src2=0
	flat_load_b128 v[54:57], v[4:5]
.LBB54_136:                             ;   in Loop: Header=BB54_112 Depth=2
	s_wait_xcnt 0x0
	s_or_b32 exec_lo, exec_lo, s83
	s_set_vgpr_msb 1                        ;  msbs: dst=0 src0=1 src1=0 src2=0
	ds_load_b128 v[62:65], v42 /*v298*/
	ds_load_b128 v[58:61], v32 /*v288*/ offset:256
	v_cmp_ne_u32_e32 vcc_lo, 1, v3
	s_and_b32 vcc_lo, exec_lo, vcc_lo
	s_wait_loadcnt_dscnt 0x1
	s_set_vgpr_msb 0                        ;  msbs: dst=0 src0=0 src1=0 src2=0
	v_mul_f64_e32 v[70:71], v[48:49], v[64:65]
	v_mul_f64_e32 v[4:5], v[48:49], v[62:63]
	;; [unrolled: 1-line block ×8, first 2 shown]
	v_fmac_f64_e32 v[70:71], v[46:47], v[62:63]
	v_fma_f64 v[72:73], v[46:47], v[64:65], -v[4:5]
	v_fmac_f64_e32 v[78:79], v[42:43], v[62:63]
	v_fma_f64 v[80:81], v[42:43], v[64:65], -v[66:67]
	;; [unrolled: 2-line block ×4, first 2 shown]
	s_set_vgpr_msb 1                        ;  msbs: dst=0 src0=1 src1=0 src2=0
	ds_load_b128 v[74:77], v32 /*v288*/ offset:272
	ds_load_b128 v[66:69], v32 /*v288*/ offset:288
	;; [unrolled: 1-line block ×3, first 2 shown]
	v_add_nc_u64_e32 v[4:5], v[10:11] /*v[266:267]*/, v[196:197]
	ds_store_b128 v33 /*v289*/, v[70:73]
	ds_store_b128 v33 /*v289*/, v[78:81] offset:1072
	ds_store_b128 v33 /*v289*/, v[86:89] offset:2144
	;; [unrolled: 1-line block ×3, first 2 shown]
	s_wait_dscnt 0x0
	s_barrier_signal -1
	s_barrier_wait -1
	ds_load_b128 v[150:153], v34 /*v290*/
	ds_load_b128 v[146:149], v34 /*v290*/ offset:16
	ds_load_b128 v[138:141], v34 /*v290*/ offset:32
	;; [unrolled: 1-line block ×3, first 2 shown]
	s_wait_dscnt 0x0
	s_barrier_signal -1
	s_barrier_wait -1
	s_set_vgpr_msb 0                        ;  msbs: dst=0 src0=0 src1=0 src2=0
	s_cbranch_vccnz .LBB54_144
; %bb.137:                              ;   in Loop: Header=BB54_112 Depth=2
	v_mov_b64_e32 v[70:71], 0
	v_mov_b64_e32 v[78:79], 0
	v_mov_b64_e32 v[80:81], 0
	s_mov_b32 s82, exec_lo
	s_set_vgpr_msb 4                        ;  msbs: dst=0 src0=0 src1=1 src2=0
	v_cmpx_gt_i32_e64 s81, v57 /*v313*/
	s_set_vgpr_msb 0                        ;  msbs: dst=0 src0=0 src1=0 src2=0
	s_cbranch_execz .LBB54_139
; %bb.138:                              ;   in Loop: Header=BB54_112 Depth=2
	flat_load_b128 v[78:81], v[4:5] offset:-8
.LBB54_139:                             ;   in Loop: Header=BB54_112 Depth=2
	s_wait_xcnt 0x0
	s_or_b32 exec_lo, exec_lo, s82
	v_mov_b64_e32 v[72:73], 0
	s_mov_b32 s82, exec_lo
	s_set_vgpr_msb 4                        ;  msbs: dst=0 src0=0 src1=1 src2=0
	v_cmpx_gt_i32_e64 s81, v58 /*v314*/
	s_set_vgpr_msb 0                        ;  msbs: dst=0 src0=0 src1=0 src2=0
	s_cbranch_execz .LBB54_141
; %bb.140:                              ;   in Loop: Header=BB54_112 Depth=2
	s_set_vgpr_msb 1                        ;  msbs: dst=0 src0=1 src1=0 src2=0
	v_add_nc_u64_e32 v[70:71], v[14:15] /*v[270:271]*/, v[196:197]
	s_set_vgpr_msb 0                        ;  msbs: dst=0 src0=0 src1=0 src2=0
	flat_load_b128 v[70:73], v[70:71] offset:-8
.LBB54_141:                             ;   in Loop: Header=BB54_112 Depth=2
	s_wait_xcnt 0x0
	s_or_b32 exec_lo, exec_lo, s82
	v_mov_b64_e32 v[86:87], 0
	v_mov_b64_e32 v[88:89], 0
	s_mov_b32 s82, exec_lo
	s_set_vgpr_msb 4                        ;  msbs: dst=0 src0=0 src1=1 src2=0
	v_cmpx_gt_i32_e64 s81, v59 /*v315*/
	s_set_vgpr_msb 0                        ;  msbs: dst=0 src0=0 src1=0 src2=0
	s_cbranch_execz .LBB54_143
; %bb.142:                              ;   in Loop: Header=BB54_112 Depth=2
	s_set_vgpr_msb 1                        ;  msbs: dst=0 src0=1 src1=0 src2=0
	v_add_nc_u64_e32 v[86:87], v[6:7] /*v[262:263]*/, v[196:197]
	s_set_vgpr_msb 0                        ;  msbs: dst=0 src0=0 src1=0 src2=0
	flat_load_b128 v[86:89], v[86:87] offset:-8
.LBB54_143:                             ;   in Loop: Header=BB54_112 Depth=2
	s_wait_xcnt 0x0
	s_or_b32 exec_lo, exec_lo, s82
	s_set_vgpr_msb 4                        ;  msbs: dst=0 src0=0 src1=1 src2=0
	v_cmp_gt_i32_e64 s82, s81, v60 /*v316*/
	s_set_vgpr_msb 0                        ;  msbs: dst=0 src0=0 src1=0 src2=0
	s_branch .LBB54_146
.LBB54_144:                             ;   in Loop: Header=BB54_112 Depth=2
	s_mov_b32 s82, 0
                                        ; implicit-def: $vgpr88_vgpr89
                                        ; implicit-def: $vgpr72_vgpr73
                                        ; implicit-def: $vgpr80_vgpr81
	s_cbranch_execz .LBB54_146
; %bb.145:                              ;   in Loop: Header=BB54_112 Depth=2
	s_wait_loadcnt_dscnt 0x0
	s_set_vgpr_msb 1                        ;  msbs: dst=0 src0=1 src1=0 src2=0
	v_add_nc_u64_e32 v[70:71], v[14:15] /*v[270:271]*/, v[196:197]
	v_add_nc_u64_e32 v[86:87], v[18:19] /*v[274:275]*/, v[196:197]
	s_or_b32 s82, s82, exec_lo
	s_set_vgpr_msb 0                        ;  msbs: dst=0 src0=0 src1=0 src2=0
	flat_load_b128 v[78:81], v[4:5] offset:-8
	flat_load_b128 v[70:73], v[70:71] offset:-8
	;; [unrolled: 1-line block ×3, first 2 shown]
.LBB54_146:                             ;   in Loop: Header=BB54_112 Depth=2
	v_mov_b64_e32 v[102:103], 0
	v_mov_b64_e32 v[104:105], 0
	s_wait_xcnt 0x0
	s_and_saveexec_b32 s83, s82
	s_cbranch_execz .LBB54_148
; %bb.147:                              ;   in Loop: Header=BB54_112 Depth=2
	s_set_vgpr_msb 1                        ;  msbs: dst=0 src0=1 src1=0 src2=0
	v_add_nc_u64_e32 v[4:5], v[2:3] /*v[258:259]*/, v[196:197]
	s_set_vgpr_msb 0                        ;  msbs: dst=0 src0=0 src1=0 src2=0
	flat_load_b128 v[102:105], v[4:5] offset:-8
.LBB54_148:                             ;   in Loop: Header=BB54_112 Depth=2
	s_wait_xcnt 0x0
	s_or_b32 exec_lo, exec_lo, s83
	s_set_vgpr_msb 1                        ;  msbs: dst=0 src0=1 src1=0 src2=0
	ds_load_b128 v[110:113], v42 /*v298*/
	ds_load_b128 v[106:109], v32 /*v288*/ offset:512
	v_cmp_ne_u32_e32 vcc_lo, 1, v3
	s_and_b32 vcc_lo, exec_lo, vcc_lo
	s_wait_loadcnt_dscnt 0x1
	s_set_vgpr_msb 0                        ;  msbs: dst=0 src0=0 src1=0 src2=0
	v_mul_f64_e32 v[122:123], v[80:81], v[112:113]
	v_mul_f64_e32 v[4:5], v[80:81], v[110:111]
	;; [unrolled: 1-line block ×8, first 2 shown]
	v_fmac_f64_e32 v[122:123], v[78:79], v[110:111]
	v_fma_f64 v[124:125], v[78:79], v[112:113], -v[4:5]
	v_fmac_f64_e32 v[126:127], v[70:71], v[110:111]
	v_fma_f64 v[128:129], v[70:71], v[112:113], -v[114:115]
	;; [unrolled: 2-line block ×4, first 2 shown]
	s_set_vgpr_msb 1                        ;  msbs: dst=0 src0=1 src1=0 src2=0
	ds_load_b128 v[118:121], v32 /*v288*/ offset:528
	ds_load_b128 v[114:117], v32 /*v288*/ offset:544
	;; [unrolled: 1-line block ×3, first 2 shown]
	s_set_vgpr_msb 0                        ;  msbs: dst=0 src0=0 src1=0 src2=0
	v_add_nc_u64_e32 v[4:5], v[246:247], v[196:197]
	s_set_vgpr_msb 1                        ;  msbs: dst=0 src0=1 src1=0 src2=0
	ds_store_b128 v33 /*v289*/, v[122:125]
	ds_store_b128 v33 /*v289*/, v[126:129] offset:1072
	ds_store_b128 v33 /*v289*/, v[130:133] offset:2144
	;; [unrolled: 1-line block ×3, first 2 shown]
	s_wait_dscnt 0x0
	s_barrier_signal -1
	s_barrier_wait -1
	ds_load_b128 v[182:185], v34 /*v290*/
	ds_load_b128 v[178:181], v34 /*v290*/ offset:16
	ds_load_b128 v[174:177], v34 /*v290*/ offset:32
	;; [unrolled: 1-line block ×3, first 2 shown]
	s_wait_dscnt 0x0
	s_barrier_signal -1
	s_barrier_wait -1
	s_set_vgpr_msb 0                        ;  msbs: dst=0 src0=0 src1=0 src2=0
	s_cbranch_vccnz .LBB54_156
; %bb.149:                              ;   in Loop: Header=BB54_112 Depth=2
	v_mov_b64_e32 v[122:123], 0
	v_mov_b64_e32 v[126:127], 0
	;; [unrolled: 1-line block ×3, first 2 shown]
	s_mov_b32 s82, exec_lo
	s_set_vgpr_msb 4                        ;  msbs: dst=0 src0=0 src1=1 src2=0
	v_cmpx_gt_i32_e64 s81, v61 /*v317*/
	s_set_vgpr_msb 0                        ;  msbs: dst=0 src0=0 src1=0 src2=0
	s_cbranch_execz .LBB54_151
; %bb.150:                              ;   in Loop: Header=BB54_112 Depth=2
	flat_load_b128 v[126:129], v[4:5] offset:-8
.LBB54_151:                             ;   in Loop: Header=BB54_112 Depth=2
	s_wait_xcnt 0x0
	s_or_b32 exec_lo, exec_lo, s82
	v_mov_b64_e32 v[124:125], 0
	s_mov_b32 s82, exec_lo
	s_set_vgpr_msb 4                        ;  msbs: dst=0 src0=0 src1=1 src2=0
	v_cmpx_gt_i32_e64 s81, v62 /*v318*/
	s_set_vgpr_msb 0                        ;  msbs: dst=0 src0=0 src1=0 src2=0
	s_cbranch_execz .LBB54_153
; %bb.152:                              ;   in Loop: Header=BB54_112 Depth=2
	v_add_nc_u64_e32 v[122:123], v[250:251], v[196:197]
	flat_load_b128 v[122:125], v[122:123] offset:-8
.LBB54_153:                             ;   in Loop: Header=BB54_112 Depth=2
	s_wait_xcnt 0x0
	s_or_b32 exec_lo, exec_lo, s82
	v_mov_b64_e32 v[130:131], 0
	v_mov_b64_e32 v[132:133], 0
	s_mov_b32 s82, exec_lo
	s_set_vgpr_msb 4                        ;  msbs: dst=0 src0=0 src1=1 src2=0
	v_cmpx_gt_i32_e64 s81, v63 /*v319*/
	s_set_vgpr_msb 0                        ;  msbs: dst=0 src0=0 src1=0 src2=0
	s_cbranch_execz .LBB54_155
; %bb.154:                              ;   in Loop: Header=BB54_112 Depth=2
	v_add_nc_u64_e32 v[130:131], v[242:243], v[196:197]
	flat_load_b128 v[130:133], v[130:131] offset:-8
.LBB54_155:                             ;   in Loop: Header=BB54_112 Depth=2
	s_wait_xcnt 0x0
	s_or_b32 exec_lo, exec_lo, s82
	s_set_vgpr_msb 4                        ;  msbs: dst=0 src0=0 src1=1 src2=0
	v_cmp_gt_i32_e64 s82, s81, v64 /*v320*/
	s_set_vgpr_msb 0                        ;  msbs: dst=0 src0=0 src1=0 src2=0
	s_branch .LBB54_158
.LBB54_156:                             ;   in Loop: Header=BB54_112 Depth=2
	s_mov_b32 s82, 0
                                        ; implicit-def: $vgpr132_vgpr133
                                        ; implicit-def: $vgpr124_vgpr125
                                        ; implicit-def: $vgpr128_vgpr129
	s_cbranch_execz .LBB54_158
; %bb.157:                              ;   in Loop: Header=BB54_112 Depth=2
	s_wait_loadcnt_dscnt 0x0
	v_add_nc_u64_e32 v[122:123], v[250:251], v[196:197]
	v_add_nc_u64_e32 v[130:131], v[254:255], v[196:197]
	s_or_b32 s82, s82, exec_lo
	flat_load_b128 v[126:129], v[4:5] offset:-8
	flat_load_b128 v[122:125], v[122:123] offset:-8
	flat_load_b128 v[130:133], v[130:131]
.LBB54_158:                             ;   in Loop: Header=BB54_112 Depth=2
	v_mov_b64_e32 v[142:143], 0
	v_mov_b64_e32 v[144:145], 0
	s_wait_xcnt 0x0
	s_and_saveexec_b32 s83, s82
	s_cbranch_execz .LBB54_160
; %bb.159:                              ;   in Loop: Header=BB54_112 Depth=2
	v_add_nc_u64_e32 v[4:5], v[238:239], v[196:197]
	flat_load_b128 v[142:145], v[4:5] offset:-8
.LBB54_160:                             ;   in Loop: Header=BB54_112 Depth=2
	s_wait_xcnt 0x0
	s_or_b32 exec_lo, exec_lo, s83
	s_set_vgpr_msb 1                        ;  msbs: dst=0 src0=1 src1=0 src2=0
	ds_load_b128 v[158:161], v42 /*v298*/
	ds_load_b128 v[154:157], v32 /*v288*/ offset:768
	v_add_f64_e32 v[150:151], 0, v[150:151]
	v_add_f64_e32 v[152:153], 0, v[152:153]
	s_set_vgpr_msb 4                        ;  msbs: dst=0 src0=0 src1=1 src2=0
	v_cmp_gt_i32_e32 vcc_lo, s81, v22 /*v278*/
	s_or_b32 s71, s71, vcc_lo
	s_delay_alu instid0(SALU_CYCLE_1)
	s_and_b32 s81, s21, s71
	s_wait_loadcnt_dscnt 0x1
	s_set_vgpr_msb 64                       ;  msbs: dst=1 src0=0 src1=0 src2=0
	v_mul_f64_e32 v[66:67] /*v[322:323]*/, v[128:129], v[160:161]
	s_set_vgpr_msb 0                        ;  msbs: dst=0 src0=0 src1=0 src2=0
	v_mul_f64_e32 v[4:5], v[128:129], v[158:159]
	s_set_vgpr_msb 64                       ;  msbs: dst=1 src0=0 src1=0 src2=0
	v_mul_f64_e32 v[70:71] /*v[326:327]*/, v[124:125], v[160:161]
	s_set_vgpr_msb 0                        ;  msbs: dst=0 src0=0 src1=0 src2=0
	v_mul_f64_e32 v[162:163], v[124:125], v[158:159]
	;; [unrolled: 4-line block ×4, first 2 shown]
	v_add_f64_e32 v[146:147], v[150:151], v[146:147]
	v_add_f64_e32 v[148:149], v[152:153], v[148:149]
	s_set_vgpr_msb 64                       ;  msbs: dst=1 src0=0 src1=0 src2=0
	v_fmac_f64_e32 v[66:67] /*v[322:323]*/, v[126:127], v[158:159]
	v_fma_f64 v[68:69] /*v[324:325]*/, v[126:127], v[160:161], -v[4:5]
	v_fmac_f64_e32 v[70:71] /*v[326:327]*/, v[122:123], v[158:159]
	v_fma_f64 v[72:73] /*v[328:329]*/, v[122:123], v[160:161], -v[162:163]
	v_fmac_f64_e32 v[74:75] /*v[330:331]*/, v[130:131], v[158:159]
	v_fma_f64 v[76:77] /*v[332:333]*/, v[130:131], v[160:161], -v[164:165]
	v_fmac_f64_e32 v[78:79] /*v[334:335]*/, v[142:143], v[158:159]
	v_fma_f64 v[80:81] /*v[336:337]*/, v[142:143], v[160:161], -v[166:167]
	s_set_vgpr_msb 1                        ;  msbs: dst=0 src0=1 src1=0 src2=0
	ds_load_b128 v[166:169], v32 /*v288*/ offset:784
	ds_load_b128 v[162:165], v32 /*v288*/ offset:800
	;; [unrolled: 1-line block ×3, first 2 shown]
	v_add_f64_e32 v[4:5], 0, v[182:183]
	v_add_f64_e32 v[182:183], 0, v[184:185]
	;; [unrolled: 1-line block ×3, first 2 shown]
	s_set_vgpr_msb 5                        ;  msbs: dst=0 src0=1 src1=1 src2=0
	ds_store_b128 v33 /*v289*/, v[66:69] /*v[322:325]*/
	ds_store_b128 v33 /*v289*/, v[70:73] /*v[326:329]*/ offset:1072
	ds_store_b128 v33 /*v289*/, v[74:77] /*v[330:333]*/ offset:2144
	;; [unrolled: 1-line block ×3, first 2 shown]
	s_wait_dscnt 0x0
	s_barrier_signal -1
	s_barrier_wait -1
	s_set_vgpr_msb 0x41                     ;  msbs: dst=1 src0=1 src1=0 src2=0
	ds_load_b128 v[66:69] /*v[322:325]*/, v34 /*v290*/
	v_add_f64_e32 v[70:71] /*v[326:327]*/, 0, v[100:101]
	s_set_vgpr_msb 1                        ;  msbs: dst=0 src0=1 src1=0 src2=0
	ds_load_b128 v[98:101], v34 /*v290*/ offset:16
	s_set_vgpr_msb 0                        ;  msbs: dst=0 src0=0 src1=0 src2=0
	v_add_f64_e32 v[150:151], v[184:185], v[94:95]
	v_add_f64_e32 v[4:5], v[4:5], v[178:179]
	;; [unrolled: 1-line block ×5, first 2 shown]
	s_wait_dscnt 0x1
	s_set_vgpr_msb 0x44                     ;  msbs: dst=1 src0=0 src1=1 src2=0
	v_add_f64_e32 v[66:67] /*v[322:323]*/, 0, v[66:67] /*v[322:323]*/
	v_add_f64_e32 v[68:69] /*v[324:325]*/, 0, v[68:69] /*v[324:325]*/
	s_set_vgpr_msb 1                        ;  msbs: dst=0 src0=1 src1=0 src2=0
	v_add_f64_e32 v[152:153], v[70:71] /*v[326:327]*/, v[96:97]
	ds_load_b128 v[94:97], v34 /*v290*/ offset:32
	s_set_vgpr_msb 0                        ;  msbs: dst=0 src0=0 src1=0 src2=0
	v_add_f64_e32 v[146:147], v[150:151], v[90:91]
	v_add_f64_e32 v[4:5], v[4:5], v[174:175]
	;; [unrolled: 1-line block ×3, first 2 shown]
	s_wait_dscnt 0x1
	s_set_vgpr_msb 1                        ;  msbs: dst=0 src0=1 src1=0 src2=0
	v_add_f64_e32 v[98:99], v[66:67] /*v[322:323]*/, v[98:99]
	v_add_f64_e32 v[100:101], v[68:69] /*v[324:325]*/, v[100:101]
	s_set_vgpr_msb 0                        ;  msbs: dst=0 src0=0 src1=0 src2=0
	v_add_f64_e32 v[148:149], v[152:153], v[92:93]
	s_set_vgpr_msb 1                        ;  msbs: dst=0 src0=1 src1=0 src2=0
	ds_load_b128 v[90:93], v34 /*v290*/ offset:48
	s_set_vgpr_msb 0                        ;  msbs: dst=0 src0=0 src1=0 src2=0
	v_add_f64_e32 v[82:83], v[146:147], v[82:83]
	s_wait_dscnt 0x0
	s_barrier_signal -1
	s_barrier_wait -1
	v_add_f64_e32 v[150:151], v[98:99], v[94:95]
	v_add_f64_e32 v[152:153], v[100:101], v[96:97]
	;; [unrolled: 1-line block ×9, first 2 shown]
	s_set_vgpr_msb 1                        ;  msbs: dst=0 src0=1 src1=0 src2=0
	ds_store_b128 v41 /*v297*/, v[82:85]
	ds_store_b128 v41 /*v297*/, v[98:101] offset:256
	ds_store_b128 v41 /*v297*/, v[94:97] offset:512
	;; [unrolled: 1-line block ×3, first 2 shown]
	s_wait_dscnt 0x0
	s_barrier_signal -1
	s_barrier_wait -1
	s_and_saveexec_b32 s71, s81
	s_set_vgpr_msb 0                        ;  msbs: dst=0 src0=0 src1=0 src2=0
	s_cbranch_execz .LBB54_162
; %bb.161:                              ;   in Loop: Header=BB54_112 Depth=2
	s_set_vgpr_msb 1                        ;  msbs: dst=0 src0=1 src1=0 src2=0
	ds_load_b128 v[82:85], v35 /*v291*/
	ds_load_b128 v[90:93], v35 /*v291*/ offset:16
	s_wait_dscnt 0x0
	s_set_vgpr_msb 0                        ;  msbs: dst=0 src0=0 src1=0 src2=0
	v_add_f64_e32 v[4:5], v[90:91], v[82:83]
	v_add_f64_e32 v[94:95], v[92:93], v[84:85]
	s_set_vgpr_msb 1                        ;  msbs: dst=0 src0=1 src1=0 src2=0
	ds_load_b128 v[82:85], v35 /*v291*/ offset:32
	ds_load_b128 v[90:93], v35 /*v291*/ offset:48
	s_wait_dscnt 0x1
	s_set_vgpr_msb 0                        ;  msbs: dst=0 src0=0 src1=0 src2=0
	v_add_f64_e32 v[4:5], v[4:5], v[82:83]
	v_add_f64_e32 v[82:83], v[94:95], v[84:85]
	s_wait_dscnt 0x0
	s_delay_alu instid0(VALU_DEP_2) | instskip(NEXT) | instid1(VALU_DEP_2)
	v_add_f64_e32 v[4:5], v[4:5], v[90:91]
	v_add_f64_e32 v[94:95], v[82:83], v[92:93]
	s_set_vgpr_msb 1                        ;  msbs: dst=0 src0=1 src1=0 src2=0
	ds_load_b128 v[82:85], v35 /*v291*/ offset:64
	ds_load_b128 v[90:93], v35 /*v291*/ offset:80
	s_wait_dscnt 0x1
	s_set_vgpr_msb 0                        ;  msbs: dst=0 src0=0 src1=0 src2=0
	v_add_f64_e32 v[4:5], v[4:5], v[82:83]
	v_add_f64_e32 v[82:83], v[94:95], v[84:85]
	s_wait_dscnt 0x0
	s_delay_alu instid0(VALU_DEP_2) | instskip(NEXT) | instid1(VALU_DEP_2)
	;; [unrolled: 11-line block ×6, first 2 shown]
	v_add_f64_e32 v[4:5], v[4:5], v[90:91]
	v_add_f64_e32 v[94:95], v[82:83], v[92:93]
	s_set_vgpr_msb 1                        ;  msbs: dst=0 src0=1 src1=0 src2=0
	ds_load_b128 v[82:85], v35 /*v291*/ offset:224
	ds_load_b128 v[90:93], v36 /*v292*/
	s_wait_dscnt 0x1
	s_set_vgpr_msb 0                        ;  msbs: dst=0 src0=0 src1=0 src2=0
	v_add_f64_e32 v[4:5], v[4:5], v[82:83]
	v_add_f64_e32 v[84:85], v[94:95], v[84:85]
	s_wait_dscnt 0x0
	s_delay_alu instid0(VALU_DEP_2) | instskip(NEXT) | instid1(VALU_DEP_2)
	v_add_f64_e32 v[82:83], v[4:5], v[90:91]
	v_add_f64_e32 v[84:85], v[84:85], v[92:93]
	global_store_b128 v233, v[82:85], s[68:69] scale_offset
.LBB54_162:                             ;   in Loop: Header=BB54_112 Depth=2
	s_wait_xcnt 0x0
	s_or_b32 exec_lo, exec_lo, s71
	v_mul_f64_e32 v[4:5], v[16:17], v[28:29]
	v_mul_f64_e32 v[28:29], v[14:15], v[28:29]
	;; [unrolled: 1-line block ×4, first 2 shown]
	v_add_nc_u64_e32 v[236:237], s[60:61], v[236:237]
	v_add_nc_u64_e32 v[238:239], s[60:61], v[238:239]
	;; [unrolled: 1-line block ×10, first 2 shown]
	s_set_vgpr_msb 0x44                     ;  msbs: dst=1 src0=0 src1=1 src2=0
	v_add_nc_u64_e32 v[0:1] /*v[256:257]*/, s[60:61], v[0:1] /*v[256:257]*/
	v_add_nc_u64_e32 v[2:3] /*v[258:259]*/, s[60:61], v[2:3] /*v[258:259]*/
	;; [unrolled: 1-line block ×10, first 2 shown]
	s_add_co_i32 s71, s80, 1
	s_add_co_i32 s80, s80, 2
	s_add_co_i32 s70, s70, s77
	s_cmp_ge_u32 s80, s34
	s_wait_storecnt 0x0
	s_barrier_signal -1
	s_barrier_wait -1
	s_set_vgpr_msb 0                        ;  msbs: dst=0 src0=0 src1=0 src2=0
	v_dual_fma_f64 v[4:5], v[14:15], v[26:27], -v[4:5] :: v_dual_add_nc_u32 v233, 64, v233
	v_fmac_f64_e32 v[28:29], v[16:17], v[26:27]
	v_mul_f64_e32 v[14:15], v[20:21], v[36:37]
	v_mul_f64_e32 v[16:17], v[18:19], v[36:37]
	v_fma_f64 v[10:11], v[10:11], v[38:39], -v[82:83]
	v_fmac_f64_e32 v[40:41], v[12:13], v[38:39]
	v_mul_f64_e32 v[12:13], v[22:23], v[32:33]
	v_add_f64_e32 v[4:5], v[6:7], v[4:5]
	v_add_f64_e32 v[6:7], v[8:9], v[28:29]
	v_mul_f64_e32 v[8:9], v[24:25], v[32:33]
	v_fma_f64 v[14:15], v[18:19], v[34:35], -v[14:15]
	v_fmac_f64_e32 v[16:17], v[20:21], v[34:35]
	v_mul_f64_e32 v[18:19], v[46:47], v[60:61]
	v_fmac_f64_e32 v[12:13], v[24:25], v[30:31]
	v_add_f64_e32 v[4:5], v[4:5], v[10:11]
	v_mul_f64_e32 v[10:11], v[48:49], v[60:61]
	v_add_f64_e32 v[6:7], v[6:7], v[40:41]
	v_fma_f64 v[8:9], v[22:23], v[30:31], -v[8:9]
	v_fmac_f64_e32 v[18:19], v[48:49], v[58:59]
	v_add_f64_e32 v[4:5], v[4:5], v[14:15]
	v_mul_f64_e32 v[14:15], v[44:45], v[76:77]
	v_add_f64_e32 v[6:7], v[6:7], v[16:17]
	v_mul_f64_e32 v[16:17], v[42:43], v[76:77]
	v_fma_f64 v[10:11], v[46:47], v[58:59], -v[10:11]
	v_add_f64_e32 v[4:5], v[4:5], v[8:9]
	v_mul_f64_e32 v[8:9], v[52:53], v[68:69]
	v_add_f64_e32 v[6:7], v[6:7], v[12:13]
	v_mul_f64_e32 v[12:13], v[50:51], v[68:69]
	v_fma_f64 v[14:15], v[42:43], v[74:75], -v[14:15]
	v_fmac_f64_e32 v[16:17], v[44:45], v[74:75]
	v_add_f64_e32 v[4:5], v[4:5], v[10:11]
	v_mul_f64_e32 v[10:11], v[56:57], v[64:65]
	v_add_f64_e32 v[6:7], v[6:7], v[18:19]
	v_mul_f64_e32 v[18:19], v[54:55], v[64:65]
	v_fma_f64 v[8:9], v[50:51], v[66:67], -v[8:9]
	v_fmac_f64_e32 v[12:13], v[52:53], v[66:67]
	;; [unrolled: 6-line block ×10, first 2 shown]
	v_add_f64_e32 v[4:5], v[4:5], v[10:11]
	v_fma_f64 v[8:9], v[142:143], v[158:159], -v[8:9]
	v_add_f64_e32 v[6:7], v[6:7], v[18:19]
	v_fmac_f64_e32 v[12:13], v[144:145], v[158:159]
	s_delay_alu instid0(VALU_DEP_4) | instskip(NEXT) | instid1(VALU_DEP_3)
	v_add_f64_e32 v[4:5], v[4:5], v[14:15]
	v_add_f64_e32 v[10:11], v[6:7], v[16:17]
	s_delay_alu instid0(VALU_DEP_2) | instskip(NEXT) | instid1(VALU_DEP_2)
	v_add_f64_e32 v[6:7], v[4:5], v[8:9]
	v_add_f64_e32 v[8:9], v[10:11], v[12:13]
	s_cbranch_scc1 .LBB54_164
; %bb.163:                              ;   in Loop: Header=BB54_112 Depth=2
	s_mov_b32 s80, s71
	s_delay_alu instid0(SALU_CYCLE_1)
	s_cmp_eq_u32 s76, s80
	s_cselect_b32 s81, s35, 0
	s_and_saveexec_b32 s82, s0
	s_cbranch_execnz .LBB54_108
	s_branch .LBB54_112
.LBB54_164:                             ;   in Loop: Header=BB54_4 Depth=1
	s_set_vgpr_msb 1                        ;  msbs: dst=0 src0=1 src1=0 src2=0
	ds_store_b128 v37 /*v293*/, v[6:9]
	s_wait_dscnt 0x0
	s_barrier_signal -1
	s_barrier_wait -1
	s_and_saveexec_b32 s70, s78
	s_set_vgpr_msb 0                        ;  msbs: dst=0 src0=0 src1=0 src2=0
	s_cbranch_execz .LBB54_2
; %bb.165:                              ;   in Loop: Header=BB54_4 Depth=1
	s_set_vgpr_msb 1                        ;  msbs: dst=0 src0=1 src1=0 src2=0
	ds_load_b128 v[4:7], v23 /*v279*/ offset:1072
	ds_load_b128 v[8:11], v23 /*v279*/
	s_wait_dscnt 0x0
	s_set_vgpr_msb 0                        ;  msbs: dst=0 src0=0 src1=0 src2=0
	v_add_f64_e32 v[12:13], v[4:5], v[8:9]
	v_add_f64_e32 v[14:15], v[6:7], v[10:11]
	s_set_vgpr_msb 1                        ;  msbs: dst=0 src0=1 src1=0 src2=0
	ds_load_b128 v[4:7], v23 /*v279*/ offset:2144
	ds_load_b128 v[8:11], v23 /*v279*/ offset:3216
	s_wait_dscnt 0x1
	s_set_vgpr_msb 0                        ;  msbs: dst=0 src0=0 src1=0 src2=0
	v_add_f64_e32 v[4:5], v[12:13], v[4:5]
	v_add_f64_e32 v[6:7], v[14:15], v[6:7]
	s_wait_dscnt 0x0
	s_delay_alu instid0(VALU_DEP_2) | instskip(NEXT) | instid1(VALU_DEP_2)
	v_add_f64_e32 v[4:5], v[4:5], v[8:9]
	v_add_f64_e32 v[6:7], v[6:7], v[10:11]
	v_lshl_add_u64 v[8:9], v[186:187], 4, s[68:69]
	global_store_b128 v[8:9], v[4:7], off
	s_branch .LBB54_2
.LBB54_166:                             ;   in Loop: Header=BB54_4 Depth=1
	s_set_vgpr_msb 1                        ;  msbs: dst=0 src0=1 src1=0 src2=0
	ds_load_b128 v[4:7], v40 /*v296*/
	s_mov_b32 s68, exec_lo
	s_wait_dscnt 0x0
	v_xor_b32_e32 v7, 0x80000000, v7
	ds_store_b64 v46 /*v302*/, v[4:5]
	s_or_saveexec_b32 s69, s69
	v_mov_b32_e32 v3, v46 /*v302*/
	s_xor_b32 exec_lo, exec_lo, s69
	s_set_vgpr_msb 0                        ;  msbs: dst=0 src0=0 src1=0 src2=0
	s_cbranch_execz .LBB54_34
.LBB54_167:                             ;   in Loop: Header=BB54_4 Depth=1
	v_mov_b64_e32 v[6:7], 0
	s_set_vgpr_msb 1                        ;  msbs: dst=0 src0=1 src1=0 src2=0
	v_mov_b32_e32 v3, v25 /*v281*/
	s_and_not1_b32 s68, s68, exec_lo
	s_and_b32 s70, s9, exec_lo
	s_delay_alu instid0(SALU_CYCLE_1)
	s_or_b32 s68, s68, s70
	s_or_b32 exec_lo, exec_lo, s69
	s_and_saveexec_b32 s69, s68
	s_set_vgpr_msb 0                        ;  msbs: dst=0 src0=0 src1=0 src2=0
	s_cbranch_execnz .LBB54_35
	s_branch .LBB54_36
.LBB54_168:                             ;   in Loop: Header=BB54_4 Depth=1
	s_set_vgpr_msb 1                        ;  msbs: dst=0 src0=1 src1=0 src2=0
	ds_load_b128 v[10:13], v40 /*v296*/
	s_mov_b32 s68, exec_lo
	s_wait_dscnt 0x0
	v_xor_b32_e32 v13, 0x80000000, v13
	ds_store_b64 v46 /*v302*/, v[10:11]
	s_or_saveexec_b32 s69, s69
	v_mov_b32_e32 v3, v46 /*v302*/
	s_xor_b32 exec_lo, exec_lo, s69
	s_set_vgpr_msb 0                        ;  msbs: dst=0 src0=0 src1=0 src2=0
	s_cbranch_execz .LBB54_72
.LBB54_169:                             ;   in Loop: Header=BB54_4 Depth=1
	v_mov_b64_e32 v[12:13], 0
	s_set_vgpr_msb 1                        ;  msbs: dst=0 src0=1 src1=0 src2=0
	v_mov_b32_e32 v3, v25 /*v281*/
	s_and_not1_b32 s68, s68, exec_lo
	s_and_b32 s70, s9, exec_lo
	s_delay_alu instid0(SALU_CYCLE_1)
	s_or_b32 s68, s68, s70
	s_or_b32 exec_lo, exec_lo, s69
	s_and_saveexec_b32 s69, s68
	s_set_vgpr_msb 0                        ;  msbs: dst=0 src0=0 src1=0 src2=0
	s_cbranch_execnz .LBB54_73
	s_branch .LBB54_74
.LBB54_170:                             ;   in Loop: Header=BB54_4 Depth=1
	flat_load_b128 v[10:13], v[8:9]
	s_wait_loadcnt_dscnt 0x0
	s_set_vgpr_msb 1                        ;  msbs: dst=0 src0=1 src1=0 src2=0
	ds_store_2addr_b64 v24 /*v280*/, v[10:11], v[12:13] offset1:1
	s_wait_xcnt 0x0
	s_or_b32 exec_lo, exec_lo, s68
	s_and_saveexec_b32 s68, s3
	s_delay_alu instid0(SALU_CYCLE_1)
	s_xor_b32 s68, exec_lo, s68
	s_set_vgpr_msb 0                        ;  msbs: dst=0 src0=0 src1=0 src2=0
	s_cbranch_execz .LBB54_17
.LBB54_171:                             ;   in Loop: Header=BB54_4 Depth=1
	v_dual_mov_b32 v3, v2 :: v_dual_mov_b32 v4, v2
	v_mov_b32_e32 v5, v2
	s_set_vgpr_msb 1                        ;  msbs: dst=0 src0=1 src1=0 src2=0
	ds_store_b128 v43 /*v299*/, v[2:5]
	s_and_not1_saveexec_b32 s68, s68
	s_set_vgpr_msb 0                        ;  msbs: dst=0 src0=0 src1=0 src2=0
	s_cbranch_execz .LBB54_18
.LBB54_172:                             ;   in Loop: Header=BB54_4 Depth=1
	v_lshl_add_u64 v[4:5], s[46:47], 4, v[8:9]
	flat_load_b128 v[10:13], v[4:5]
	s_wait_loadcnt_dscnt 0x0
	s_set_vgpr_msb 1                        ;  msbs: dst=0 src0=1 src1=0 src2=0
	ds_store_2addr_b64 v43 /*v299*/, v[10:11], v[12:13] offset1:1
	s_wait_xcnt 0x0
	s_or_b32 exec_lo, exec_lo, s68
	s_and_saveexec_b32 s68, s4
	s_delay_alu instid0(SALU_CYCLE_1)
	s_xor_b32 s68, exec_lo, s68
	s_set_vgpr_msb 0                        ;  msbs: dst=0 src0=0 src1=0 src2=0
	s_cbranch_execz .LBB54_19
.LBB54_173:                             ;   in Loop: Header=BB54_4 Depth=1
	v_dual_mov_b32 v3, v2 :: v_dual_mov_b32 v4, v2
	v_mov_b32_e32 v5, v2
	s_set_vgpr_msb 1                        ;  msbs: dst=0 src0=1 src1=0 src2=0
	ds_store_b128 v44 /*v300*/, v[2:5]
	s_and_not1_saveexec_b32 s68, s68
	s_set_vgpr_msb 0                        ;  msbs: dst=0 src0=0 src1=0 src2=0
	s_cbranch_execz .LBB54_20
.LBB54_174:                             ;   in Loop: Header=BB54_4 Depth=1
	v_lshl_add_u64 v[4:5], s[48:49], 4, v[8:9]
	flat_load_b128 v[10:13], v[4:5]
	s_wait_loadcnt_dscnt 0x0
	s_set_vgpr_msb 1                        ;  msbs: dst=0 src0=1 src1=0 src2=0
	ds_store_2addr_b64 v44 /*v300*/, v[10:11], v[12:13] offset1:1
	s_wait_xcnt 0x0
	s_or_b32 exec_lo, exec_lo, s68
	s_and_saveexec_b32 s68, s5
	s_delay_alu instid0(SALU_CYCLE_1)
	s_xor_b32 s68, exec_lo, s68
	s_set_vgpr_msb 0                        ;  msbs: dst=0 src0=0 src1=0 src2=0
	s_cbranch_execz .LBB54_21
.LBB54_175:                             ;   in Loop: Header=BB54_4 Depth=1
	v_dual_mov_b32 v3, v2 :: v_dual_mov_b32 v4, v2
	v_mov_b32_e32 v5, v2
	s_set_vgpr_msb 1                        ;  msbs: dst=0 src0=1 src1=0 src2=0
	ds_store_b128 v45 /*v301*/, v[2:5]
	s_and_not1_saveexec_b32 s68, s68
	s_set_vgpr_msb 0                        ;  msbs: dst=0 src0=0 src1=0 src2=0
	s_cbranch_execnz .LBB54_22
	s_branch .LBB54_23
.LBB54_176:                             ;   in Loop: Header=BB54_4 Depth=1
	flat_load_b128 v[16:19], v[14:15]
	s_wait_loadcnt_dscnt 0x0
	s_set_vgpr_msb 1                        ;  msbs: dst=0 src0=1 src1=0 src2=0
	ds_store_2addr_b64 v24 /*v280*/, v[16:17], v[18:19] offset1:1
	s_wait_xcnt 0x0
	s_or_b32 exec_lo, exec_lo, s68
	s_and_saveexec_b32 s68, s17
	s_delay_alu instid0(SALU_CYCLE_1)
	s_xor_b32 s68, exec_lo, s68
	s_set_vgpr_msb 0                        ;  msbs: dst=0 src0=0 src1=0 src2=0
	s_cbranch_execz .LBB54_55
.LBB54_177:                             ;   in Loop: Header=BB54_4 Depth=1
	v_dual_mov_b32 v3, v2 :: v_dual_mov_b32 v4, v2
	v_mov_b32_e32 v5, v2
	s_set_vgpr_msb 1                        ;  msbs: dst=0 src0=1 src1=0 src2=0
	ds_store_b128 v43 /*v299*/, v[2:5]
	s_and_not1_saveexec_b32 s68, s68
	s_set_vgpr_msb 0                        ;  msbs: dst=0 src0=0 src1=0 src2=0
	s_cbranch_execz .LBB54_56
.LBB54_178:                             ;   in Loop: Header=BB54_4 Depth=1
	v_lshl_add_u64 v[4:5], s[46:47], 4, v[14:15]
	flat_load_b128 v[16:19], v[4:5]
	s_wait_loadcnt_dscnt 0x0
	s_set_vgpr_msb 1                        ;  msbs: dst=0 src0=1 src1=0 src2=0
	ds_store_2addr_b64 v43 /*v299*/, v[16:17], v[18:19] offset1:1
	s_wait_xcnt 0x0
	s_or_b32 exec_lo, exec_lo, s68
	s_and_saveexec_b32 s68, s18
	s_delay_alu instid0(SALU_CYCLE_1)
	s_xor_b32 s68, exec_lo, s68
	s_set_vgpr_msb 0                        ;  msbs: dst=0 src0=0 src1=0 src2=0
	s_cbranch_execz .LBB54_57
.LBB54_179:                             ;   in Loop: Header=BB54_4 Depth=1
	v_dual_mov_b32 v3, v2 :: v_dual_mov_b32 v4, v2
	v_mov_b32_e32 v5, v2
	s_set_vgpr_msb 1                        ;  msbs: dst=0 src0=1 src1=0 src2=0
	ds_store_b128 v44 /*v300*/, v[2:5]
	s_and_not1_saveexec_b32 s68, s68
	s_set_vgpr_msb 0                        ;  msbs: dst=0 src0=0 src1=0 src2=0
	s_cbranch_execz .LBB54_58
.LBB54_180:                             ;   in Loop: Header=BB54_4 Depth=1
	v_lshl_add_u64 v[4:5], s[48:49], 4, v[14:15]
	flat_load_b128 v[16:19], v[4:5]
	s_wait_loadcnt_dscnt 0x0
	s_set_vgpr_msb 1                        ;  msbs: dst=0 src0=1 src1=0 src2=0
	ds_store_2addr_b64 v44 /*v300*/, v[16:17], v[18:19] offset1:1
	s_wait_xcnt 0x0
	s_or_b32 exec_lo, exec_lo, s68
	s_and_saveexec_b32 s68, s19
	s_delay_alu instid0(SALU_CYCLE_1)
	s_xor_b32 s68, exec_lo, s68
	s_set_vgpr_msb 0                        ;  msbs: dst=0 src0=0 src1=0 src2=0
	s_cbranch_execz .LBB54_59
.LBB54_181:                             ;   in Loop: Header=BB54_4 Depth=1
	v_dual_mov_b32 v3, v2 :: v_dual_mov_b32 v4, v2
	v_mov_b32_e32 v5, v2
	s_set_vgpr_msb 1                        ;  msbs: dst=0 src0=1 src1=0 src2=0
	ds_store_b128 v45 /*v301*/, v[2:5]
	s_and_not1_saveexec_b32 s68, s68
	s_set_vgpr_msb 0                        ;  msbs: dst=0 src0=0 src1=0 src2=0
	s_cbranch_execnz .LBB54_60
	s_branch .LBB54_61
.LBB54_182:                             ;   in Loop: Header=BB54_4 Depth=1
	flat_load_b128 v[16:19], v[12:13]
	s_wait_loadcnt_dscnt 0x0
	s_set_vgpr_msb 1                        ;  msbs: dst=0 src0=1 src1=0 src2=0
	ds_store_2addr_b64 v24 /*v280*/, v[16:17], v[18:19] offset1:1
	s_wait_xcnt 0x0
	s_or_b32 exec_lo, exec_lo, s68
	s_and_saveexec_b32 s68, s17
	s_delay_alu instid0(SALU_CYCLE_1)
	s_xor_b32 s68, exec_lo, s68
	s_set_vgpr_msb 0                        ;  msbs: dst=0 src0=0 src1=0 src2=0
	s_cbranch_execz .LBB54_93
.LBB54_183:                             ;   in Loop: Header=BB54_4 Depth=1
	v_dual_mov_b32 v3, v2 :: v_dual_mov_b32 v4, v2
	v_mov_b32_e32 v5, v2
	s_set_vgpr_msb 1                        ;  msbs: dst=0 src0=1 src1=0 src2=0
	ds_store_b128 v43 /*v299*/, v[2:5]
	s_and_not1_saveexec_b32 s68, s68
	s_set_vgpr_msb 0                        ;  msbs: dst=0 src0=0 src1=0 src2=0
	s_cbranch_execz .LBB54_94
.LBB54_184:                             ;   in Loop: Header=BB54_4 Depth=1
	v_lshl_add_u64 v[4:5], s[46:47], 4, v[12:13]
	flat_load_b128 v[16:19], v[4:5]
	s_wait_loadcnt_dscnt 0x0
	s_set_vgpr_msb 1                        ;  msbs: dst=0 src0=1 src1=0 src2=0
	ds_store_2addr_b64 v43 /*v299*/, v[16:17], v[18:19] offset1:1
	s_wait_xcnt 0x0
	s_or_b32 exec_lo, exec_lo, s68
	s_and_saveexec_b32 s68, s18
	s_delay_alu instid0(SALU_CYCLE_1)
	s_xor_b32 s68, exec_lo, s68
	s_set_vgpr_msb 0                        ;  msbs: dst=0 src0=0 src1=0 src2=0
	s_cbranch_execz .LBB54_95
.LBB54_185:                             ;   in Loop: Header=BB54_4 Depth=1
	v_dual_mov_b32 v3, v2 :: v_dual_mov_b32 v4, v2
	v_mov_b32_e32 v5, v2
	s_set_vgpr_msb 1                        ;  msbs: dst=0 src0=1 src1=0 src2=0
	ds_store_b128 v44 /*v300*/, v[2:5]
	s_and_not1_saveexec_b32 s68, s68
	s_set_vgpr_msb 0                        ;  msbs: dst=0 src0=0 src1=0 src2=0
	s_cbranch_execz .LBB54_96
.LBB54_186:                             ;   in Loop: Header=BB54_4 Depth=1
	v_lshl_add_u64 v[4:5], s[48:49], 4, v[12:13]
	flat_load_b128 v[16:19], v[4:5]
	s_wait_loadcnt_dscnt 0x0
	s_set_vgpr_msb 1                        ;  msbs: dst=0 src0=1 src1=0 src2=0
	ds_store_2addr_b64 v44 /*v300*/, v[16:17], v[18:19] offset1:1
	s_wait_xcnt 0x0
	s_or_b32 exec_lo, exec_lo, s68
	s_and_saveexec_b32 s68, s19
	s_delay_alu instid0(SALU_CYCLE_1)
	s_xor_b32 s68, exec_lo, s68
	s_set_vgpr_msb 0                        ;  msbs: dst=0 src0=0 src1=0 src2=0
	s_cbranch_execz .LBB54_97
.LBB54_187:                             ;   in Loop: Header=BB54_4 Depth=1
	v_dual_mov_b32 v3, v2 :: v_dual_mov_b32 v4, v2
	v_mov_b32_e32 v5, v2
	s_set_vgpr_msb 1                        ;  msbs: dst=0 src0=1 src1=0 src2=0
	ds_store_b128 v45 /*v301*/, v[2:5]
	s_and_not1_saveexec_b32 s68, s68
	s_set_vgpr_msb 0                        ;  msbs: dst=0 src0=0 src1=0 src2=0
	s_cbranch_execnz .LBB54_98
	s_branch .LBB54_99
.LBB54_188:
	s_sendmsg sendmsg(MSG_DEALLOC_VGPRS)
	s_endpgm
	.section	.rodata,"a",@progbits
	.p2align	6, 0x0
	.amdhsa_kernel _ZL26rocblas_hemvn_kernel_upperILb1ELi64ELi4ELi33ELi32ELi16Ei19rocblas_complex_numIdEPKPKS1_PS1_EviT6_lT7_lT5_lS8_lS9_lS7_lT8_i
		.amdhsa_group_segment_fixed_size 19200
		.amdhsa_private_segment_fixed_size 0
		.amdhsa_kernarg_size 392
		.amdhsa_user_sgpr_count 2
		.amdhsa_user_sgpr_dispatch_ptr 0
		.amdhsa_user_sgpr_queue_ptr 0
		.amdhsa_user_sgpr_kernarg_segment_ptr 1
		.amdhsa_user_sgpr_dispatch_id 0
		.amdhsa_user_sgpr_kernarg_preload_length 0
		.amdhsa_user_sgpr_kernarg_preload_offset 0
		.amdhsa_user_sgpr_private_segment_size 0
		.amdhsa_wavefront_size32 1
		.amdhsa_uses_dynamic_stack 0
		.amdhsa_enable_private_segment 0
		.amdhsa_system_sgpr_workgroup_id_x 1
		.amdhsa_system_sgpr_workgroup_id_y 0
		.amdhsa_system_sgpr_workgroup_id_z 1
		.amdhsa_system_sgpr_workgroup_info 0
		.amdhsa_system_vgpr_workitem_id 1
		.amdhsa_next_free_vgpr 338
		.amdhsa_next_free_sgpr 98
		.amdhsa_named_barrier_count 0
		.amdhsa_reserve_vcc 1
		.amdhsa_float_round_mode_32 0
		.amdhsa_float_round_mode_16_64 0
		.amdhsa_float_denorm_mode_32 3
		.amdhsa_float_denorm_mode_16_64 3
		.amdhsa_fp16_overflow 0
		.amdhsa_memory_ordered 1
		.amdhsa_forward_progress 1
		.amdhsa_inst_pref_size 87
		.amdhsa_round_robin_scheduling 0
		.amdhsa_exception_fp_ieee_invalid_op 0
		.amdhsa_exception_fp_denorm_src 0
		.amdhsa_exception_fp_ieee_div_zero 0
		.amdhsa_exception_fp_ieee_overflow 0
		.amdhsa_exception_fp_ieee_underflow 0
		.amdhsa_exception_fp_ieee_inexact 0
		.amdhsa_exception_int_div_zero 0
	.end_amdhsa_kernel
	.section	.text._ZL26rocblas_hemvn_kernel_upperILb1ELi64ELi4ELi33ELi32ELi16Ei19rocblas_complex_numIdEPKPKS1_PS1_EviT6_lT7_lT5_lS8_lS9_lS7_lT8_i,"axG",@progbits,_ZL26rocblas_hemvn_kernel_upperILb1ELi64ELi4ELi33ELi32ELi16Ei19rocblas_complex_numIdEPKPKS1_PS1_EviT6_lT7_lT5_lS8_lS9_lS7_lT8_i,comdat
.Lfunc_end54:
	.size	_ZL26rocblas_hemvn_kernel_upperILb1ELi64ELi4ELi33ELi32ELi16Ei19rocblas_complex_numIdEPKPKS1_PS1_EviT6_lT7_lT5_lS8_lS9_lS7_lT8_i, .Lfunc_end54-_ZL26rocblas_hemvn_kernel_upperILb1ELi64ELi4ELi33ELi32ELi16Ei19rocblas_complex_numIdEPKPKS1_PS1_EviT6_lT7_lT5_lS8_lS9_lS7_lT8_i
                                        ; -- End function
	.set _ZL26rocblas_hemvn_kernel_upperILb1ELi64ELi4ELi33ELi32ELi16Ei19rocblas_complex_numIdEPKPKS1_PS1_EviT6_lT7_lT5_lS8_lS9_lS7_lT8_i.num_vgpr, 338
	.set _ZL26rocblas_hemvn_kernel_upperILb1ELi64ELi4ELi33ELi32ELi16Ei19rocblas_complex_numIdEPKPKS1_PS1_EviT6_lT7_lT5_lS8_lS9_lS7_lT8_i.num_agpr, 0
	.set _ZL26rocblas_hemvn_kernel_upperILb1ELi64ELi4ELi33ELi32ELi16Ei19rocblas_complex_numIdEPKPKS1_PS1_EviT6_lT7_lT5_lS8_lS9_lS7_lT8_i.numbered_sgpr, 98
	.set _ZL26rocblas_hemvn_kernel_upperILb1ELi64ELi4ELi33ELi32ELi16Ei19rocblas_complex_numIdEPKPKS1_PS1_EviT6_lT7_lT5_lS8_lS9_lS7_lT8_i.num_named_barrier, 0
	.set _ZL26rocblas_hemvn_kernel_upperILb1ELi64ELi4ELi33ELi32ELi16Ei19rocblas_complex_numIdEPKPKS1_PS1_EviT6_lT7_lT5_lS8_lS9_lS7_lT8_i.private_seg_size, 0
	.set _ZL26rocblas_hemvn_kernel_upperILb1ELi64ELi4ELi33ELi32ELi16Ei19rocblas_complex_numIdEPKPKS1_PS1_EviT6_lT7_lT5_lS8_lS9_lS7_lT8_i.uses_vcc, 1
	.set _ZL26rocblas_hemvn_kernel_upperILb1ELi64ELi4ELi33ELi32ELi16Ei19rocblas_complex_numIdEPKPKS1_PS1_EviT6_lT7_lT5_lS8_lS9_lS7_lT8_i.uses_flat_scratch, 0
	.set _ZL26rocblas_hemvn_kernel_upperILb1ELi64ELi4ELi33ELi32ELi16Ei19rocblas_complex_numIdEPKPKS1_PS1_EviT6_lT7_lT5_lS8_lS9_lS7_lT8_i.has_dyn_sized_stack, 0
	.set _ZL26rocblas_hemvn_kernel_upperILb1ELi64ELi4ELi33ELi32ELi16Ei19rocblas_complex_numIdEPKPKS1_PS1_EviT6_lT7_lT5_lS8_lS9_lS7_lT8_i.has_recursion, 0
	.set _ZL26rocblas_hemvn_kernel_upperILb1ELi64ELi4ELi33ELi32ELi16Ei19rocblas_complex_numIdEPKPKS1_PS1_EviT6_lT7_lT5_lS8_lS9_lS7_lT8_i.has_indirect_call, 0
	.section	.AMDGPU.csdata,"",@progbits
; Kernel info:
; codeLenInByte = 11080
; TotalNumSgprs: 100
; NumVgprs: 338
; ScratchSize: 0
; MemoryBound: 1
; FloatMode: 240
; IeeeMode: 1
; LDSByteSize: 19200 bytes/workgroup (compile time only)
; SGPRBlocks: 0
; VGPRBlocks: 21
; NumSGPRsForWavesPerEU: 100
; NumVGPRsForWavesPerEU: 338
; NamedBarCnt: 0
; Occupancy: 2
; WaveLimiterHint : 1
; COMPUTE_PGM_RSRC2:SCRATCH_EN: 0
; COMPUTE_PGM_RSRC2:USER_SGPR: 2
; COMPUTE_PGM_RSRC2:TRAP_HANDLER: 0
; COMPUTE_PGM_RSRC2:TGID_X_EN: 1
; COMPUTE_PGM_RSRC2:TGID_Y_EN: 0
; COMPUTE_PGM_RSRC2:TGID_Z_EN: 1
; COMPUTE_PGM_RSRC2:TIDIG_COMP_CNT: 1
	.section	.text._ZL36rocblas_hemvn_kernel_upper_block_sumILi64Ei19rocblas_complex_numIdEPKPS1_S1_EviT1_lS5_lT2_lT0_lPT3_i,"axG",@progbits,_ZL36rocblas_hemvn_kernel_upper_block_sumILi64Ei19rocblas_complex_numIdEPKPS1_S1_EviT1_lS5_lT2_lT0_lPT3_i,comdat
	.globl	_ZL36rocblas_hemvn_kernel_upper_block_sumILi64Ei19rocblas_complex_numIdEPKPS1_S1_EviT1_lS5_lT2_lT0_lPT3_i ; -- Begin function _ZL36rocblas_hemvn_kernel_upper_block_sumILi64Ei19rocblas_complex_numIdEPKPS1_S1_EviT1_lS5_lT2_lT0_lPT3_i
	.p2align	8
	.type	_ZL36rocblas_hemvn_kernel_upper_block_sumILi64Ei19rocblas_complex_numIdEPKPS1_S1_EviT1_lS5_lT2_lT0_lPT3_i,@function
_ZL36rocblas_hemvn_kernel_upper_block_sumILi64Ei19rocblas_complex_numIdEPKPS1_S1_EviT1_lS5_lT2_lT0_lPT3_i: ; @_ZL36rocblas_hemvn_kernel_upper_block_sumILi64Ei19rocblas_complex_numIdEPKPS1_S1_EviT1_lS5_lT2_lT0_lPT3_i
; %bb.0:
	s_load_b32 s22, s[0:1], 0x60
	s_bfe_u32 s2, ttmp6, 0x40014
	s_lshr_b32 s3, ttmp7, 16
	s_add_co_i32 s2, s2, 1
	s_bfe_u32 s4, ttmp6, 0x40008
	s_mul_i32 s2, s3, s2
	s_getreg_b32 s12, hwreg(HW_REG_IB_STS2, 6, 4)
	s_add_co_i32 s4, s4, s2
	s_cmp_eq_u32 s12, 0
	s_cselect_b32 s2, s3, s4
	s_mov_b32 s3, 0
	s_wait_kmcnt 0x0
	s_cmp_ge_u32 s2, s22
	s_cbranch_scc1 .LBB55_24
; %bb.1:
	s_clause 0x3
	s_load_b128 s[4:7], s[0:1], 0x8
	s_load_b128 s[8:11], s[0:1], 0x20
	s_load_b32 s18, s[0:1], 0x0
	s_load_b32 s17, s[0:1], 0x48
	s_bfe_u32 s15, ttmp6, 0x4000c
	s_load_b64 s[20:21], s[0:1], 0x58
	s_add_co_i32 s15, s15, 1
	s_and_b32 s19, ttmp6, 15
	s_mul_i32 s15, ttmp9, s15
	s_delay_alu instid0(SALU_CYCLE_1)
	s_add_co_i32 s19, s19, s15
	s_wait_kmcnt 0x0
	v_cmp_neq_f64_e64 s13, s[4:5], 0
	v_cmp_neq_f64_e64 s14, s[6:7], 0
	;; [unrolled: 1-line block ×4, first 2 shown]
	v_cmp_neq_f64_e64 s26, s[8:9], 1.0
	s_or_b32 s27, s13, s14
	s_delay_alu instid0(SALU_CYCLE_1)
	s_xor_b32 s23, s27, -1
	s_cmp_eq_u32 s12, 0
	s_load_b128 s[12:15], s[0:1], 0x38
	s_cselect_b32 s28, ttmp9, s19
	s_or_b32 s16, s16, s25
	v_lshl_or_b32 v0, s28, 6, v0
	s_ashr_i32 s19, s18, 31
	s_xor_b32 s24, s16, -1
	s_cmp_gt_i32 s28, -1
	v_cndmask_b32_e64 v10, 0, 1, s16
	v_ashrrev_i32_e32 v1, 31, v0
	v_mul_lo_u32 v4, s17, v0
	s_add_nc_u64 s[16:17], s[0:1], 0x68
	s_wait_xcnt 0x0
	v_cmp_gt_i32_e64 s0, s18, v0
	s_cselect_b32 s1, -1, 0
	v_lshl_add_u64 v[2:3], v[0:1], 4, s[20:21]
	s_or_b32 s20, s27, s26
	s_add_co_i32 s26, s28, 1
	s_or_b32 s25, s20, s25
	s_lshl_b64 s[18:19], s[18:19], 4
	v_add_nc_u64_e32 v[6:7], 8, v[2:3]
	v_ashrrev_i32_e32 v5, 31, v4
	s_wait_kmcnt 0x0
	s_lshl_b64 s[14:15], s[14:15], 4
	s_branch .LBB55_4
.LBB55_2:                               ;   in Loop: Header=BB55_4 Depth=1
	s_wait_xcnt 0x0
	s_or_b32 exec_lo, exec_lo, s28
.LBB55_3:                               ;   in Loop: Header=BB55_4 Depth=1
	s_add_co_i32 s2, s2, 0x10000
	s_delay_alu instid0(SALU_CYCLE_1)
	s_cmp_lt_u32 s2, s22
	s_cbranch_scc0 .LBB55_24
.LBB55_4:                               ; =>This Loop Header: Depth=1
                                        ;     Child Loop BB55_15 Depth 2
	s_and_not1_b32 vcc_lo, exec_lo, s25
	s_cbranch_vccnz .LBB55_3
; %bb.5:                                ;   in Loop: Header=BB55_4 Depth=1
	s_lshl_b64 s[20:21], s[2:3], 3
	s_and_not1_b32 vcc_lo, exec_lo, s23
	s_add_nc_u64 s[20:21], s[12:13], s[20:21]
	s_load_b64 s[20:21], s[20:21], 0x0
	s_wait_kmcnt 0x0
	s_wait_xcnt 0x0
	s_add_nc_u64 s[20:21], s[20:21], s[14:15]
	s_cbranch_vccnz .LBB55_10
; %bb.6:                                ;   in Loop: Header=BB55_4 Depth=1
	s_mov_b32 s28, 0
	s_mov_b32 s27, 0
                                        ; implicit-def: $vgpr2_vgpr3
	s_and_saveexec_b32 s29, s0
	s_cbranch_execz .LBB55_11
; %bb.7:                                ;   in Loop: Header=BB55_4 Depth=1
	v_mov_b64_e32 v[2:3], 0
	v_cmp_ne_u32_e32 vcc_lo, 1, v10
	v_mov_b64_e32 v[0:1], 0
	s_cbranch_vccnz .LBB55_9
; %bb.8:                                ;   in Loop: Header=BB55_4 Depth=1
	v_lshl_add_u64 v[0:1], v[4:5], 4, s[20:21]
	flat_load_b128 v[12:15], v[0:1]
	s_wait_loadcnt_dscnt 0x0
	s_wait_xcnt 0x0
	v_mul_f64_e32 v[0:1], s[10:11], v[14:15]
	v_mul_f64_e32 v[2:3], s[8:9], v[14:15]
	s_delay_alu instid0(VALU_DEP_2) | instskip(NEXT) | instid1(VALU_DEP_2)
	v_fma_f64 v[0:1], s[8:9], v[12:13], -v[0:1]
	v_fmac_f64_e32 v[2:3], s[10:11], v[12:13]
.LBB55_9:                               ;   in Loop: Header=BB55_4 Depth=1
	s_mov_b32 s27, exec_lo
	s_or_b32 exec_lo, exec_lo, s29
	s_delay_alu instid0(SALU_CYCLE_1)
	s_and_b32 vcc_lo, exec_lo, s28
	s_cbranch_vccnz .LBB55_12
	s_branch .LBB55_22
.LBB55_10:                              ;   in Loop: Header=BB55_4 Depth=1
	s_mov_b32 s27, 0
                                        ; implicit-def: $vgpr2_vgpr3
	s_cbranch_execnz .LBB55_12
	s_branch .LBB55_22
.LBB55_11:                              ;   in Loop: Header=BB55_4 Depth=1
	s_or_b32 exec_lo, exec_lo, s29
	s_delay_alu instid0(SALU_CYCLE_1)
	s_and_b32 vcc_lo, exec_lo, s28
	s_cbranch_vccz .LBB55_22
.LBB55_12:                              ;   in Loop: Header=BB55_4 Depth=1
                                        ; implicit-def: $vgpr2_vgpr3
	s_and_saveexec_b32 s28, s0
	s_cbranch_execz .LBB55_21
; %bb.13:                               ;   in Loop: Header=BB55_4 Depth=1
	v_mov_b64_e32 v[0:1], 0
	v_mov_b64_e32 v[8:9], 0
	s_and_not1_b32 vcc_lo, exec_lo, s1
	s_cbranch_vccnz .LBB55_16
; %bb.14:                               ;   in Loop: Header=BB55_4 Depth=1
	s_load_b32 s30, s[16:17], 0x0
	s_mov_b32 s31, s3
	v_mov_b64_e32 v[0:1], 0
	v_mov_b64_e32 v[8:9], 0
	s_mov_b32 s29, s26
	s_wait_kmcnt 0x0
	s_mul_u64 s[30:31], s[18:19], s[30:31]
	s_delay_alu instid0(SALU_CYCLE_1) | instskip(NEXT) | instid1(VALU_DEP_1)
	v_mad_nc_u64_u32 v[2:3], s30, s2, v[6:7]
	v_mad_u32 v3, s31, s2, v3
.LBB55_15:                              ;   Parent Loop BB55_4 Depth=1
                                        ; =>  This Inner Loop Header: Depth=2
	global_load_b128 v[12:15], v[2:3], off offset:-8
	s_wait_xcnt 0x0
	v_add_nc_u64_e32 v[2:3], s[18:19], v[2:3]
	s_add_co_i32 s29, s29, -1
	s_delay_alu instid0(SALU_CYCLE_1)
	s_cmp_eq_u32 s29, 0
	s_wait_loadcnt 0x0
	v_add_f64_e32 v[8:9], v[8:9], v[12:13]
	v_add_f64_e32 v[0:1], v[0:1], v[14:15]
	s_cbranch_scc0 .LBB55_15
.LBB55_16:                              ;   in Loop: Header=BB55_4 Depth=1
	s_delay_alu instid0(VALU_DEP_1) | instskip(SKIP_3) | instid1(VALU_DEP_2)
	v_mul_f64_e32 v[12:13], s[6:7], v[0:1]
	v_mul_f64_e32 v[2:3], s[4:5], v[0:1]
	s_and_b32 vcc_lo, exec_lo, s24
	s_mov_b32 s29, -1
	v_fma_f64 v[0:1], s[4:5], v[8:9], -v[12:13]
	s_delay_alu instid0(VALU_DEP_2)
	v_fmac_f64_e32 v[2:3], s[6:7], v[8:9]
	s_cbranch_vccz .LBB55_18
; %bb.17:                               ;   in Loop: Header=BB55_4 Depth=1
	s_mov_b32 s29, 0
.LBB55_18:                              ;   in Loop: Header=BB55_4 Depth=1
	s_delay_alu instid0(SALU_CYCLE_1)
	s_and_not1_b32 vcc_lo, exec_lo, s29
	s_cbranch_vccnz .LBB55_20
; %bb.19:                               ;   in Loop: Header=BB55_4 Depth=1
	v_lshl_add_u64 v[8:9], v[4:5], 4, s[20:21]
	flat_load_b128 v[12:15], v[8:9]
	s_wait_loadcnt_dscnt 0x0
	s_wait_xcnt 0x0
	v_mul_f64_e32 v[8:9], s[10:11], v[14:15]
	v_mul_f64_e32 v[14:15], s[8:9], v[14:15]
	s_delay_alu instid0(VALU_DEP_2) | instskip(NEXT) | instid1(VALU_DEP_2)
	v_fma_f64 v[8:9], s[8:9], v[12:13], -v[8:9]
	v_fmac_f64_e32 v[14:15], s[10:11], v[12:13]
	s_delay_alu instid0(VALU_DEP_2) | instskip(NEXT) | instid1(VALU_DEP_2)
	v_add_f64_e32 v[0:1], v[0:1], v[8:9]
	v_add_f64_e32 v[2:3], v[2:3], v[14:15]
.LBB55_20:                              ;   in Loop: Header=BB55_4 Depth=1
	s_or_b32 s27, s27, exec_lo
.LBB55_21:                              ;   in Loop: Header=BB55_4 Depth=1
	s_or_b32 exec_lo, exec_lo, s28
.LBB55_22:                              ;   in Loop: Header=BB55_4 Depth=1
	s_and_saveexec_b32 s28, s27
	s_cbranch_execz .LBB55_2
; %bb.23:                               ;   in Loop: Header=BB55_4 Depth=1
	v_lshl_add_u64 v[8:9], v[4:5], 4, s[20:21]
	flat_store_b128 v[8:9], v[0:3]
	s_branch .LBB55_2
.LBB55_24:
	s_endpgm
	.section	.rodata,"a",@progbits
	.p2align	6, 0x0
	.amdhsa_kernel _ZL36rocblas_hemvn_kernel_upper_block_sumILi64Ei19rocblas_complex_numIdEPKPS1_S1_EviT1_lS5_lT2_lT0_lPT3_i
		.amdhsa_group_segment_fixed_size 0
		.amdhsa_private_segment_fixed_size 0
		.amdhsa_kernarg_size 360
		.amdhsa_user_sgpr_count 2
		.amdhsa_user_sgpr_dispatch_ptr 0
		.amdhsa_user_sgpr_queue_ptr 0
		.amdhsa_user_sgpr_kernarg_segment_ptr 1
		.amdhsa_user_sgpr_dispatch_id 0
		.amdhsa_user_sgpr_kernarg_preload_length 0
		.amdhsa_user_sgpr_kernarg_preload_offset 0
		.amdhsa_user_sgpr_private_segment_size 0
		.amdhsa_wavefront_size32 1
		.amdhsa_uses_dynamic_stack 0
		.amdhsa_enable_private_segment 0
		.amdhsa_system_sgpr_workgroup_id_x 1
		.amdhsa_system_sgpr_workgroup_id_y 0
		.amdhsa_system_sgpr_workgroup_id_z 1
		.amdhsa_system_sgpr_workgroup_info 0
		.amdhsa_system_vgpr_workitem_id 0
		.amdhsa_next_free_vgpr 16
		.amdhsa_next_free_sgpr 32
		.amdhsa_named_barrier_count 0
		.amdhsa_reserve_vcc 1
		.amdhsa_float_round_mode_32 0
		.amdhsa_float_round_mode_16_64 0
		.amdhsa_float_denorm_mode_32 3
		.amdhsa_float_denorm_mode_16_64 3
		.amdhsa_fp16_overflow 0
		.amdhsa_memory_ordered 1
		.amdhsa_forward_progress 1
		.amdhsa_inst_pref_size 7
		.amdhsa_round_robin_scheduling 0
		.amdhsa_exception_fp_ieee_invalid_op 0
		.amdhsa_exception_fp_denorm_src 0
		.amdhsa_exception_fp_ieee_div_zero 0
		.amdhsa_exception_fp_ieee_overflow 0
		.amdhsa_exception_fp_ieee_underflow 0
		.amdhsa_exception_fp_ieee_inexact 0
		.amdhsa_exception_int_div_zero 0
	.end_amdhsa_kernel
	.section	.text._ZL36rocblas_hemvn_kernel_upper_block_sumILi64Ei19rocblas_complex_numIdEPKPS1_S1_EviT1_lS5_lT2_lT0_lPT3_i,"axG",@progbits,_ZL36rocblas_hemvn_kernel_upper_block_sumILi64Ei19rocblas_complex_numIdEPKPS1_S1_EviT1_lS5_lT2_lT0_lPT3_i,comdat
.Lfunc_end55:
	.size	_ZL36rocblas_hemvn_kernel_upper_block_sumILi64Ei19rocblas_complex_numIdEPKPS1_S1_EviT1_lS5_lT2_lT0_lPT3_i, .Lfunc_end55-_ZL36rocblas_hemvn_kernel_upper_block_sumILi64Ei19rocblas_complex_numIdEPKPS1_S1_EviT1_lS5_lT2_lT0_lPT3_i
                                        ; -- End function
	.set _ZL36rocblas_hemvn_kernel_upper_block_sumILi64Ei19rocblas_complex_numIdEPKPS1_S1_EviT1_lS5_lT2_lT0_lPT3_i.num_vgpr, 16
	.set _ZL36rocblas_hemvn_kernel_upper_block_sumILi64Ei19rocblas_complex_numIdEPKPS1_S1_EviT1_lS5_lT2_lT0_lPT3_i.num_agpr, 0
	.set _ZL36rocblas_hemvn_kernel_upper_block_sumILi64Ei19rocblas_complex_numIdEPKPS1_S1_EviT1_lS5_lT2_lT0_lPT3_i.numbered_sgpr, 32
	.set _ZL36rocblas_hemvn_kernel_upper_block_sumILi64Ei19rocblas_complex_numIdEPKPS1_S1_EviT1_lS5_lT2_lT0_lPT3_i.num_named_barrier, 0
	.set _ZL36rocblas_hemvn_kernel_upper_block_sumILi64Ei19rocblas_complex_numIdEPKPS1_S1_EviT1_lS5_lT2_lT0_lPT3_i.private_seg_size, 0
	.set _ZL36rocblas_hemvn_kernel_upper_block_sumILi64Ei19rocblas_complex_numIdEPKPS1_S1_EviT1_lS5_lT2_lT0_lPT3_i.uses_vcc, 1
	.set _ZL36rocblas_hemvn_kernel_upper_block_sumILi64Ei19rocblas_complex_numIdEPKPS1_S1_EviT1_lS5_lT2_lT0_lPT3_i.uses_flat_scratch, 0
	.set _ZL36rocblas_hemvn_kernel_upper_block_sumILi64Ei19rocblas_complex_numIdEPKPS1_S1_EviT1_lS5_lT2_lT0_lPT3_i.has_dyn_sized_stack, 0
	.set _ZL36rocblas_hemvn_kernel_upper_block_sumILi64Ei19rocblas_complex_numIdEPKPS1_S1_EviT1_lS5_lT2_lT0_lPT3_i.has_recursion, 0
	.set _ZL36rocblas_hemvn_kernel_upper_block_sumILi64Ei19rocblas_complex_numIdEPKPS1_S1_EviT1_lS5_lT2_lT0_lPT3_i.has_indirect_call, 0
	.section	.AMDGPU.csdata,"",@progbits
; Kernel info:
; codeLenInByte = 820
; TotalNumSgprs: 34
; NumVgprs: 16
; ScratchSize: 0
; MemoryBound: 0
; FloatMode: 240
; IeeeMode: 1
; LDSByteSize: 0 bytes/workgroup (compile time only)
; SGPRBlocks: 0
; VGPRBlocks: 0
; NumSGPRsForWavesPerEU: 34
; NumVGPRsForWavesPerEU: 16
; NamedBarCnt: 0
; Occupancy: 16
; WaveLimiterHint : 1
; COMPUTE_PGM_RSRC2:SCRATCH_EN: 0
; COMPUTE_PGM_RSRC2:USER_SGPR: 2
; COMPUTE_PGM_RSRC2:TRAP_HANDLER: 0
; COMPUTE_PGM_RSRC2:TGID_X_EN: 1
; COMPUTE_PGM_RSRC2:TGID_Y_EN: 0
; COMPUTE_PGM_RSRC2:TGID_Z_EN: 1
; COMPUTE_PGM_RSRC2:TIDIG_COMP_CNT: 0
	.section	.text._ZL26rocblas_hemvn_kernel_lowerILb1ELi64ELi4ELi33ELi32ELi16ElPK19rocblas_complex_numIdEPKS3_PS1_EviT6_lT7_lT5_lS8_lS9_lS7_lT8_i,"axG",@progbits,_ZL26rocblas_hemvn_kernel_lowerILb1ELi64ELi4ELi33ELi32ELi16ElPK19rocblas_complex_numIdEPKS3_PS1_EviT6_lT7_lT5_lS8_lS9_lS7_lT8_i,comdat
	.globl	_ZL26rocblas_hemvn_kernel_lowerILb1ELi64ELi4ELi33ELi32ELi16ElPK19rocblas_complex_numIdEPKS3_PS1_EviT6_lT7_lT5_lS8_lS9_lS7_lT8_i ; -- Begin function _ZL26rocblas_hemvn_kernel_lowerILb1ELi64ELi4ELi33ELi32ELi16ElPK19rocblas_complex_numIdEPKS3_PS1_EviT6_lT7_lT5_lS8_lS9_lS7_lT8_i
	.p2align	8
	.type	_ZL26rocblas_hemvn_kernel_lowerILb1ELi64ELi4ELi33ELi32ELi16ElPK19rocblas_complex_numIdEPKS3_PS1_EviT6_lT7_lT5_lS8_lS9_lS7_lT8_i,@function
_ZL26rocblas_hemvn_kernel_lowerILb1ELi64ELi4ELi33ELi32ELi16ElPK19rocblas_complex_numIdEPKS3_PS1_EviT6_lT7_lT5_lS8_lS9_lS7_lT8_i: ; @_ZL26rocblas_hemvn_kernel_lowerILb1ELi64ELi4ELi33ELi32ELi16ElPK19rocblas_complex_numIdEPKS3_PS1_EviT6_lT7_lT5_lS8_lS9_lS7_lT8_i
; %bb.0:
	s_clause 0x1
	s_load_b64 s[2:3], s[0:1], 0x84
	s_load_b32 s33, s[0:1], 0x70
	s_bfe_u32 s4, ttmp6, 0x40014
	s_lshr_b32 s5, ttmp7, 16
	s_add_co_i32 s4, s4, 1
	s_bfe_u32 s6, ttmp6, 0x40008
	s_mul_i32 s7, s5, s4
	s_getreg_b32 s4, hwreg(HW_REG_IB_STS2, 6, 4)
	s_add_co_i32 s6, s6, s7
	s_mov_b32 s45, 0
	s_wait_kmcnt 0x0
	s_lshr_b32 s7, s2, 16
	s_and_b32 s2, s2, 0xffff
	s_and_b32 s3, s3, 0xffff
	s_mul_i32 s2, s7, s2
	s_cmp_eq_u32 s4, 0
	s_mul_i32 s2, s2, s3
	s_cselect_b32 s34, s5, s6
	s_cmp_lg_u32 s2, 0x100
	s_cselect_b32 s2, -1, 0
	s_cmp_ge_u32 s34, s33
	s_cselect_b32 s3, -1, 0
	s_delay_alu instid0(SALU_CYCLE_1) | instskip(NEXT) | instid1(SALU_CYCLE_1)
	s_or_b32 s2, s2, s3
	s_and_b32 vcc_lo, exec_lo, s2
	s_cbranch_vccnz .LBB56_137
; %bb.1:
	s_load_b32 s2, s[0:1], 0x0
	s_add_nc_u64 s[6:7], s[0:1], 0x78
	s_load_b256 s[24:31], s[0:1], 0x8
	s_load_b32 s44, s[6:7], 0x0
	s_clause 0x4
	s_load_b64 s[74:75], s[0:1], 0x28
	s_load_b128 s[36:39], s[0:1], 0x38
	s_load_b64 s[8:9], s[0:1], 0x68
	s_load_b64 s[46:47], s[0:1], 0x48
	s_load_b128 s[40:43], s[0:1], 0x58
	s_wait_xcnt 0x0
	s_bfe_u32 s1, ttmp6, 0x4000c
	s_and_b32 s0, ttmp6, 15
	s_add_co_i32 s1, s1, 1
	v_bfe_u32 v1, v0, 10, 10
	s_mul_i32 s1, ttmp9, s1
	v_and_b32_e32 v148, 0x3ff, v0
	s_add_co_i32 s0, s0, s1
	v_dual_mov_b32 v151, 0 :: v_dual_bitop2_b32 v150, 31, v0 bitop3:0x40
	s_mov_b64 s[76:77], 0xfffffffffffffdf0
	s_mov_b64 s[78:79], 0xfffffffffffffe00
	v_lshlrev_b32_e32 v149, 4, v148
	s_delay_alu instid0(VALU_DEP_2)
	v_mul_u32_u24_e32 v14, 33, v150
	v_sub_nc_u64_e32 v[158:159], 0, v[150:151]
	s_wait_kmcnt 0x0
	s_mul_u64 s[60:61], s[74:75], 0x180
	v_add_nc_u32_e32 v168, 0x4700, v149
	s_ashr_i32 s3, s2, 31
	s_cmp_eq_u32 s4, 0
	s_mul_u64 s[50:51], s[44:45], s[2:3]
	s_cselect_b32 s84, ttmp9, s0
	s_lshr_b32 s0, s3, 26
	s_lshl_b32 s80, s84, 6
	s_delay_alu instid0(SALU_CYCLE_1) | instskip(SKIP_3) | instid1(VALU_DEP_1)
	v_dual_lshlrev_b32 v4, 6, v1 :: v_dual_add_nc_u32 v152, s80, v148
	s_add_co_i32 s0, s2, s0
	s_add_co_i32 s1, s44, -1
	s_and_not1_b32 s0, s0, 63
	v_add_nc_u32_e32 v5, v4, v148
	v_ashrrev_i32_e32 v153, 31, v152
	s_sub_co_i32 s0, s2, s0
	s_cmp_eq_u32 s84, s1
	s_delay_alu instid0(VALU_DEP_2)
	v_dual_lshlrev_b32 v177, 4, v14 :: v_dual_lshrrev_b32 v2, 5, v5
	s_cselect_b32 s48, s0, 0
	s_mul_i32 s4, s2, s84
	s_cmp_eq_u32 s48, 0
	v_mul_u64_e32 v[154:155], s[46:47], v[152:153]
	v_dual_add_nc_u32 v8, 24, v2 :: v_dual_lshlrev_b32 v9, 2, v2
	v_lshlrev_b32_e32 v6, 4, v150
	v_lshlrev_b32_e32 v11, 6, v2
	v_mad_nc_u64_u32 v[156:157], s74, v2, v[150:151]
	v_dual_add_nc_u32 v3, 8, v2 :: v_dual_add_nc_u32 v7, 16, v2
	v_or_b32_e32 v12, 1, v9
	v_lshl_or_b32 v10, v150, 9, v6
	s_cselect_b32 s85, -1, 0
	s_cmp_lg_u32 s48, 0
	v_cmp_le_i32_e64 s6, s48, v8
	s_cselect_b32 s1, -1, 0
	v_dual_add_nc_u32 v174, v10, v11 :: v_dual_bitop2_b32 v10, 2, v9 bitop3:0x54
	s_sub_co_i32 s20, s48, 32
	s_ashr_i32 s5, s4, 31
	v_cmp_le_i32_e64 s17, s20, v2
	v_cmp_le_i32_e64 s18, s20, v3
	v_cmp_ge_u32_e64 s11, v10, v150
	v_cmp_eq_u32_e64 s12, v10, v150
	v_lshlrev_b32_e32 v10, 4, v2
	v_cmp_le_i32_e64 s19, s20, v7
	v_cmp_le_i32_e64 s20, s20, v8
	v_lshrrev_b32_e32 v8, 4, v5
	s_lshl_b64 s[4:5], s[4:5], 4
	v_add_nc_u32_e32 v180, v177, v10
	s_add_nc_u64 s[52:53], s[8:9], s[4:5]
	v_mad_u32_u24 v169, 0x210, v2, v6
	v_mad_u32 v157, s75, v2, v157
	v_cmp_le_i32_e64 s3, s48, v2
	v_cmp_le_i32_e64 s4, s48, v3
	;; [unrolled: 1-line block ×3, first 2 shown]
	v_mul_u32_u24_e32 v13, 0x840, v2
	v_cmp_eq_u32_e64 s21, 1, v2
	v_mul_i32_i24_e32 v7, 0xffffffd0, v2
	v_mad_u32_u24 v181, v2, 48, v180
	v_dual_mov_b32 v3, v151 :: v_dual_lshlrev_b32 v2, 2, v1
	v_cmp_ge_u32_e64 s7, v9, v150
	v_cmp_eq_u32_e64 s8, v9, v150
	v_dual_add_nc_u32 v178, 48, v174 :: v_dual_bitop2_b32 v9, 3, v9 bitop3:0x54
	s_delay_alu instid0(VALU_DEP_4) | instskip(SKIP_2) | instid1(VALU_DEP_4)
	v_mul_u64_e32 v[162:163], s[74:75], v[2:3]
	v_lshlrev_b32_e32 v2, 6, v8
	v_cmp_le_i32_e32 vcc_lo, s48, v148
	v_cmp_ge_u32_e64 s13, v9, v150
	v_cmp_eq_u32_e64 s14, v9, v150
	v_or_b32_e32 v9, 32, v150
	v_cmp_ge_u32_e64 s9, v12, v150
	v_cmp_eq_u32_e64 s10, v12, v150
	v_mul_u32_u24_e32 v12, 0x210, v12
	v_add_nc_u32_e32 v179, 0x4700, v11
	v_cmp_gt_i32_e64 s16, s48, v9
	v_and_b32_e32 v9, 15, v0
	v_and_b32_e32 v0, 48, v0
	v_or_b32_e32 v3, 0xf0, v149
	s_ashr_i32 s81, s80, 31
	v_cmp_eq_u32_e64 s0, 0, v1
	v_mad_u32_u24 v185, 0x430, v9, v2
	v_dual_lshlrev_b32 v0, 4, v0 :: v_dual_add_nc_u32 v190, v6, v13
	v_mul_i32_i24_e32 v2, 0xffffffd0, v8
	s_and_b32 s1, s1, vcc_lo
	s_mul_u64 s[22:23], s[46:47], s[80:81]
	v_sub_nc_u64_e32 v[160:161], 0, v[156:157]
	s_lshl_b64 s[56:57], s[74:75], 7
	v_add_nc_u32_e32 v170, 0x1080, v169
	s_lshl_b64 s[58:59], s[74:75], 8
	v_add_nc_u32_e32 v171, 0x2100, v169
	v_add_nc_u32_e32 v172, 0x3180, v169
	v_cmp_gt_i32_e64 s2, s48, v150
	s_ashr_i32 s49, s48, 31
	v_mad_u32_u24 v173, 0x210, v150, v6
	v_dual_add_nc_u32 v175, 16, v174 :: v_dual_add_nc_u32 v176, 32, v174
	v_cmp_gt_u32_e64 s15, 32, v5
	s_lshl_b64 s[62:63], s[74:75], 5
	s_xor_b32 s35, s1, -1
	s_sub_nc_u64 s[66:67], 0, s[22:23]
	v_add_nc_u32_e32 v182, 0x4300, v149
	v_add_nc_u32_e32 v183, 0x4300, v4
	v_mad_u32_u24 v184, 0x10c0, v1, v149
	v_cmp_gt_u32_e64 s22, 64, v5
	v_mad_u32_u24 v186, 0x430, v9, v0
	v_mad_u32_u24 v187, 0x430, v9, v3
	;; [unrolled: 1-line block ×3, first 2 shown]
	v_add_nc_u32_e32 v189, 0x4700, v10
	v_dual_add_nc_u32 v191, v6, v12 :: v_dual_add_nc_u32 v192, v179, v7
	v_add_nc_u32_e32 v193, v185, v2
	v_lshlrev_b32_e32 v150, 4, v150
	s_mul_u64 s[54:55], s[74:75], s[80:81]
	s_cmp_gt_i32 s84, 0
	s_sub_nc_u64 s[64:65], 0, s[62:63]
	s_cselect_b32 s86, -1, 0
	s_sub_nc_u64 s[68:69], 0, s[54:55]
	s_and_b32 s87, s0, s35
	s_sub_nc_u64 s[70:71], 0, s[48:49]
	s_lshl_b64 s[72:73], s[74:75], 4
	s_mul_u64 s[74:75], s[74:75], 0xd0
	s_lshl_b64 s[38:39], s[38:39], 4
	s_lshl_b64 s[30:31], s[30:31], 4
	;; [unrolled: 1-line block ×3, first 2 shown]
	s_branch .LBB56_4
.LBB56_2:                               ;   in Loop: Header=BB56_4 Depth=1
	s_wait_xcnt 0x0
	s_or_b32 exec_lo, exec_lo, s23
.LBB56_3:                               ;   in Loop: Header=BB56_4 Depth=1
	s_add_co_i32 s34, s34, 0x10000
	s_delay_alu instid0(SALU_CYCLE_1)
	s_cmp_lt_u32 s34, s33
	s_cbranch_scc0 .LBB56_137
.LBB56_4:                               ; =>This Loop Header: Depth=1
                                        ;     Child Loop BB56_113 Depth 2
	s_mov_b32 s35, s45
	s_wait_xcnt 0x0
	s_mul_u64 s[82:83], s[26:27], s[34:35]
	s_delay_alu instid0(SALU_CYCLE_1) | instskip(NEXT) | instid1(SALU_CYCLE_1)
	s_lshl_b64 s[82:83], s[82:83], 4
	s_add_nc_u64 s[82:83], s[24:25], s[82:83]
	global_load_b128 v[0:3], v151, s[82:83]
	s_wait_loadcnt 0x0
	v_cmp_neq_f64_e32 vcc_lo, 0, v[0:1]
	v_cmp_neq_f64_e64 s23, 0, v[2:3]
	s_or_b32 s23, vcc_lo, s23
	s_delay_alu instid0(SALU_CYCLE_1)
	s_and_b32 vcc_lo, exec_lo, s23
	s_mov_b32 s23, -1
	s_cbranch_vccz .LBB56_6
; %bb.5:                                ;   in Loop: Header=BB56_4 Depth=1
	s_and_not1_b32 vcc_lo, exec_lo, s23
	s_cbranch_vccnz .LBB56_3
	s_branch .LBB56_7
.LBB56_6:                               ;   in Loop: Header=BB56_4 Depth=1
	s_wait_xcnt 0x0
	s_mul_u64 s[82:83], s[42:43], s[34:35]
	s_delay_alu instid0(SALU_CYCLE_1) | instskip(NEXT) | instid1(SALU_CYCLE_1)
	s_lshl_b64 s[82:83], s[82:83], 4
	s_add_nc_u64 s[82:83], s[40:41], s[82:83]
	global_load_b128 v[0:3], v151, s[82:83]
	s_wait_loadcnt 0x0
	v_cmp_eq_f64_e32 vcc_lo, 1.0, v[0:1]
	v_cmp_eq_f64_e64 s23, 0, v[2:3]
	s_and_b32 s23, vcc_lo, s23
	s_delay_alu instid0(SALU_CYCLE_1)
	s_and_not1_b32 vcc_lo, exec_lo, s23
	s_cbranch_execnz .LBB56_3
.LBB56_7:                               ;   in Loop: Header=BB56_4 Depth=1
	s_wait_xcnt 0x0
	s_lshl_b64 s[82:83], s[34:35], 3
	s_delay_alu instid0(SALU_CYCLE_1)
	s_add_nc_u64 s[88:89], s[36:37], s[82:83]
	s_add_nc_u64 s[82:83], s[28:29], s[82:83]
	s_clause 0x1
	global_load_b64 v[2:3], v151, s[88:89]
	global_load_b64 v[0:1], v151, s[82:83]
	s_wait_loadcnt 0x1
	v_add_nc_u64_e32 v[2:3], s[38:39], v[2:3]
	s_delay_alu instid0(VALU_DEP_1)
	v_lshl_add_u64 v[36:37], v[154:155], 4, v[2:3]
	s_wait_xcnt 0x0
	s_and_saveexec_b32 s23, s0
	s_cbranch_execz .LBB56_12
; %bb.8:                                ;   in Loop: Header=BB56_4 Depth=1
	s_and_saveexec_b32 s44, s1
	s_delay_alu instid0(SALU_CYCLE_1)
	s_xor_b32 s44, exec_lo, s44
; %bb.9:                                ;   in Loop: Header=BB56_4 Depth=1
	v_dual_mov_b32 v2, v151 :: v_dual_mov_b32 v3, v151
	v_dual_mov_b32 v4, v151 :: v_dual_mov_b32 v5, v151
	ds_store_b128 v168, v[2:5]
; %bb.10:                               ;   in Loop: Header=BB56_4 Depth=1
	s_and_not1_saveexec_b32 s44, s44
	s_cbranch_execz .LBB56_12
; %bb.11:                               ;   in Loop: Header=BB56_4 Depth=1
	flat_load_b128 v[2:5], v[36:37]
	s_wait_loadcnt_dscnt 0x0
	ds_store_2addr_b64 v168, v[2:3], v[4:5] offset1:1
.LBB56_12:                              ;   in Loop: Header=BB56_4 Depth=1
	s_wait_xcnt 0x0
	s_or_b32 exec_lo, exec_lo, s23
	s_wait_loadcnt 0x0
	v_add_nc_u64_e32 v[0:1], s[30:31], v[0:1]
	s_and_not1_b32 vcc_lo, exec_lo, s85
	s_mov_b32 s23, -1
	s_delay_alu instid0(VALU_DEP_1) | instskip(NEXT) | instid1(VALU_DEP_1)
	v_add_nc_u64_e32 v[0:1], s[80:81], v[0:1]
	v_lshl_add_u64 v[0:1], v[156:157], 4, v[0:1]
	s_delay_alu instid0(VALU_DEP_1)
	v_lshl_add_u64 v[4:5], s[54:55], 4, v[0:1]
	s_cbranch_vccnz .LBB56_14
; %bb.13:                               ;   in Loop: Header=BB56_4 Depth=1
	flat_load_b128 v[0:3], v[4:5]
	v_add_nc_u64_e32 v[6:7], s[56:57], v[4:5]
	s_mov_b32 s23, 0
	s_wait_loadcnt_dscnt 0x0
	ds_store_2addr_b64 v169, v[0:1], v[2:3] offset1:1
	flat_load_b128 v[0:3], v[6:7]
	s_wait_xcnt 0x0
	v_add_nc_u64_e32 v[6:7], s[56:57], v[6:7]
	s_wait_loadcnt_dscnt 0x0
	ds_store_2addr_b64 v170, v[0:1], v[2:3] offset1:1
	flat_load_b128 v[0:3], v[6:7]
	s_wait_xcnt 0x0
	v_add_nc_u64_e32 v[6:7], s[56:57], v[6:7]
	s_wait_loadcnt_dscnt 0x0
	ds_store_2addr_b64 v171, v[0:1], v[2:3] offset1:1
	flat_load_b128 v[0:3], v[6:7]
	s_wait_loadcnt_dscnt 0x0
	ds_store_2addr_b64 v172, v[0:1], v[2:3] offset1:1
.LBB56_14:                              ;   in Loop: Header=BB56_4 Depth=1
	s_and_not1_b32 vcc_lo, exec_lo, s23
	s_cbranch_vccnz .LBB56_26
; %bb.15:                               ;   in Loop: Header=BB56_4 Depth=1
	s_wait_xcnt 0x0
	s_and_saveexec_b32 s23, s3
	s_delay_alu instid0(SALU_CYCLE_1)
	s_xor_b32 s23, exec_lo, s23
; %bb.16:                               ;   in Loop: Header=BB56_4 Depth=1
	v_dual_mov_b32 v0, v151 :: v_dual_mov_b32 v1, v151
	v_dual_mov_b32 v2, v151 :: v_dual_mov_b32 v3, v151
	ds_store_b128 v169, v[0:3]
; %bb.17:                               ;   in Loop: Header=BB56_4 Depth=1
	s_or_saveexec_b32 s23, s23
	v_lshl_add_u64 v[0:1], v[158:159], 4, v[4:5]
	s_delay_alu instid0(VALU_DEP_1) | instskip(NEXT) | instid1(VALU_DEP_1)
	v_lshl_add_u64 v[0:1], s[48:49], 4, v[0:1]
	v_add_nc_u64_e32 v[0:1], -16, v[0:1]
	s_delay_alu instid0(VALU_DEP_1)
	v_dual_cndmask_b32 v1, v1, v5, s2 :: v_dual_cndmask_b32 v0, v0, v4, s2
	s_xor_b32 exec_lo, exec_lo, s23
	s_cbranch_execnz .LBB56_119
; %bb.18:                               ;   in Loop: Header=BB56_4 Depth=1
	s_or_b32 exec_lo, exec_lo, s23
	s_and_saveexec_b32 s23, s4
	s_delay_alu instid0(SALU_CYCLE_1)
	s_xor_b32 s23, exec_lo, s23
	s_cbranch_execnz .LBB56_120
.LBB56_19:                              ;   in Loop: Header=BB56_4 Depth=1
	s_and_not1_saveexec_b32 s23, s23
	s_cbranch_execnz .LBB56_121
.LBB56_20:                              ;   in Loop: Header=BB56_4 Depth=1
	s_or_b32 exec_lo, exec_lo, s23
	s_and_saveexec_b32 s23, s5
	s_delay_alu instid0(SALU_CYCLE_1)
	s_xor_b32 s23, exec_lo, s23
	s_cbranch_execnz .LBB56_122
.LBB56_21:                              ;   in Loop: Header=BB56_4 Depth=1
	s_and_not1_saveexec_b32 s23, s23
	s_cbranch_execnz .LBB56_123
.LBB56_22:                              ;   in Loop: Header=BB56_4 Depth=1
	s_or_b32 exec_lo, exec_lo, s23
	s_and_saveexec_b32 s23, s6
	s_delay_alu instid0(SALU_CYCLE_1)
	s_xor_b32 s23, exec_lo, s23
	s_cbranch_execnz .LBB56_124
.LBB56_23:                              ;   in Loop: Header=BB56_4 Depth=1
	s_and_not1_saveexec_b32 s23, s23
	s_cbranch_execz .LBB56_25
.LBB56_24:                              ;   in Loop: Header=BB56_4 Depth=1
	v_add_nc_u64_e32 v[2:3], s[60:61], v[0:1]
	flat_load_b128 v[6:9], v[2:3]
	s_wait_loadcnt_dscnt 0x0
	ds_store_2addr_b64 v172, v[6:7], v[8:9] offset1:1
.LBB56_25:                              ;   in Loop: Header=BB56_4 Depth=1
	s_wait_xcnt 0x0
	s_or_b32 exec_lo, exec_lo, s23
	v_add_nc_u64_e32 v[0:1], v[0:1], v[150:151]
	s_delay_alu instid0(VALU_DEP_1) | instskip(NEXT) | instid1(VALU_DEP_1)
	v_lshl_add_u64 v[0:1], s[70:71], 4, v[0:1]
	v_add_nc_u64_e32 v[0:1], 16, v[0:1]
	s_delay_alu instid0(VALU_DEP_1)
	v_dual_cndmask_b32 v5, v1, v5, s2 :: v_dual_cndmask_b32 v4, v0, v4, s2
.LBB56_26:                              ;   in Loop: Header=BB56_4 Depth=1
	s_mov_b32 s23, 0
	s_wait_dscnt 0x0
	s_barrier_signal -1
	s_barrier_wait -1
	s_wait_xcnt 0x0
	s_and_saveexec_b32 s44, s7
	s_delay_alu instid0(SALU_CYCLE_1)
	s_xor_b32 s44, exec_lo, s44
; %bb.27:                               ;   in Loop: Header=BB56_4 Depth=1
	s_and_b32 s23, s8, exec_lo
; %bb.28:                               ;   in Loop: Header=BB56_4 Depth=1
	s_or_saveexec_b32 s44, s44
	v_mov_b64_e32 v[2:3], 0
	v_mov_b32_e32 v6, v173
	s_xor_b32 exec_lo, exec_lo, s44
	s_cbranch_execz .LBB56_30
; %bb.29:                               ;   in Loop: Header=BB56_4 Depth=1
	ds_load_b128 v[0:3], v190
	v_mov_b32_e32 v6, v174
	s_or_b32 s23, s23, exec_lo
	s_wait_dscnt 0x0
	v_xor_b32_e32 v3, 0x80000000, v3
	ds_store_b64 v174, v[0:1]
.LBB56_30:                              ;   in Loop: Header=BB56_4 Depth=1
	s_or_b32 exec_lo, exec_lo, s44
	s_and_saveexec_b32 s44, s23
; %bb.31:                               ;   in Loop: Header=BB56_4 Depth=1
	ds_store_b64 v6, v[2:3] offset:8
; %bb.32:                               ;   in Loop: Header=BB56_4 Depth=1
	s_or_b32 exec_lo, exec_lo, s44
	s_mov_b32 s23, 0
	s_and_saveexec_b32 s44, s9
	s_delay_alu instid0(SALU_CYCLE_1)
	s_xor_b32 s44, exec_lo, s44
; %bb.33:                               ;   in Loop: Header=BB56_4 Depth=1
	s_and_b32 s23, s10, exec_lo
; %bb.34:                               ;   in Loop: Header=BB56_4 Depth=1
	s_or_saveexec_b32 s44, s44
	v_mov_b64_e32 v[2:3], 0
	v_mov_b32_e32 v6, v173
	s_xor_b32 exec_lo, exec_lo, s44
	s_cbranch_execz .LBB56_36
; %bb.35:                               ;   in Loop: Header=BB56_4 Depth=1
	ds_load_b128 v[0:3], v191
	v_mov_b32_e32 v6, v175
	s_or_b32 s23, s23, exec_lo
	s_wait_dscnt 0x0
	v_xor_b32_e32 v3, 0x80000000, v3
	ds_store_b64 v175, v[0:1]
.LBB56_36:                              ;   in Loop: Header=BB56_4 Depth=1
	s_or_b32 exec_lo, exec_lo, s44
	s_and_saveexec_b32 s44, s23
; %bb.37:                               ;   in Loop: Header=BB56_4 Depth=1
	ds_store_b64 v6, v[2:3] offset:8
; %bb.38:                               ;   in Loop: Header=BB56_4 Depth=1
	s_or_b32 exec_lo, exec_lo, s44
	s_mov_b32 s23, 0
	s_and_saveexec_b32 s44, s11
	s_delay_alu instid0(SALU_CYCLE_1)
	s_xor_b32 s44, exec_lo, s44
; %bb.39:                               ;   in Loop: Header=BB56_4 Depth=1
	s_and_b32 s23, s12, exec_lo
; %bb.40:                               ;   in Loop: Header=BB56_4 Depth=1
	s_or_saveexec_b32 s44, s44
	v_mov_b64_e32 v[2:3], 0
	v_mov_b32_e32 v6, v173
	s_xor_b32 exec_lo, exec_lo, s44
	s_cbranch_execz .LBB56_42
; %bb.41:                               ;   in Loop: Header=BB56_4 Depth=1
	ds_load_b128 v[0:3], v191 offset:528
	v_mov_b32_e32 v6, v176
	s_or_b32 s23, s23, exec_lo
	s_wait_dscnt 0x0
	v_xor_b32_e32 v3, 0x80000000, v3
	ds_store_b64 v176, v[0:1]
.LBB56_42:                              ;   in Loop: Header=BB56_4 Depth=1
	s_or_b32 exec_lo, exec_lo, s44
	s_and_saveexec_b32 s44, s23
; %bb.43:                               ;   in Loop: Header=BB56_4 Depth=1
	ds_store_b64 v6, v[2:3] offset:8
; %bb.44:                               ;   in Loop: Header=BB56_4 Depth=1
	s_or_b32 exec_lo, exec_lo, s44
	s_mov_b32 s23, 0
	s_and_saveexec_b32 s44, s13
	s_delay_alu instid0(SALU_CYCLE_1)
	s_xor_b32 s44, exec_lo, s44
; %bb.45:                               ;   in Loop: Header=BB56_4 Depth=1
	s_and_b32 s23, s14, exec_lo
; %bb.46:                               ;   in Loop: Header=BB56_4 Depth=1
	s_or_saveexec_b32 s44, s44
	v_mov_b64_e32 v[2:3], 0
	v_mov_b32_e32 v6, v173
	s_xor_b32 exec_lo, exec_lo, s44
	s_cbranch_execz .LBB56_48
; %bb.47:                               ;   in Loop: Header=BB56_4 Depth=1
	ds_load_b128 v[0:3], v191 offset:1056
	v_mov_b32_e32 v6, v178
	s_or_b32 s23, s23, exec_lo
	s_wait_dscnt 0x0
	v_xor_b32_e32 v3, 0x80000000, v3
	ds_store_b64 v178, v[0:1]
.LBB56_48:                              ;   in Loop: Header=BB56_4 Depth=1
	s_or_b32 exec_lo, exec_lo, s44
	s_and_saveexec_b32 s44, s23
; %bb.49:                               ;   in Loop: Header=BB56_4 Depth=1
	ds_store_b64 v6, v[2:3] offset:8
; %bb.50:                               ;   in Loop: Header=BB56_4 Depth=1
	s_or_b32 exec_lo, exec_lo, s44
	s_wait_dscnt 0x0
	s_barrier_signal -1
	s_barrier_wait -1
	ds_load_b128 v[0:3], v179
	ds_load_b128 v[6:9], v179 offset:16
	ds_load_b128 v[10:13], v179 offset:32
	;; [unrolled: 1-line block ×3, first 2 shown]
	ds_load_b128 v[18:21], v190
	s_wait_dscnt 0x0
	v_mul_f64_e32 v[22:23], v[2:3], v[20:21]
	v_mul_f64_e32 v[20:21], v[0:1], v[20:21]
	s_delay_alu instid0(VALU_DEP_2) | instskip(NEXT) | instid1(VALU_DEP_2)
	v_fma_f64 v[22:23], v[0:1], v[18:19], -v[22:23]
	v_fmac_f64_e32 v[20:21], v[2:3], v[18:19]
	v_mov_b64_e32 v[0:1], 0
	s_delay_alu instid0(VALU_DEP_3) | instskip(NEXT) | instid1(VALU_DEP_3)
	v_add_f64_e32 v[2:3], 0, v[22:23]
	v_add_f64_e32 v[22:23], 0, v[20:21]
	ds_load_b128 v[18:21], v191
	s_wait_dscnt 0x0
	v_mul_f64_e32 v[24:25], v[8:9], v[20:21]
	s_delay_alu instid0(VALU_DEP_1) | instskip(SKIP_1) | instid1(VALU_DEP_2)
	v_fma_f64 v[24:25], v[6:7], v[18:19], -v[24:25]
	v_mul_f64_e32 v[6:7], v[6:7], v[20:21]
	v_add_f64_e32 v[2:3], v[2:3], v[24:25]
	s_delay_alu instid0(VALU_DEP_2) | instskip(NEXT) | instid1(VALU_DEP_1)
	v_fmac_f64_e32 v[6:7], v[8:9], v[18:19]
	v_add_f64_e32 v[18:19], v[22:23], v[6:7]
	ds_load_b128 v[6:9], v191 offset:528
	s_wait_dscnt 0x0
	v_mul_f64_e32 v[20:21], v[12:13], v[8:9]
	v_mul_f64_e32 v[8:9], v[10:11], v[8:9]
	s_delay_alu instid0(VALU_DEP_2) | instskip(NEXT) | instid1(VALU_DEP_2)
	v_fma_f64 v[20:21], v[10:11], v[6:7], -v[20:21]
	v_fmac_f64_e32 v[8:9], v[12:13], v[6:7]
	s_delay_alu instid0(VALU_DEP_2) | instskip(NEXT) | instid1(VALU_DEP_2)
	v_add_f64_e32 v[2:3], v[2:3], v[20:21]
	v_add_f64_e32 v[10:11], v[18:19], v[8:9]
	ds_load_b128 v[6:9], v191 offset:1056
	s_wait_dscnt 0x0
	s_barrier_signal -1
	s_barrier_wait -1
	v_mul_f64_e32 v[12:13], v[16:17], v[8:9]
	v_mul_f64_e32 v[8:9], v[14:15], v[8:9]
	s_delay_alu instid0(VALU_DEP_2) | instskip(NEXT) | instid1(VALU_DEP_2)
	v_fma_f64 v[12:13], v[14:15], v[6:7], -v[12:13]
	v_fmac_f64_e32 v[8:9], v[16:17], v[6:7]
	s_delay_alu instid0(VALU_DEP_2) | instskip(NEXT) | instid1(VALU_DEP_2)
	v_add_f64_e32 v[6:7], v[2:3], v[12:13]
	v_add_f64_e32 v[8:9], v[10:11], v[8:9]
	v_mov_b64_e32 v[2:3], 0
	ds_store_b128 v180, v[6:9]
	s_wait_dscnt 0x0
	s_barrier_signal -1
	s_barrier_wait -1
	s_and_saveexec_b32 s23, s15
	s_cbranch_execz .LBB56_52
; %bb.51:                               ;   in Loop: Header=BB56_4 Depth=1
	ds_load_b128 v[0:3], v177
	ds_load_b128 v[6:9], v177 offset:16
	s_wait_dscnt 0x0
	v_add_f64_e32 v[10:11], v[6:7], v[0:1]
	v_add_f64_e32 v[12:13], v[8:9], v[2:3]
	ds_load_b128 v[0:3], v177 offset:32
	ds_load_b128 v[6:9], v177 offset:48
	s_wait_dscnt 0x1
	v_add_f64_e32 v[0:1], v[10:11], v[0:1]
	v_add_f64_e32 v[2:3], v[12:13], v[2:3]
	s_wait_dscnt 0x0
	s_delay_alu instid0(VALU_DEP_2) | instskip(NEXT) | instid1(VALU_DEP_2)
	v_add_f64_e32 v[10:11], v[0:1], v[6:7]
	v_add_f64_e32 v[12:13], v[2:3], v[8:9]
	ds_load_b128 v[0:3], v177 offset:64
	ds_load_b128 v[6:9], v177 offset:80
	s_wait_dscnt 0x1
	v_add_f64_e32 v[0:1], v[10:11], v[0:1]
	v_add_f64_e32 v[2:3], v[12:13], v[2:3]
	s_wait_dscnt 0x0
	s_delay_alu instid0(VALU_DEP_2) | instskip(NEXT) | instid1(VALU_DEP_2)
	;; [unrolled: 9-line block ×3, first 2 shown]
	v_add_f64_e32 v[0:1], v[0:1], v[6:7]
	v_add_f64_e32 v[2:3], v[2:3], v[8:9]
.LBB56_52:                              ;   in Loop: Header=BB56_4 Depth=1
	s_or_b32 exec_lo, exec_lo, s23
	v_lshl_add_u64 v[4:5], s[62:63], 4, v[4:5]
	s_and_not1_b32 vcc_lo, exec_lo, s85
	s_mov_b32 s23, -1
	s_barrier_signal -1
	s_delay_alu instid0(VALU_DEP_1)
	v_add_nc_u64_e32 v[8:9], 0x200, v[4:5]
	s_barrier_wait -1
	s_cbranch_vccnz .LBB56_54
; %bb.53:                               ;   in Loop: Header=BB56_4 Depth=1
	flat_load_b128 v[10:13], v[8:9]
	v_add_nc_u64_e32 v[6:7], s[56:57], v[4:5]
	s_mov_b32 s23, 0
	s_wait_loadcnt_dscnt 0x0
	ds_store_2addr_b64 v169, v[10:11], v[12:13] offset1:1
	flat_load_b128 v[10:13], v[6:7] offset:512
	s_wait_xcnt 0x0
	v_add_nc_u64_e32 v[6:7], s[56:57], v[6:7]
	s_wait_loadcnt_dscnt 0x0
	ds_store_2addr_b64 v170, v[10:11], v[12:13] offset1:1
	flat_load_b128 v[10:13], v[6:7] offset:512
	s_wait_xcnt 0x0
	v_add_nc_u64_e32 v[6:7], s[56:57], v[6:7]
	s_wait_loadcnt_dscnt 0x0
	ds_store_2addr_b64 v171, v[10:11], v[12:13] offset1:1
	flat_load_b128 v[10:13], v[6:7] offset:512
	s_wait_loadcnt_dscnt 0x0
	ds_store_2addr_b64 v172, v[10:11], v[12:13] offset1:1
.LBB56_54:                              ;   in Loop: Header=BB56_4 Depth=1
	s_and_not1_b32 vcc_lo, exec_lo, s23
	s_cbranch_vccnz .LBB56_66
; %bb.55:                               ;   in Loop: Header=BB56_4 Depth=1
	s_wait_xcnt 0x0
	s_and_saveexec_b32 s23, s17
	s_delay_alu instid0(SALU_CYCLE_1)
	s_xor_b32 s23, exec_lo, s23
; %bb.56:                               ;   in Loop: Header=BB56_4 Depth=1
	v_dual_mov_b32 v10, v151 :: v_dual_mov_b32 v11, v151
	v_dual_mov_b32 v12, v151 :: v_dual_mov_b32 v13, v151
	ds_store_b128 v169, v[10:13]
; %bb.57:                               ;   in Loop: Header=BB56_4 Depth=1
	s_or_saveexec_b32 s23, s23
	v_lshl_add_u64 v[4:5], v[158:159], 4, v[4:5]
	s_delay_alu instid0(VALU_DEP_1) | instskip(NEXT) | instid1(VALU_DEP_1)
	v_lshl_add_u64 v[4:5], s[48:49], 4, v[4:5]
	v_add_nc_u64_e32 v[4:5], -16, v[4:5]
	s_delay_alu instid0(VALU_DEP_1)
	v_dual_cndmask_b32 v5, v5, v9, s16 :: v_dual_cndmask_b32 v4, v4, v8, s16
	s_xor_b32 exec_lo, exec_lo, s23
	s_cbranch_execnz .LBB56_125
; %bb.58:                               ;   in Loop: Header=BB56_4 Depth=1
	s_or_b32 exec_lo, exec_lo, s23
	s_and_saveexec_b32 s23, s18
	s_delay_alu instid0(SALU_CYCLE_1)
	s_xor_b32 s23, exec_lo, s23
	s_cbranch_execnz .LBB56_126
.LBB56_59:                              ;   in Loop: Header=BB56_4 Depth=1
	s_and_not1_saveexec_b32 s23, s23
	s_cbranch_execnz .LBB56_127
.LBB56_60:                              ;   in Loop: Header=BB56_4 Depth=1
	s_or_b32 exec_lo, exec_lo, s23
	s_and_saveexec_b32 s23, s19
	s_delay_alu instid0(SALU_CYCLE_1)
	s_xor_b32 s23, exec_lo, s23
	s_cbranch_execnz .LBB56_128
.LBB56_61:                              ;   in Loop: Header=BB56_4 Depth=1
	s_and_not1_saveexec_b32 s23, s23
	s_cbranch_execnz .LBB56_129
.LBB56_62:                              ;   in Loop: Header=BB56_4 Depth=1
	s_or_b32 exec_lo, exec_lo, s23
	s_and_saveexec_b32 s23, s20
	s_delay_alu instid0(SALU_CYCLE_1)
	s_xor_b32 s23, exec_lo, s23
	s_cbranch_execnz .LBB56_130
.LBB56_63:                              ;   in Loop: Header=BB56_4 Depth=1
	s_and_not1_saveexec_b32 s23, s23
	s_cbranch_execz .LBB56_65
.LBB56_64:                              ;   in Loop: Header=BB56_4 Depth=1
	v_add_nc_u64_e32 v[6:7], s[60:61], v[4:5]
	flat_load_b128 v[10:13], v[6:7]
	s_wait_loadcnt_dscnt 0x0
	ds_store_2addr_b64 v172, v[10:11], v[12:13] offset1:1
.LBB56_65:                              ;   in Loop: Header=BB56_4 Depth=1
	s_wait_xcnt 0x0
	s_or_b32 exec_lo, exec_lo, s23
	v_add_nc_u64_e32 v[4:5], v[4:5], v[150:151]
	s_delay_alu instid0(VALU_DEP_1) | instskip(NEXT) | instid1(VALU_DEP_1)
	v_lshl_add_u64 v[4:5], s[70:71], 4, v[4:5]
	v_add_nc_u64_e32 v[4:5], 0x210, v[4:5]
	s_delay_alu instid0(VALU_DEP_1)
	v_dual_cndmask_b32 v9, v5, v9, s16 :: v_dual_cndmask_b32 v8, v4, v8, s16
.LBB56_66:                              ;   in Loop: Header=BB56_4 Depth=1
	s_mov_b32 s23, 0
	s_wait_dscnt 0x0
	s_barrier_signal -1
	s_barrier_wait -1
	s_wait_xcnt 0x0
	s_and_saveexec_b32 s44, s7
	s_delay_alu instid0(SALU_CYCLE_1)
	s_xor_b32 s44, exec_lo, s44
; %bb.67:                               ;   in Loop: Header=BB56_4 Depth=1
	s_and_b32 s23, s8, exec_lo
; %bb.68:                               ;   in Loop: Header=BB56_4 Depth=1
	s_or_saveexec_b32 s44, s44
	v_mov_b64_e32 v[6:7], 0
	v_mov_b32_e32 v10, v173
	s_xor_b32 exec_lo, exec_lo, s44
	s_cbranch_execz .LBB56_70
; %bb.69:                               ;   in Loop: Header=BB56_4 Depth=1
	ds_load_b128 v[4:7], v190
	v_mov_b32_e32 v10, v174
	s_or_b32 s23, s23, exec_lo
	s_wait_dscnt 0x0
	v_xor_b32_e32 v7, 0x80000000, v7
	ds_store_b64 v174, v[4:5]
.LBB56_70:                              ;   in Loop: Header=BB56_4 Depth=1
	s_or_b32 exec_lo, exec_lo, s44
	s_and_saveexec_b32 s44, s23
; %bb.71:                               ;   in Loop: Header=BB56_4 Depth=1
	ds_store_b64 v10, v[6:7] offset:8
; %bb.72:                               ;   in Loop: Header=BB56_4 Depth=1
	s_or_b32 exec_lo, exec_lo, s44
	s_mov_b32 s23, 0
	s_and_saveexec_b32 s44, s9
	s_delay_alu instid0(SALU_CYCLE_1)
	s_xor_b32 s44, exec_lo, s44
; %bb.73:                               ;   in Loop: Header=BB56_4 Depth=1
	s_and_b32 s23, s10, exec_lo
; %bb.74:                               ;   in Loop: Header=BB56_4 Depth=1
	s_or_saveexec_b32 s44, s44
	v_mov_b64_e32 v[6:7], 0
	v_mov_b32_e32 v10, v173
	s_xor_b32 exec_lo, exec_lo, s44
	s_cbranch_execz .LBB56_76
; %bb.75:                               ;   in Loop: Header=BB56_4 Depth=1
	ds_load_b128 v[4:7], v191
	v_mov_b32_e32 v10, v175
	s_or_b32 s23, s23, exec_lo
	s_wait_dscnt 0x0
	v_xor_b32_e32 v7, 0x80000000, v7
	ds_store_b64 v175, v[4:5]
.LBB56_76:                              ;   in Loop: Header=BB56_4 Depth=1
	s_or_b32 exec_lo, exec_lo, s44
	s_and_saveexec_b32 s44, s23
; %bb.77:                               ;   in Loop: Header=BB56_4 Depth=1
	ds_store_b64 v10, v[6:7] offset:8
; %bb.78:                               ;   in Loop: Header=BB56_4 Depth=1
	s_or_b32 exec_lo, exec_lo, s44
	s_mov_b32 s23, 0
	s_and_saveexec_b32 s44, s11
	s_delay_alu instid0(SALU_CYCLE_1)
	s_xor_b32 s44, exec_lo, s44
; %bb.79:                               ;   in Loop: Header=BB56_4 Depth=1
	s_and_b32 s23, s12, exec_lo
; %bb.80:                               ;   in Loop: Header=BB56_4 Depth=1
	s_or_saveexec_b32 s44, s44
	v_mov_b64_e32 v[6:7], 0
	v_mov_b32_e32 v10, v173
	s_xor_b32 exec_lo, exec_lo, s44
	s_cbranch_execz .LBB56_82
; %bb.81:                               ;   in Loop: Header=BB56_4 Depth=1
	ds_load_b128 v[4:7], v191 offset:528
	v_mov_b32_e32 v10, v176
	s_or_b32 s23, s23, exec_lo
	s_wait_dscnt 0x0
	v_xor_b32_e32 v7, 0x80000000, v7
	ds_store_b64 v176, v[4:5]
.LBB56_82:                              ;   in Loop: Header=BB56_4 Depth=1
	s_or_b32 exec_lo, exec_lo, s44
	s_and_saveexec_b32 s44, s23
; %bb.83:                               ;   in Loop: Header=BB56_4 Depth=1
	ds_store_b64 v10, v[6:7] offset:8
; %bb.84:                               ;   in Loop: Header=BB56_4 Depth=1
	s_or_b32 exec_lo, exec_lo, s44
	s_mov_b32 s23, 0
	s_and_saveexec_b32 s44, s13
	s_delay_alu instid0(SALU_CYCLE_1)
	s_xor_b32 s44, exec_lo, s44
; %bb.85:                               ;   in Loop: Header=BB56_4 Depth=1
	s_and_b32 s23, s14, exec_lo
; %bb.86:                               ;   in Loop: Header=BB56_4 Depth=1
	s_or_saveexec_b32 s44, s44
	v_mov_b64_e32 v[6:7], 0
	v_mov_b32_e32 v10, v173
	s_xor_b32 exec_lo, exec_lo, s44
	s_cbranch_execz .LBB56_88
; %bb.87:                               ;   in Loop: Header=BB56_4 Depth=1
	ds_load_b128 v[4:7], v191 offset:1056
	v_mov_b32_e32 v10, v178
	s_or_b32 s23, s23, exec_lo
	s_wait_dscnt 0x0
	v_xor_b32_e32 v7, 0x80000000, v7
	ds_store_b64 v178, v[4:5]
.LBB56_88:                              ;   in Loop: Header=BB56_4 Depth=1
	s_or_b32 exec_lo, exec_lo, s44
	s_and_saveexec_b32 s44, s23
; %bb.89:                               ;   in Loop: Header=BB56_4 Depth=1
	ds_store_b64 v10, v[6:7] offset:8
; %bb.90:                               ;   in Loop: Header=BB56_4 Depth=1
	s_or_b32 exec_lo, exec_lo, s44
	s_wait_dscnt 0x0
	s_barrier_signal -1
	s_barrier_wait -1
	ds_load_b128 v[4:7], v179 offset:512
	ds_load_b128 v[10:13], v179 offset:528
	;; [unrolled: 1-line block ×4, first 2 shown]
	ds_load_b128 v[22:25], v190
	s_wait_dscnt 0x0
	v_mul_f64_e32 v[26:27], v[6:7], v[24:25]
	s_delay_alu instid0(VALU_DEP_1) | instskip(SKIP_1) | instid1(VALU_DEP_1)
	v_fma_f64 v[26:27], v[4:5], v[22:23], -v[26:27]
	v_mul_f64_e32 v[4:5], v[4:5], v[24:25]
	v_fmac_f64_e32 v[4:5], v[6:7], v[22:23]
	s_delay_alu instid0(VALU_DEP_3) | instskip(NEXT) | instid1(VALU_DEP_2)
	v_add_f64_e32 v[22:23], 0, v[26:27]
	v_add_f64_e32 v[24:25], 0, v[4:5]
	ds_load_b128 v[4:7], v191
	s_wait_dscnt 0x0
	v_mul_f64_e32 v[26:27], v[12:13], v[6:7]
	v_mul_f64_e32 v[6:7], v[10:11], v[6:7]
	s_delay_alu instid0(VALU_DEP_2) | instskip(NEXT) | instid1(VALU_DEP_2)
	v_fma_f64 v[26:27], v[10:11], v[4:5], -v[26:27]
	v_fmac_f64_e32 v[6:7], v[12:13], v[4:5]
	s_delay_alu instid0(VALU_DEP_2) | instskip(NEXT) | instid1(VALU_DEP_2)
	v_add_f64_e32 v[10:11], v[22:23], v[26:27]
	v_add_f64_e32 v[12:13], v[24:25], v[6:7]
	ds_load_b128 v[4:7], v191 offset:528
	s_wait_dscnt 0x0
	v_mul_f64_e32 v[22:23], v[16:17], v[6:7]
	v_mul_f64_e32 v[6:7], v[14:15], v[6:7]
	s_delay_alu instid0(VALU_DEP_2) | instskip(NEXT) | instid1(VALU_DEP_2)
	v_fma_f64 v[22:23], v[14:15], v[4:5], -v[22:23]
	v_fmac_f64_e32 v[6:7], v[16:17], v[4:5]
	s_delay_alu instid0(VALU_DEP_2) | instskip(NEXT) | instid1(VALU_DEP_2)
	v_add_f64_e32 v[10:11], v[10:11], v[22:23]
	v_add_f64_e32 v[12:13], v[12:13], v[6:7]
	ds_load_b128 v[4:7], v191 offset:1056
	s_wait_dscnt 0x0
	s_barrier_signal -1
	s_barrier_wait -1
	v_mul_f64_e32 v[14:15], v[20:21], v[6:7]
	v_mul_f64_e32 v[6:7], v[18:19], v[6:7]
	s_delay_alu instid0(VALU_DEP_2) | instskip(NEXT) | instid1(VALU_DEP_2)
	v_fma_f64 v[14:15], v[18:19], v[4:5], -v[14:15]
	v_fmac_f64_e32 v[6:7], v[20:21], v[4:5]
	s_delay_alu instid0(VALU_DEP_2) | instskip(NEXT) | instid1(VALU_DEP_2)
	v_add_f64_e32 v[4:5], v[10:11], v[14:15]
	v_add_f64_e32 v[6:7], v[12:13], v[6:7]
	ds_store_b128 v180, v[4:7]
	s_wait_dscnt 0x0
	s_barrier_signal -1
	s_barrier_wait -1
	s_and_saveexec_b32 s23, s21
	s_cbranch_execz .LBB56_92
; %bb.91:                               ;   in Loop: Header=BB56_4 Depth=1
	ds_load_b128 v[0:3], v177
	ds_load_b128 v[4:7], v177 offset:16
	s_wait_dscnt 0x0
	v_add_f64_e32 v[10:11], v[4:5], v[0:1]
	v_add_f64_e32 v[12:13], v[6:7], v[2:3]
	ds_load_b128 v[0:3], v177 offset:32
	ds_load_b128 v[4:7], v177 offset:48
	s_wait_dscnt 0x1
	v_add_f64_e32 v[0:1], v[10:11], v[0:1]
	v_add_f64_e32 v[2:3], v[12:13], v[2:3]
	s_wait_dscnt 0x0
	s_delay_alu instid0(VALU_DEP_2) | instskip(NEXT) | instid1(VALU_DEP_2)
	v_add_f64_e32 v[10:11], v[0:1], v[4:5]
	v_add_f64_e32 v[12:13], v[2:3], v[6:7]
	ds_load_b128 v[0:3], v177 offset:64
	ds_load_b128 v[4:7], v177 offset:80
	s_wait_dscnt 0x1
	v_add_f64_e32 v[0:1], v[10:11], v[0:1]
	v_add_f64_e32 v[2:3], v[12:13], v[2:3]
	s_wait_dscnt 0x0
	s_delay_alu instid0(VALU_DEP_2) | instskip(NEXT) | instid1(VALU_DEP_2)
	;; [unrolled: 9-line block ×3, first 2 shown]
	v_add_f64_e32 v[0:1], v[0:1], v[4:5]
	v_add_f64_e32 v[2:3], v[2:3], v[6:7]
.LBB56_92:                              ;   in Loop: Header=BB56_4 Depth=1
	s_or_b32 exec_lo, exec_lo, s23
	v_lshl_add_u64 v[38:39], s[64:65], 4, v[8:9]
	s_and_not1_b32 vcc_lo, exec_lo, s85
	s_mov_b32 s23, -1
	s_barrier_signal -1
	s_barrier_wait -1
	s_cbranch_vccnz .LBB56_94
; %bb.93:                               ;   in Loop: Header=BB56_4 Depth=1
	flat_load_b128 v[4:7], v[38:39]
	v_add_nc_u64_e32 v[8:9], s[56:57], v[38:39]
	s_mov_b32 s23, 0
	s_wait_loadcnt_dscnt 0x0
	ds_store_2addr_b64 v169, v[4:5], v[6:7] offset1:1
	flat_load_b128 v[4:7], v[8:9]
	s_wait_xcnt 0x0
	v_add_nc_u64_e32 v[8:9], s[56:57], v[8:9]
	s_wait_loadcnt_dscnt 0x0
	ds_store_2addr_b64 v170, v[4:5], v[6:7] offset1:1
	flat_load_b128 v[4:7], v[8:9]
	s_wait_xcnt 0x0
	v_add_nc_u64_e32 v[8:9], s[56:57], v[8:9]
	s_wait_loadcnt_dscnt 0x0
	ds_store_2addr_b64 v171, v[4:5], v[6:7] offset1:1
	flat_load_b128 v[4:7], v[8:9]
	s_wait_loadcnt_dscnt 0x0
	ds_store_2addr_b64 v172, v[4:5], v[6:7] offset1:1
.LBB56_94:                              ;   in Loop: Header=BB56_4 Depth=1
	s_and_not1_b32 vcc_lo, exec_lo, s23
	s_cbranch_vccnz .LBB56_106
; %bb.95:                               ;   in Loop: Header=BB56_4 Depth=1
	s_wait_xcnt 0x0
	s_and_saveexec_b32 s23, s3
	s_delay_alu instid0(SALU_CYCLE_1)
	s_xor_b32 s23, exec_lo, s23
; %bb.96:                               ;   in Loop: Header=BB56_4 Depth=1
	v_dual_mov_b32 v4, v151 :: v_dual_mov_b32 v5, v151
	v_dual_mov_b32 v6, v151 :: v_dual_mov_b32 v7, v151
	ds_store_b128 v169, v[4:7]
; %bb.97:                               ;   in Loop: Header=BB56_4 Depth=1
	s_or_saveexec_b32 s23, s23
	v_lshl_add_u64 v[4:5], v[158:159], 4, v[38:39]
	s_delay_alu instid0(VALU_DEP_1) | instskip(NEXT) | instid1(VALU_DEP_1)
	v_lshl_add_u64 v[4:5], s[48:49], 4, v[4:5]
	v_add_nc_u64_e32 v[4:5], s[76:77], v[4:5]
	s_delay_alu instid0(VALU_DEP_1)
	v_dual_cndmask_b32 v5, v5, v39, s16 :: v_dual_cndmask_b32 v4, v4, v38, s16
	s_xor_b32 exec_lo, exec_lo, s23
	s_cbranch_execnz .LBB56_131
; %bb.98:                               ;   in Loop: Header=BB56_4 Depth=1
	s_or_b32 exec_lo, exec_lo, s23
	s_and_saveexec_b32 s23, s4
	s_delay_alu instid0(SALU_CYCLE_1)
	s_xor_b32 s23, exec_lo, s23
	s_cbranch_execnz .LBB56_132
.LBB56_99:                              ;   in Loop: Header=BB56_4 Depth=1
	s_and_not1_saveexec_b32 s23, s23
	s_cbranch_execnz .LBB56_133
.LBB56_100:                             ;   in Loop: Header=BB56_4 Depth=1
	s_or_b32 exec_lo, exec_lo, s23
	s_and_saveexec_b32 s23, s5
	s_delay_alu instid0(SALU_CYCLE_1)
	s_xor_b32 s23, exec_lo, s23
	s_cbranch_execnz .LBB56_134
.LBB56_101:                             ;   in Loop: Header=BB56_4 Depth=1
	s_and_not1_saveexec_b32 s23, s23
	s_cbranch_execnz .LBB56_135
.LBB56_102:                             ;   in Loop: Header=BB56_4 Depth=1
	s_or_b32 exec_lo, exec_lo, s23
	s_and_saveexec_b32 s23, s6
	s_delay_alu instid0(SALU_CYCLE_1)
	s_xor_b32 s23, exec_lo, s23
	s_cbranch_execnz .LBB56_136
.LBB56_103:                             ;   in Loop: Header=BB56_4 Depth=1
	s_and_not1_saveexec_b32 s23, s23
	s_cbranch_execz .LBB56_105
.LBB56_104:                             ;   in Loop: Header=BB56_4 Depth=1
	v_add_nc_u64_e32 v[6:7], s[60:61], v[4:5]
	flat_load_b128 v[6:9], v[6:7]
	s_wait_loadcnt_dscnt 0x0
	ds_store_2addr_b64 v172, v[6:7], v[8:9] offset1:1
.LBB56_105:                             ;   in Loop: Header=BB56_4 Depth=1
	s_wait_xcnt 0x0
	s_or_b32 exec_lo, exec_lo, s23
	v_add_nc_u64_e32 v[4:5], v[4:5], v[150:151]
	s_delay_alu instid0(VALU_DEP_1) | instskip(NEXT) | instid1(VALU_DEP_1)
	v_lshl_add_u64 v[4:5], s[70:71], 4, v[4:5]
	v_add_nc_u64_e32 v[4:5], 0x210, v[4:5]
	s_delay_alu instid0(VALU_DEP_1)
	v_dual_cndmask_b32 v39, v5, v39, s16 :: v_dual_cndmask_b32 v38, v4, v38, s16
.LBB56_106:                             ;   in Loop: Header=BB56_4 Depth=1
	s_wait_dscnt 0x0
	s_barrier_signal -1
	s_barrier_wait -1
	ds_load_b128 v[4:7], v192
	s_wait_xcnt 0x0
	ds_load_b128 v[8:11], v169
	ds_load_b128 v[12:15], v170
	ds_load_b128 v[16:19], v189 offset:384
	ds_load_b128 v[20:23], v189 offset:128
	;; [unrolled: 1-line block ×3, first 2 shown]
	s_wait_dscnt 0x4
	v_mul_f64_e32 v[28:29], v[6:7], v[10:11]
	v_mul_f64_e32 v[30:31], v[4:5], v[10:11]
	s_wait_dscnt 0x1
	v_mul_f64_e32 v[32:33], v[22:23], v[14:15]
	v_mul_f64_e32 v[14:15], v[20:21], v[14:15]
	s_delay_alu instid0(VALU_DEP_4) | instskip(NEXT) | instid1(VALU_DEP_4)
	v_fma_f64 v[28:29], v[4:5], v[8:9], -v[28:29]
	v_fmac_f64_e32 v[30:31], v[6:7], v[8:9]
	ds_load_b128 v[4:7], v171
	ds_load_b128 v[8:11], v172
	v_fma_f64 v[20:21], v[20:21], v[12:13], -v[32:33]
	v_fmac_f64_e32 v[14:15], v[22:23], v[12:13]
	s_wait_dscnt 0x1
	v_mul_f64_e32 v[34:35], v[26:27], v[6:7]
	v_mul_f64_e32 v[6:7], v[24:25], v[6:7]
	v_add_f64_e32 v[12:13], 0, v[28:29]
	v_add_f64_e32 v[22:23], 0, v[30:31]
	s_wait_dscnt 0x0
	v_mul_f64_e32 v[28:29], v[18:19], v[10:11]
	v_mul_f64_e32 v[10:11], v[16:17], v[10:11]
	v_fma_f64 v[24:25], v[24:25], v[4:5], -v[34:35]
	v_fmac_f64_e32 v[6:7], v[26:27], v[4:5]
	v_add_f64_e32 v[4:5], v[12:13], v[20:21]
	v_add_f64_e32 v[12:13], v[22:23], v[14:15]
	v_fma_f64 v[14:15], v[16:17], v[8:9], -v[28:29]
	v_fmac_f64_e32 v[10:11], v[18:19], v[8:9]
	s_delay_alu instid0(VALU_DEP_4) | instskip(NEXT) | instid1(VALU_DEP_4)
	v_add_f64_e32 v[4:5], v[4:5], v[24:25]
	v_add_f64_e32 v[6:7], v[12:13], v[6:7]
	s_delay_alu instid0(VALU_DEP_2) | instskip(NEXT) | instid1(VALU_DEP_2)
	v_add_f64_e32 v[40:41], v[4:5], v[14:15]
	v_add_f64_e32 v[42:43], v[6:7], v[10:11]
	ds_load_b128 v[28:31], v181
	ds_load_b128 v[20:23], v181 offset:16
	ds_load_b128 v[8:11], v181 offset:32
	;; [unrolled: 1-line block ×7, first 2 shown]
	s_wait_dscnt 0x0
	s_barrier_signal -1
	s_barrier_wait -1
	ds_store_b128 v180, v[40:43]
	s_wait_dscnt 0x0
	s_barrier_signal -1
	s_barrier_wait -1
	s_and_saveexec_b32 s23, s21
	s_cbranch_execz .LBB56_108
; %bb.107:                              ;   in Loop: Header=BB56_4 Depth=1
	ds_load_b128 v[40:43], v177
	ds_load_b128 v[44:47], v177 offset:16
	s_wait_dscnt 0x1
	v_add_f64_e32 v[0:1], v[0:1], v[40:41]
	v_add_f64_e32 v[2:3], v[2:3], v[42:43]
	s_wait_dscnt 0x0
	s_delay_alu instid0(VALU_DEP_2) | instskip(NEXT) | instid1(VALU_DEP_2)
	v_add_f64_e32 v[44:45], v[0:1], v[44:45]
	v_add_f64_e32 v[46:47], v[2:3], v[46:47]
	ds_load_b128 v[0:3], v177 offset:32
	ds_load_b128 v[40:43], v177 offset:48
	s_wait_dscnt 0x1
	v_add_f64_e32 v[0:1], v[44:45], v[0:1]
	v_add_f64_e32 v[2:3], v[46:47], v[2:3]
	s_wait_dscnt 0x0
	s_delay_alu instid0(VALU_DEP_2) | instskip(NEXT) | instid1(VALU_DEP_2)
	v_add_f64_e32 v[44:45], v[0:1], v[40:41]
	v_add_f64_e32 v[46:47], v[2:3], v[42:43]
	ds_load_b128 v[0:3], v177 offset:64
	;; [unrolled: 9-line block ×3, first 2 shown]
	ds_load_b128 v[40:43], v177 offset:112
	s_wait_dscnt 0x1
	v_add_f64_e32 v[0:1], v[44:45], v[0:1]
	v_add_f64_e32 v[2:3], v[46:47], v[2:3]
	s_wait_dscnt 0x0
	s_delay_alu instid0(VALU_DEP_2) | instskip(NEXT) | instid1(VALU_DEP_2)
	v_add_f64_e32 v[0:1], v[0:1], v[40:41]
	v_add_f64_e32 v[2:3], v[2:3], v[42:43]
.LBB56_108:                             ;   in Loop: Header=BB56_4 Depth=1
	s_or_b32 exec_lo, exec_lo, s23
	v_mul_f64_e32 v[40:41], v[30:31], v[34:35]
	v_mul_f64_e32 v[30:31], v[30:31], v[32:33]
	;; [unrolled: 1-line block ×4, first 2 shown]
	s_barrier_signal -1
	s_barrier_wait -1
	s_delay_alu instid0(VALU_DEP_4) | instskip(NEXT) | instid1(VALU_DEP_4)
	v_fmac_f64_e32 v[40:41], v[28:29], v[32:33]
	v_fma_f64 v[28:29], v[28:29], v[34:35], -v[30:31]
	v_mul_f64_e32 v[30:31], v[10:11], v[18:19]
	v_mul_f64_e32 v[10:11], v[10:11], v[16:17]
	v_fmac_f64_e32 v[42:43], v[20:21], v[24:25]
	v_fma_f64 v[20:21], v[20:21], v[26:27], -v[22:23]
	v_mul_f64_e32 v[26:27], v[6:7], v[14:15]
	v_mul_f64_e32 v[6:7], v[6:7], v[12:13]
	v_add_f64_e32 v[22:23], 0, v[40:41]
	v_add_f64_e32 v[24:25], 0, v[28:29]
	v_fmac_f64_e32 v[30:31], v[8:9], v[16:17]
	v_fma_f64 v[8:9], v[8:9], v[18:19], -v[10:11]
	v_fmac_f64_e32 v[26:27], v[4:5], v[12:13]
	v_fma_f64 v[6:7], v[4:5], v[14:15], -v[6:7]
	v_add_f64_e32 v[10:11], v[22:23], v[42:43]
	v_add_f64_e32 v[16:17], v[24:25], v[20:21]
	s_delay_alu instid0(VALU_DEP_2) | instskip(NEXT) | instid1(VALU_DEP_2)
	v_add_f64_e32 v[4:5], v[10:11], v[30:31]
	v_add_f64_e32 v[8:9], v[16:17], v[8:9]
	s_delay_alu instid0(VALU_DEP_2) | instskip(NEXT) | instid1(VALU_DEP_2)
	v_add_f64_e32 v[4:5], v[4:5], v[26:27]
	v_add_f64_e32 v[6:7], v[8:9], v[6:7]
	ds_store_b128 v180, v[4:7]
	s_wait_dscnt 0x0
	s_barrier_signal -1
	s_barrier_wait -1
	s_and_saveexec_b32 s23, s15
	s_cbranch_execz .LBB56_110
; %bb.109:                              ;   in Loop: Header=BB56_4 Depth=1
	ds_load_b128 v[4:7], v177
	ds_load_b128 v[8:11], v177 offset:16
	s_wait_dscnt 0x1
	v_add_f64_e32 v[0:1], v[0:1], v[4:5]
	v_add_f64_e32 v[2:3], v[2:3], v[6:7]
	s_wait_dscnt 0x0
	s_delay_alu instid0(VALU_DEP_2) | instskip(NEXT) | instid1(VALU_DEP_2)
	v_add_f64_e32 v[8:9], v[0:1], v[8:9]
	v_add_f64_e32 v[10:11], v[2:3], v[10:11]
	ds_load_b128 v[0:3], v177 offset:32
	ds_load_b128 v[4:7], v177 offset:48
	s_wait_dscnt 0x1
	v_add_f64_e32 v[0:1], v[8:9], v[0:1]
	v_add_f64_e32 v[2:3], v[10:11], v[2:3]
	s_wait_dscnt 0x0
	s_delay_alu instid0(VALU_DEP_2) | instskip(NEXT) | instid1(VALU_DEP_2)
	v_add_f64_e32 v[8:9], v[0:1], v[4:5]
	v_add_f64_e32 v[10:11], v[2:3], v[6:7]
	ds_load_b128 v[0:3], v177 offset:64
	;; [unrolled: 9-line block ×3, first 2 shown]
	ds_load_b128 v[4:7], v177 offset:112
	s_wait_dscnt 0x1
	v_add_f64_e32 v[0:1], v[8:9], v[0:1]
	v_add_f64_e32 v[2:3], v[10:11], v[2:3]
	s_wait_dscnt 0x0
	s_delay_alu instid0(VALU_DEP_2) | instskip(NEXT) | instid1(VALU_DEP_2)
	v_add_f64_e32 v[0:1], v[0:1], v[4:5]
	v_add_f64_e32 v[2:3], v[2:3], v[6:7]
.LBB56_110:                             ;   in Loop: Header=BB56_4 Depth=1
	s_or_b32 exec_lo, exec_lo, s23
	s_mul_u64 s[82:83], s[50:51], s[34:35]
	s_and_not1_b32 vcc_lo, exec_lo, s86
	s_lshl_b64 s[82:83], s[82:83], 4
	s_delay_alu instid0(SALU_CYCLE_1)
	s_add_nc_u64 s[82:83], s[52:53], s[82:83]
	s_barrier_signal -1
	s_barrier_wait -1
	s_cbranch_vccnz .LBB56_117
; %bb.111:                              ;   in Loop: Header=BB56_4 Depth=1
	v_lshl_add_u64 v[4:5], s[68:69], 4, v[38:39]
	v_dual_mov_b32 v7, v151 :: v_dual_lshlrev_b32 v6, 4, v148
	v_lshl_add_u64 v[164:165], s[66:67], 4, v[36:37]
	s_mov_b32 s44, 0
	s_delay_alu instid0(VALU_DEP_3) | instskip(SKIP_1) | instid1(VALU_DEP_1)
	v_lshl_add_u64 v[4:5], v[160:161], 4, v[4:5]
	s_mov_b32 s23, s84
	v_lshl_add_u64 v[4:5], v[162:163], 4, v[4:5]
	s_delay_alu instid0(VALU_DEP_1) | instskip(SKIP_1) | instid1(VALU_DEP_1)
	v_add_nc_u64_e32 v[6:7], v[4:5], v[6:7]
	v_lshl_add_u64 v[4:5], s[48:49], 4, v[4:5]
	v_add_nc_u64_e32 v[4:5], s[76:77], v[4:5]
	s_delay_alu instid0(VALU_DEP_3) | instskip(NEXT) | instid1(VALU_DEP_1)
	v_add_nc_u64_e32 v[6:7], s[78:79], v[6:7]
	v_dual_cndmask_b32 v5, v7, v5, s1 :: v_dual_cndmask_b32 v4, v6, v4, s1
	s_branch .LBB56_113
.LBB56_112:                             ;   in Loop: Header=BB56_113 Depth=2
	s_wait_xcnt 0x0
	s_or_b32 exec_lo, exec_lo, s35
	v_mul_f64_e32 v[84:85], v[18:19], v[38:39]
	v_mul_f64_e32 v[38:39], v[16:17], v[38:39]
	v_mul_f64_e32 v[86:87], v[14:15], v[50:51]
	v_mul_f64_e32 v[50:51], v[12:13], v[50:51]
	s_add_co_i32 s23, s23, -1
	s_add_co_i32 s44, s44, 64
	s_cmp_eq_u32 s23, 0
	s_wait_storecnt 0x0
	s_barrier_signal -1
	s_barrier_wait -1
	s_delay_alu instid0(VALU_DEP_4) | instskip(NEXT) | instid1(VALU_DEP_4)
	v_fma_f64 v[16:17], v[16:17], v[36:37], -v[84:85]
	v_fmac_f64_e32 v[38:39], v[18:19], v[36:37]
	v_mul_f64_e32 v[18:19], v[10:11], v[46:47]
	v_mul_f64_e32 v[36:37], v[8:9], v[46:47]
	v_fma_f64 v[12:13], v[12:13], v[48:49], -v[86:87]
	v_fmac_f64_e32 v[50:51], v[14:15], v[48:49]
	v_mul_f64_e32 v[14:15], v[6:7], v[30:31]
	v_add_f64_e32 v[0:1], v[0:1], v[16:17]
	v_add_f64_e32 v[2:3], v[2:3], v[38:39]
	v_mul_f64_e32 v[16:17], v[4:5], v[30:31]
	v_fma_f64 v[8:9], v[8:9], v[44:45], -v[18:19]
	v_fmac_f64_e32 v[36:37], v[10:11], v[44:45]
	v_mul_f64_e32 v[10:11], v[42:43], v[74:75]
	v_fma_f64 v[4:5], v[4:5], v[28:29], -v[14:15]
	v_mul_f64_e32 v[14:15], v[24:25], v[78:79]
	v_add_f64_e32 v[0:1], v[0:1], v[12:13]
	v_add_f64_e32 v[2:3], v[2:3], v[50:51]
	v_mul_f64_e32 v[12:13], v[40:41], v[74:75]
	v_fmac_f64_e32 v[16:17], v[6:7], v[28:29]
	v_mul_f64_e32 v[6:7], v[34:35], v[82:83]
	v_fma_f64 v[10:11], v[40:41], v[72:73], -v[10:11]
	v_fmac_f64_e32 v[14:15], v[26:27], v[76:77]
	v_add_f64_e32 v[0:1], v[0:1], v[8:9]
	v_add_f64_e32 v[2:3], v[2:3], v[36:37]
	v_mul_f64_e32 v[8:9], v[32:33], v[82:83]
	v_fmac_f64_e32 v[12:13], v[42:43], v[72:73]
	v_fma_f64 v[6:7], v[32:33], v[80:81], -v[6:7]
	v_add_f64_e32 v[0:1], v[0:1], v[4:5]
	v_add_f64_e32 v[2:3], v[2:3], v[16:17]
	v_mul_f64_e32 v[4:5], v[26:27], v[78:79]
	v_fmac_f64_e32 v[8:9], v[34:35], v[80:81]
	s_delay_alu instid0(VALU_DEP_4) | instskip(NEXT) | instid1(VALU_DEP_4)
	v_add_f64_e32 v[0:1], v[0:1], v[10:11]
	v_add_f64_e32 v[2:3], v[2:3], v[12:13]
	v_mul_f64_e32 v[10:11], v[22:23], v[70:71]
	v_mul_f64_e32 v[12:13], v[20:21], v[70:71]
	v_fma_f64 v[4:5], v[24:25], v[76:77], -v[4:5]
	v_add_f64_e32 v[0:1], v[0:1], v[6:7]
	v_add_f64_e32 v[2:3], v[2:3], v[8:9]
	v_mul_f64_e32 v[6:7], v[66:67], v[122:123]
	v_mul_f64_e32 v[8:9], v[64:65], v[122:123]
	v_fma_f64 v[10:11], v[20:21], v[68:69], -v[10:11]
	v_fmac_f64_e32 v[12:13], v[22:23], v[68:69]
	v_add_f64_e32 v[0:1], v[0:1], v[4:5]
	v_add_f64_e32 v[2:3], v[2:3], v[14:15]
	v_mul_f64_e32 v[4:5], v[62:63], v[130:131]
	v_mul_f64_e32 v[14:15], v[60:61], v[130:131]
	v_fma_f64 v[6:7], v[64:65], v[120:121], -v[6:7]
	v_fmac_f64_e32 v[8:9], v[66:67], v[120:121]
	;; [unrolled: 6-line block ×8, first 2 shown]
	v_add_f64_e32 v[0:1], v[0:1], v[10:11]
	v_add_f64_e32 v[2:3], v[2:3], v[12:13]
	v_fma_f64 v[4:5], v[96:97], v[136:137], -v[4:5]
	v_fmac_f64_e32 v[14:15], v[98:99], v[136:137]
	s_delay_alu instid0(VALU_DEP_4) | instskip(NEXT) | instid1(VALU_DEP_4)
	v_add_f64_e32 v[0:1], v[0:1], v[6:7]
	v_add_f64_e32 v[2:3], v[2:3], v[8:9]
	s_delay_alu instid0(VALU_DEP_2) | instskip(NEXT) | instid1(VALU_DEP_2)
	v_add_f64_e32 v[0:1], v[0:1], v[4:5]
	v_add_f64_e32 v[2:3], v[2:3], v[14:15]
	v_add_nc_u64_e32 v[4:5], s[74:75], v[166:167]
	s_cbranch_scc1 .LBB56_117
.LBB56_113:                             ;   Parent Loop BB56_4 Depth=1
                                        ; =>  This Inner Loop Header: Depth=2
	s_and_saveexec_b32 s35, s0
	s_cbranch_execz .LBB56_115
; %bb.114:                              ;   in Loop: Header=BB56_113 Depth=2
	s_mul_u64 s[88:89], s[46:47], s[44:45]
	s_delay_alu instid0(SALU_CYCLE_1)
	v_lshl_add_u64 v[6:7], s[88:89], 4, v[164:165]
	flat_load_b128 v[6:9], v[6:7]
	s_wait_loadcnt_dscnt 0x0
	ds_store_2addr_b64 v182, v[6:7], v[8:9] offset1:1
.LBB56_115:                             ;   in Loop: Header=BB56_113 Depth=2
	s_wait_xcnt 0x0
	s_or_b32 exec_lo, exec_lo, s35
	s_delay_alu instid0(VALU_DEP_1) | instskip(SKIP_3) | instid1(VALU_DEP_1)
	v_add_nc_u64_e32 v[6:7], s[72:73], v[4:5]
	s_wait_dscnt 0x0
	s_barrier_signal -1
	s_barrier_wait -1
	v_add_nc_u64_e32 v[8:9], s[72:73], v[6:7]
	s_delay_alu instid0(VALU_DEP_1)
	v_add_nc_u64_e32 v[28:29], s[72:73], v[8:9]
	s_clause 0x3
	flat_load_b128 v[16:19], v[4:5]
	flat_load_b128 v[12:15], v[6:7]
	;; [unrolled: 1-line block ×4, first 2 shown]
	ds_load_b128 v[20:23], v168
	ds_load_b128 v[36:39], v183
	s_wait_loadcnt_dscnt 0x301
	v_mul_f64_e32 v[24:25], v[18:19], v[22:23]
	v_mul_f64_e32 v[26:27], v[18:19], v[20:21]
	s_wait_loadcnt 0x2
	v_mul_f64_e32 v[32:33], v[14:15], v[22:23]
	v_mul_f64_e32 v[30:31], v[14:15], v[20:21]
	s_wait_loadcnt 0x1
	;; [unrolled: 3-line block ×3, first 2 shown]
	v_mul_f64_e32 v[52:53], v[6:7], v[22:23]
	v_mul_f64_e32 v[44:45], v[6:7], v[20:21]
	v_fmac_f64_e32 v[24:25], v[16:17], v[20:21]
	v_fma_f64 v[26:27], v[16:17], v[22:23], -v[26:27]
	v_fmac_f64_e32 v[32:33], v[12:13], v[20:21]
	v_fma_f64 v[34:35], v[12:13], v[22:23], -v[30:31]
	;; [unrolled: 2-line block ×4, first 2 shown]
	v_add_nc_u64_e32 v[20:21], s[74:75], v[28:29]
	ds_load_b128 v[48:51], v183 offset:16
	ds_load_b128 v[44:47], v183 offset:32
	s_wait_xcnt 0x0
	ds_load_b128 v[28:31], v183 offset:48
	ds_store_b128 v184, v[24:27]
	ds_store_b128 v184, v[32:35] offset:1072
	ds_store_b128 v184, v[40:43] offset:2144
	;; [unrolled: 1-line block ×3, first 2 shown]
	v_add_nc_u64_e32 v[22:23], s[72:73], v[20:21]
	s_wait_dscnt 0x0
	s_barrier_signal -1
	s_barrier_wait -1
	ds_load_b128 v[116:119], v185
	ds_load_b128 v[104:107], v185 offset:16
	ds_load_b128 v[92:95], v185 offset:32
	ds_load_b128 v[84:87], v185 offset:48
	s_wait_dscnt 0x0
	v_add_nc_u64_e32 v[56:57], s[72:73], v[22:23]
	s_barrier_signal -1
	s_barrier_wait -1
	s_delay_alu instid0(VALU_DEP_1)
	v_add_nc_u64_e32 v[68:69], s[72:73], v[56:57]
	s_clause 0x3
	flat_load_b128 v[40:43], v[20:21]
	flat_load_b128 v[32:35], v[22:23]
	;; [unrolled: 1-line block ×4, first 2 shown]
	ds_load_b128 v[52:55], v168
	ds_load_b128 v[72:75], v183 offset:256
	s_wait_loadcnt_dscnt 0x301
	v_mul_f64_e32 v[58:59], v[42:43], v[52:53]
	s_wait_xcnt 0x1
	v_mul_f64_e32 v[56:57], v[42:43], v[54:55]
	s_wait_loadcnt 0x2
	v_mul_f64_e32 v[62:63], v[34:35], v[52:53]
	v_mul_f64_e32 v[60:61], v[34:35], v[54:55]
	s_wait_loadcnt 0x1
	v_mul_f64_e32 v[66:67], v[26:27], v[52:53]
	;; [unrolled: 3-line block ×3, first 2 shown]
	v_mul_f64_e32 v[88:89], v[22:23], v[54:55]
	v_fma_f64 v[58:59], v[40:41], v[54:55], -v[58:59]
	v_fmac_f64_e32 v[56:57], v[40:41], v[52:53]
	v_fma_f64 v[62:63], v[32:33], v[54:55], -v[62:63]
	v_fmac_f64_e32 v[60:61], v[32:33], v[52:53]
	;; [unrolled: 2-line block ×4, first 2 shown]
	v_add_nc_u64_e32 v[52:53], s[74:75], v[68:69]
	ds_load_b128 v[80:83], v183 offset:272
	ds_load_b128 v[76:79], v183 offset:288
	s_wait_xcnt 0x0
	ds_load_b128 v[68:71], v183 offset:304
	ds_store_b128 v184, v[56:59]
	ds_store_b128 v184, v[60:63] offset:1072
	ds_store_b128 v184, v[64:67] offset:2144
	ds_store_b128 v184, v[88:91] offset:3216
	v_add_nc_u64_e32 v[54:55], s[72:73], v[52:53]
	s_wait_dscnt 0x0
	s_barrier_signal -1
	s_barrier_wait -1
	ds_load_b128 v[194:197], v185
	ds_load_b128 v[198:201], v185 offset:16
	ds_load_b128 v[202:205], v185 offset:32
	;; [unrolled: 1-line block ×3, first 2 shown]
	s_wait_dscnt 0x0
	v_add_nc_u64_e32 v[96:97], s[72:73], v[54:55]
	s_barrier_signal -1
	s_barrier_wait -1
	s_delay_alu instid0(VALU_DEP_1)
	v_add_nc_u64_e32 v[112:113], s[72:73], v[96:97]
	s_clause 0x2
	flat_load_b128 v[64:67], v[52:53]
	flat_load_b128 v[60:63], v[54:55]
	;; [unrolled: 1-line block ×4, first 2 shown]
	ds_load_b128 v[88:91], v168
	ds_load_b128 v[120:123], v183 offset:512
	v_add_f64_e32 v[194:195], 0, v[194:195]
	v_add_f64_e32 v[196:197], 0, v[196:197]
	s_delay_alu instid0(VALU_DEP_2) | instskip(NEXT) | instid1(VALU_DEP_2)
	v_add_f64_e32 v[194:195], v[194:195], v[198:199]
	v_add_f64_e32 v[196:197], v[196:197], v[200:201]
	s_delay_alu instid0(VALU_DEP_2) | instskip(NEXT) | instid1(VALU_DEP_2)
	v_add_f64_e32 v[194:195], v[194:195], v[202:203]
	v_add_f64_e32 v[196:197], v[196:197], v[204:205]
	s_wait_loadcnt_dscnt 0x301
	v_mul_f64_e32 v[98:99], v[66:67], v[88:89]
	s_wait_xcnt 0x1
	v_mul_f64_e32 v[96:97], v[66:67], v[90:91]
	s_wait_loadcnt 0x2
	v_mul_f64_e32 v[102:103], v[62:63], v[88:89]
	v_mul_f64_e32 v[100:101], v[62:63], v[90:91]
	s_wait_loadcnt 0x1
	v_mul_f64_e32 v[110:111], v[58:59], v[88:89]
	v_mul_f64_e32 v[108:109], v[58:59], v[90:91]
	s_wait_loadcnt 0x0
	v_mul_f64_e32 v[114:115], v[54:55], v[88:89]
	v_mul_f64_e32 v[132:133], v[54:55], v[90:91]
	v_fma_f64 v[98:99], v[64:65], v[90:91], -v[98:99]
	v_fmac_f64_e32 v[96:97], v[64:65], v[88:89]
	v_fma_f64 v[102:103], v[60:61], v[90:91], -v[102:103]
	v_fmac_f64_e32 v[100:101], v[60:61], v[88:89]
	;; [unrolled: 2-line block ×4, first 2 shown]
	v_add_nc_u64_e32 v[88:89], s[74:75], v[112:113]
	ds_load_b128 v[128:131], v183 offset:528
	ds_load_b128 v[124:127], v183 offset:544
	s_wait_xcnt 0x0
	ds_load_b128 v[112:115], v183 offset:560
	ds_store_b128 v184, v[96:99]
	ds_store_b128 v184, v[100:103] offset:1072
	ds_store_b128 v184, v[108:111] offset:2144
	;; [unrolled: 1-line block ×3, first 2 shown]
	v_add_nc_u64_e32 v[90:91], s[72:73], v[88:89]
	s_wait_dscnt 0x0
	s_barrier_signal -1
	s_barrier_wait -1
	ds_load_b128 v[210:213], v185
	ds_load_b128 v[214:217], v185 offset:16
	ds_load_b128 v[218:221], v185 offset:32
	;; [unrolled: 1-line block ×3, first 2 shown]
	s_wait_dscnt 0x0
	v_add_nc_u64_e32 v[136:137], s[72:73], v[90:91]
	s_barrier_signal -1
	s_barrier_wait -1
	s_delay_alu instid0(VALU_DEP_1)
	v_add_nc_u64_e32 v[166:167], s[72:73], v[136:137]
	flat_load_b128 v[108:111], v[88:89]
	flat_load_b128 v[100:103], v[90:91]
	;; [unrolled: 1-line block ×4, first 2 shown]
	s_wait_xcnt 0x1
	ds_load_b128 v[136:139], v168
	ds_load_b128 v[132:135], v183 offset:768
	v_add_f64_e32 v[210:211], 0, v[210:211]
	v_add_f64_e32 v[212:213], 0, v[212:213]
	s_delay_alu instid0(VALU_DEP_2) | instskip(NEXT) | instid1(VALU_DEP_2)
	v_add_f64_e32 v[198:199], v[210:211], v[214:215]
	v_add_f64_e32 v[200:201], v[212:213], v[216:217]
	s_delay_alu instid0(VALU_DEP_2) | instskip(NEXT) | instid1(VALU_DEP_2)
	v_add_f64_e32 v[198:199], v[198:199], v[218:219]
	v_add_f64_e32 v[200:201], v[200:201], v[220:221]
	s_wait_loadcnt_dscnt 0x301
	v_mul_f64_e32 v[140:141], v[110:111], v[136:137]
	v_mul_f64_e32 v[226:227], v[110:111], v[138:139]
	s_wait_loadcnt 0x2
	v_mul_f64_e32 v[142:143], v[102:103], v[136:137]
	v_mul_f64_e32 v[230:231], v[102:103], v[138:139]
	s_wait_loadcnt 0x1
	;; [unrolled: 3-line block ×3, first 2 shown]
	v_mul_f64_e32 v[146:147], v[98:99], v[136:137]
	v_mul_f64_e32 v[238:239], v[98:99], v[138:139]
	v_fma_f64 v[228:229], v[108:109], v[138:139], -v[140:141]
	v_fmac_f64_e32 v[226:227], v[108:109], v[136:137]
	v_fma_f64 v[232:233], v[100:101], v[138:139], -v[142:143]
	v_fmac_f64_e32 v[230:231], v[100:101], v[136:137]
	;; [unrolled: 2-line block ×4, first 2 shown]
	ds_load_b128 v[144:147], v183 offset:784
	ds_load_b128 v[140:143], v183 offset:800
	;; [unrolled: 1-line block ×3, first 2 shown]
	ds_store_b128 v184, v[226:229]
	ds_store_b128 v184, v[230:233] offset:1072
	ds_store_b128 v184, v[234:237] offset:2144
	;; [unrolled: 1-line block ×3, first 2 shown]
	s_wait_dscnt 0x0
	s_barrier_signal -1
	s_barrier_wait -1
	ds_load_b128 v[226:229], v185
	v_add_f64_e32 v[230:231], 0, v[116:117]
	v_add_f64_e32 v[232:233], 0, v[118:119]
	ds_load_b128 v[116:119], v185 offset:16
	s_wait_dscnt 0x1
	v_add_f64_e32 v[226:227], 0, v[226:227]
	v_add_f64_e32 v[228:229], 0, v[228:229]
	;; [unrolled: 1-line block ×4, first 2 shown]
	ds_load_b128 v[104:107], v185 offset:32
	s_wait_dscnt 0x1
	v_add_f64_e32 v[116:117], v[226:227], v[116:117]
	v_add_f64_e32 v[118:119], v[228:229], v[118:119]
	;; [unrolled: 1-line block ×4, first 2 shown]
	ds_load_b128 v[92:95], v185 offset:48
	s_wait_dscnt 0x0
	s_barrier_signal -1
	s_barrier_wait -1
	v_add_f64_e32 v[202:203], v[116:117], v[104:105]
	v_add_f64_e32 v[204:205], v[118:119], v[106:107]
	;; [unrolled: 1-line block ×10, first 2 shown]
	ds_store_b128 v193, v[84:87]
	ds_store_b128 v193, v[104:107] offset:256
	ds_store_b128 v193, v[116:119] offset:512
	;; [unrolled: 1-line block ×3, first 2 shown]
	s_wait_dscnt 0x0
	s_barrier_signal -1
	s_barrier_wait -1
	s_wait_xcnt 0x0
	s_and_saveexec_b32 s35, s22
	s_cbranch_execz .LBB56_112
; %bb.116:                              ;   in Loop: Header=BB56_113 Depth=2
	ds_load_b128 v[84:87], v186
	ds_load_b128 v[92:95], v186 offset:16
	s_wait_dscnt 0x0
	v_add_f64_e32 v[104:105], v[92:93], v[84:85]
	v_add_f64_e32 v[106:107], v[94:95], v[86:87]
	ds_load_b128 v[84:87], v186 offset:32
	ds_load_b128 v[92:95], v186 offset:48
	s_wait_dscnt 0x1
	v_add_f64_e32 v[84:85], v[104:105], v[84:85]
	v_add_f64_e32 v[86:87], v[106:107], v[86:87]
	s_wait_dscnt 0x0
	s_delay_alu instid0(VALU_DEP_2) | instskip(NEXT) | instid1(VALU_DEP_2)
	v_add_f64_e32 v[104:105], v[84:85], v[92:93]
	v_add_f64_e32 v[106:107], v[86:87], v[94:95]
	ds_load_b128 v[84:87], v186 offset:64
	ds_load_b128 v[92:95], v186 offset:80
	s_wait_dscnt 0x1
	v_add_f64_e32 v[84:85], v[104:105], v[84:85]
	v_add_f64_e32 v[86:87], v[106:107], v[86:87]
	s_wait_dscnt 0x0
	s_delay_alu instid0(VALU_DEP_2) | instskip(NEXT) | instid1(VALU_DEP_2)
	;; [unrolled: 9-line block ×6, first 2 shown]
	v_add_f64_e32 v[104:105], v[84:85], v[92:93]
	v_add_f64_e32 v[106:107], v[86:87], v[94:95]
	ds_load_b128 v[84:87], v186 offset:224
	ds_load_b128 v[92:95], v187
	s_wait_dscnt 0x1
	v_add_f64_e32 v[84:85], v[104:105], v[84:85]
	v_add_f64_e32 v[86:87], v[106:107], v[86:87]
	s_wait_dscnt 0x0
	s_delay_alu instid0(VALU_DEP_2) | instskip(NEXT) | instid1(VALU_DEP_2)
	v_add_f64_e32 v[84:85], v[84:85], v[92:93]
	v_dual_add_f64 v[86:87], v[86:87], v[94:95] :: v_dual_add_nc_u32 v92, s44, v148
	global_store_b128 v92, v[84:87], s[82:83] scale_offset
	s_branch .LBB56_112
.LBB56_117:                             ;   in Loop: Header=BB56_4 Depth=1
	ds_store_b128 v188, v[0:3]
	s_wait_dscnt 0x0
	s_barrier_signal -1
	s_barrier_wait -1
	s_and_saveexec_b32 s23, s87
	s_cbranch_execz .LBB56_2
; %bb.118:                              ;   in Loop: Header=BB56_4 Depth=1
	ds_load_b128 v[0:3], v149 offset:1072
	ds_load_b128 v[4:7], v149
	s_wait_dscnt 0x0
	v_add_f64_e32 v[8:9], v[0:1], v[4:5]
	v_add_f64_e32 v[10:11], v[2:3], v[6:7]
	ds_load_b128 v[0:3], v149 offset:2144
	ds_load_b128 v[4:7], v149 offset:3216
	s_wait_dscnt 0x1
	v_add_f64_e32 v[0:1], v[8:9], v[0:1]
	v_add_f64_e32 v[2:3], v[10:11], v[2:3]
	s_wait_dscnt 0x0
	s_delay_alu instid0(VALU_DEP_2) | instskip(NEXT) | instid1(VALU_DEP_2)
	v_add_f64_e32 v[0:1], v[0:1], v[4:5]
	v_add_f64_e32 v[2:3], v[2:3], v[6:7]
	v_lshl_add_u64 v[4:5], v[152:153], 4, s[82:83]
	global_store_b128 v[4:5], v[0:3], off
	s_branch .LBB56_2
.LBB56_119:                             ;   in Loop: Header=BB56_4 Depth=1
	flat_load_b128 v[6:9], v[0:1]
	s_wait_loadcnt_dscnt 0x0
	ds_store_2addr_b64 v169, v[6:7], v[8:9] offset1:1
	s_wait_xcnt 0x0
	s_or_b32 exec_lo, exec_lo, s23
	s_and_saveexec_b32 s23, s4
	s_delay_alu instid0(SALU_CYCLE_1)
	s_xor_b32 s23, exec_lo, s23
	s_cbranch_execz .LBB56_19
.LBB56_120:                             ;   in Loop: Header=BB56_4 Depth=1
	v_dual_mov_b32 v6, v151 :: v_dual_mov_b32 v7, v151
	v_dual_mov_b32 v8, v151 :: v_dual_mov_b32 v9, v151
	ds_store_b128 v170, v[6:9]
	s_and_not1_saveexec_b32 s23, s23
	s_cbranch_execz .LBB56_20
.LBB56_121:                             ;   in Loop: Header=BB56_4 Depth=1
	v_add_nc_u64_e32 v[2:3], s[56:57], v[0:1]
	flat_load_b128 v[6:9], v[2:3]
	s_wait_loadcnt_dscnt 0x0
	ds_store_2addr_b64 v170, v[6:7], v[8:9] offset1:1
	s_wait_xcnt 0x0
	s_or_b32 exec_lo, exec_lo, s23
	s_and_saveexec_b32 s23, s5
	s_delay_alu instid0(SALU_CYCLE_1)
	s_xor_b32 s23, exec_lo, s23
	s_cbranch_execz .LBB56_21
.LBB56_122:                             ;   in Loop: Header=BB56_4 Depth=1
	v_dual_mov_b32 v6, v151 :: v_dual_mov_b32 v7, v151
	v_dual_mov_b32 v8, v151 :: v_dual_mov_b32 v9, v151
	ds_store_b128 v171, v[6:9]
	s_and_not1_saveexec_b32 s23, s23
	s_cbranch_execz .LBB56_22
.LBB56_123:                             ;   in Loop: Header=BB56_4 Depth=1
	v_add_nc_u64_e32 v[2:3], s[58:59], v[0:1]
	flat_load_b128 v[6:9], v[2:3]
	s_wait_loadcnt_dscnt 0x0
	ds_store_2addr_b64 v171, v[6:7], v[8:9] offset1:1
	s_wait_xcnt 0x0
	s_or_b32 exec_lo, exec_lo, s23
	s_and_saveexec_b32 s23, s6
	s_delay_alu instid0(SALU_CYCLE_1)
	s_xor_b32 s23, exec_lo, s23
	s_cbranch_execz .LBB56_23
.LBB56_124:                             ;   in Loop: Header=BB56_4 Depth=1
	v_dual_mov_b32 v6, v151 :: v_dual_mov_b32 v7, v151
	v_dual_mov_b32 v8, v151 :: v_dual_mov_b32 v9, v151
	ds_store_b128 v172, v[6:9]
	s_and_not1_saveexec_b32 s23, s23
	s_cbranch_execnz .LBB56_24
	s_branch .LBB56_25
.LBB56_125:                             ;   in Loop: Header=BB56_4 Depth=1
	flat_load_b128 v[10:13], v[4:5]
	s_wait_loadcnt_dscnt 0x0
	ds_store_2addr_b64 v169, v[10:11], v[12:13] offset1:1
	s_wait_xcnt 0x0
	s_or_b32 exec_lo, exec_lo, s23
	s_and_saveexec_b32 s23, s18
	s_delay_alu instid0(SALU_CYCLE_1)
	s_xor_b32 s23, exec_lo, s23
	s_cbranch_execz .LBB56_59
.LBB56_126:                             ;   in Loop: Header=BB56_4 Depth=1
	v_dual_mov_b32 v10, v151 :: v_dual_mov_b32 v11, v151
	v_dual_mov_b32 v12, v151 :: v_dual_mov_b32 v13, v151
	ds_store_b128 v170, v[10:13]
	s_and_not1_saveexec_b32 s23, s23
	s_cbranch_execz .LBB56_60
.LBB56_127:                             ;   in Loop: Header=BB56_4 Depth=1
	v_add_nc_u64_e32 v[6:7], s[56:57], v[4:5]
	flat_load_b128 v[10:13], v[6:7]
	s_wait_loadcnt_dscnt 0x0
	ds_store_2addr_b64 v170, v[10:11], v[12:13] offset1:1
	s_wait_xcnt 0x0
	s_or_b32 exec_lo, exec_lo, s23
	s_and_saveexec_b32 s23, s19
	s_delay_alu instid0(SALU_CYCLE_1)
	s_xor_b32 s23, exec_lo, s23
	s_cbranch_execz .LBB56_61
.LBB56_128:                             ;   in Loop: Header=BB56_4 Depth=1
	v_dual_mov_b32 v10, v151 :: v_dual_mov_b32 v11, v151
	v_dual_mov_b32 v12, v151 :: v_dual_mov_b32 v13, v151
	ds_store_b128 v171, v[10:13]
	s_and_not1_saveexec_b32 s23, s23
	s_cbranch_execz .LBB56_62
.LBB56_129:                             ;   in Loop: Header=BB56_4 Depth=1
	v_add_nc_u64_e32 v[6:7], s[58:59], v[4:5]
	flat_load_b128 v[10:13], v[6:7]
	s_wait_loadcnt_dscnt 0x0
	ds_store_2addr_b64 v171, v[10:11], v[12:13] offset1:1
	s_wait_xcnt 0x0
	s_or_b32 exec_lo, exec_lo, s23
	s_and_saveexec_b32 s23, s20
	s_delay_alu instid0(SALU_CYCLE_1)
	s_xor_b32 s23, exec_lo, s23
	s_cbranch_execz .LBB56_63
.LBB56_130:                             ;   in Loop: Header=BB56_4 Depth=1
	v_dual_mov_b32 v10, v151 :: v_dual_mov_b32 v11, v151
	v_dual_mov_b32 v12, v151 :: v_dual_mov_b32 v13, v151
	ds_store_b128 v172, v[10:13]
	s_and_not1_saveexec_b32 s23, s23
	s_cbranch_execnz .LBB56_64
	s_branch .LBB56_65
.LBB56_131:                             ;   in Loop: Header=BB56_4 Depth=1
	flat_load_b128 v[6:9], v[4:5]
	s_wait_loadcnt_dscnt 0x0
	ds_store_2addr_b64 v169, v[6:7], v[8:9] offset1:1
	s_wait_xcnt 0x0
	s_or_b32 exec_lo, exec_lo, s23
	s_and_saveexec_b32 s23, s4
	s_delay_alu instid0(SALU_CYCLE_1)
	s_xor_b32 s23, exec_lo, s23
	s_cbranch_execz .LBB56_99
.LBB56_132:                             ;   in Loop: Header=BB56_4 Depth=1
	v_dual_mov_b32 v6, v151 :: v_dual_mov_b32 v7, v151
	v_dual_mov_b32 v8, v151 :: v_dual_mov_b32 v9, v151
	ds_store_b128 v170, v[6:9]
	s_and_not1_saveexec_b32 s23, s23
	s_cbranch_execz .LBB56_100
.LBB56_133:                             ;   in Loop: Header=BB56_4 Depth=1
	v_add_nc_u64_e32 v[6:7], s[56:57], v[4:5]
	flat_load_b128 v[6:9], v[6:7]
	s_wait_loadcnt_dscnt 0x0
	ds_store_2addr_b64 v170, v[6:7], v[8:9] offset1:1
	s_wait_xcnt 0x0
	s_or_b32 exec_lo, exec_lo, s23
	s_and_saveexec_b32 s23, s5
	s_delay_alu instid0(SALU_CYCLE_1)
	s_xor_b32 s23, exec_lo, s23
	s_cbranch_execz .LBB56_101
.LBB56_134:                             ;   in Loop: Header=BB56_4 Depth=1
	v_dual_mov_b32 v6, v151 :: v_dual_mov_b32 v7, v151
	v_dual_mov_b32 v8, v151 :: v_dual_mov_b32 v9, v151
	ds_store_b128 v171, v[6:9]
	s_and_not1_saveexec_b32 s23, s23
	s_cbranch_execz .LBB56_102
.LBB56_135:                             ;   in Loop: Header=BB56_4 Depth=1
	v_add_nc_u64_e32 v[6:7], s[58:59], v[4:5]
	flat_load_b128 v[6:9], v[6:7]
	s_wait_loadcnt_dscnt 0x0
	ds_store_2addr_b64 v171, v[6:7], v[8:9] offset1:1
	s_wait_xcnt 0x0
	s_or_b32 exec_lo, exec_lo, s23
	s_and_saveexec_b32 s23, s6
	s_delay_alu instid0(SALU_CYCLE_1)
	s_xor_b32 s23, exec_lo, s23
	s_cbranch_execz .LBB56_103
.LBB56_136:                             ;   in Loop: Header=BB56_4 Depth=1
	v_dual_mov_b32 v6, v151 :: v_dual_mov_b32 v7, v151
	v_dual_mov_b32 v8, v151 :: v_dual_mov_b32 v9, v151
	ds_store_b128 v172, v[6:9]
	s_and_not1_saveexec_b32 s23, s23
	s_cbranch_execnz .LBB56_104
	s_branch .LBB56_105
.LBB56_137:
	s_sendmsg sendmsg(MSG_DEALLOC_VGPRS)
	s_endpgm
	.section	.rodata,"a",@progbits
	.p2align	6, 0x0
	.amdhsa_kernel _ZL26rocblas_hemvn_kernel_lowerILb1ELi64ELi4ELi33ELi32ELi16ElPK19rocblas_complex_numIdEPKS3_PS1_EviT6_lT7_lT5_lS8_lS9_lS7_lT8_i
		.amdhsa_group_segment_fixed_size 19200
		.amdhsa_private_segment_fixed_size 0
		.amdhsa_kernarg_size 376
		.amdhsa_user_sgpr_count 2
		.amdhsa_user_sgpr_dispatch_ptr 0
		.amdhsa_user_sgpr_queue_ptr 0
		.amdhsa_user_sgpr_kernarg_segment_ptr 1
		.amdhsa_user_sgpr_dispatch_id 0
		.amdhsa_user_sgpr_kernarg_preload_length 0
		.amdhsa_user_sgpr_kernarg_preload_offset 0
		.amdhsa_user_sgpr_private_segment_size 0
		.amdhsa_wavefront_size32 1
		.amdhsa_uses_dynamic_stack 0
		.amdhsa_enable_private_segment 0
		.amdhsa_system_sgpr_workgroup_id_x 1
		.amdhsa_system_sgpr_workgroup_id_y 0
		.amdhsa_system_sgpr_workgroup_id_z 1
		.amdhsa_system_sgpr_workgroup_info 0
		.amdhsa_system_vgpr_workitem_id 1
		.amdhsa_next_free_vgpr 242
		.amdhsa_next_free_sgpr 90
		.amdhsa_named_barrier_count 0
		.amdhsa_reserve_vcc 1
		.amdhsa_float_round_mode_32 0
		.amdhsa_float_round_mode_16_64 0
		.amdhsa_float_denorm_mode_32 3
		.amdhsa_float_denorm_mode_16_64 3
		.amdhsa_fp16_overflow 0
		.amdhsa_memory_ordered 1
		.amdhsa_forward_progress 1
		.amdhsa_inst_pref_size 67
		.amdhsa_round_robin_scheduling 0
		.amdhsa_exception_fp_ieee_invalid_op 0
		.amdhsa_exception_fp_denorm_src 0
		.amdhsa_exception_fp_ieee_div_zero 0
		.amdhsa_exception_fp_ieee_overflow 0
		.amdhsa_exception_fp_ieee_underflow 0
		.amdhsa_exception_fp_ieee_inexact 0
		.amdhsa_exception_int_div_zero 0
	.end_amdhsa_kernel
	.section	.text._ZL26rocblas_hemvn_kernel_lowerILb1ELi64ELi4ELi33ELi32ELi16ElPK19rocblas_complex_numIdEPKS3_PS1_EviT6_lT7_lT5_lS8_lS9_lS7_lT8_i,"axG",@progbits,_ZL26rocblas_hemvn_kernel_lowerILb1ELi64ELi4ELi33ELi32ELi16ElPK19rocblas_complex_numIdEPKS3_PS1_EviT6_lT7_lT5_lS8_lS9_lS7_lT8_i,comdat
.Lfunc_end56:
	.size	_ZL26rocblas_hemvn_kernel_lowerILb1ELi64ELi4ELi33ELi32ELi16ElPK19rocblas_complex_numIdEPKS3_PS1_EviT6_lT7_lT5_lS8_lS9_lS7_lT8_i, .Lfunc_end56-_ZL26rocblas_hemvn_kernel_lowerILb1ELi64ELi4ELi33ELi32ELi16ElPK19rocblas_complex_numIdEPKS3_PS1_EviT6_lT7_lT5_lS8_lS9_lS7_lT8_i
                                        ; -- End function
	.set _ZL26rocblas_hemvn_kernel_lowerILb1ELi64ELi4ELi33ELi32ELi16ElPK19rocblas_complex_numIdEPKS3_PS1_EviT6_lT7_lT5_lS8_lS9_lS7_lT8_i.num_vgpr, 242
	.set _ZL26rocblas_hemvn_kernel_lowerILb1ELi64ELi4ELi33ELi32ELi16ElPK19rocblas_complex_numIdEPKS3_PS1_EviT6_lT7_lT5_lS8_lS9_lS7_lT8_i.num_agpr, 0
	.set _ZL26rocblas_hemvn_kernel_lowerILb1ELi64ELi4ELi33ELi32ELi16ElPK19rocblas_complex_numIdEPKS3_PS1_EviT6_lT7_lT5_lS8_lS9_lS7_lT8_i.numbered_sgpr, 90
	.set _ZL26rocblas_hemvn_kernel_lowerILb1ELi64ELi4ELi33ELi32ELi16ElPK19rocblas_complex_numIdEPKS3_PS1_EviT6_lT7_lT5_lS8_lS9_lS7_lT8_i.num_named_barrier, 0
	.set _ZL26rocblas_hemvn_kernel_lowerILb1ELi64ELi4ELi33ELi32ELi16ElPK19rocblas_complex_numIdEPKS3_PS1_EviT6_lT7_lT5_lS8_lS9_lS7_lT8_i.private_seg_size, 0
	.set _ZL26rocblas_hemvn_kernel_lowerILb1ELi64ELi4ELi33ELi32ELi16ElPK19rocblas_complex_numIdEPKS3_PS1_EviT6_lT7_lT5_lS8_lS9_lS7_lT8_i.uses_vcc, 1
	.set _ZL26rocblas_hemvn_kernel_lowerILb1ELi64ELi4ELi33ELi32ELi16ElPK19rocblas_complex_numIdEPKS3_PS1_EviT6_lT7_lT5_lS8_lS9_lS7_lT8_i.uses_flat_scratch, 1
	.set _ZL26rocblas_hemvn_kernel_lowerILb1ELi64ELi4ELi33ELi32ELi16ElPK19rocblas_complex_numIdEPKS3_PS1_EviT6_lT7_lT5_lS8_lS9_lS7_lT8_i.has_dyn_sized_stack, 0
	.set _ZL26rocblas_hemvn_kernel_lowerILb1ELi64ELi4ELi33ELi32ELi16ElPK19rocblas_complex_numIdEPKS3_PS1_EviT6_lT7_lT5_lS8_lS9_lS7_lT8_i.has_recursion, 0
	.set _ZL26rocblas_hemvn_kernel_lowerILb1ELi64ELi4ELi33ELi32ELi16ElPK19rocblas_complex_numIdEPKS3_PS1_EviT6_lT7_lT5_lS8_lS9_lS7_lT8_i.has_indirect_call, 0
	.section	.AMDGPU.csdata,"",@progbits
; Kernel info:
; codeLenInByte = 8552
; TotalNumSgprs: 92
; NumVgprs: 242
; ScratchSize: 0
; MemoryBound: 0
; FloatMode: 240
; IeeeMode: 1
; LDSByteSize: 19200 bytes/workgroup (compile time only)
; SGPRBlocks: 0
; VGPRBlocks: 15
; NumSGPRsForWavesPerEU: 92
; NumVGPRsForWavesPerEU: 242
; NamedBarCnt: 0
; Occupancy: 4
; WaveLimiterHint : 0
; COMPUTE_PGM_RSRC2:SCRATCH_EN: 0
; COMPUTE_PGM_RSRC2:USER_SGPR: 2
; COMPUTE_PGM_RSRC2:TRAP_HANDLER: 0
; COMPUTE_PGM_RSRC2:TGID_X_EN: 1
; COMPUTE_PGM_RSRC2:TGID_Y_EN: 0
; COMPUTE_PGM_RSRC2:TGID_Z_EN: 1
; COMPUTE_PGM_RSRC2:TIDIG_COMP_CNT: 1
	.section	.text._ZL36rocblas_hemvn_kernel_lower_block_sumILi64ElPK19rocblas_complex_numIdEPKPS1_S1_EviT1_lS7_lT2_lT0_lPT3_i,"axG",@progbits,_ZL36rocblas_hemvn_kernel_lower_block_sumILi64ElPK19rocblas_complex_numIdEPKPS1_S1_EviT1_lS7_lT2_lT0_lPT3_i,comdat
	.globl	_ZL36rocblas_hemvn_kernel_lower_block_sumILi64ElPK19rocblas_complex_numIdEPKPS1_S1_EviT1_lS7_lT2_lT0_lPT3_i ; -- Begin function _ZL36rocblas_hemvn_kernel_lower_block_sumILi64ElPK19rocblas_complex_numIdEPKPS1_S1_EviT1_lS7_lT2_lT0_lPT3_i
	.p2align	8
	.type	_ZL36rocblas_hemvn_kernel_lower_block_sumILi64ElPK19rocblas_complex_numIdEPKPS1_S1_EviT1_lS7_lT2_lT0_lPT3_i,@function
_ZL36rocblas_hemvn_kernel_lower_block_sumILi64ElPK19rocblas_complex_numIdEPKPS1_S1_EviT1_lS7_lT2_lT0_lPT3_i: ; @_ZL36rocblas_hemvn_kernel_lower_block_sumILi64ElPK19rocblas_complex_numIdEPKPS1_S1_EviT1_lS7_lT2_lT0_lPT3_i
; %bb.0:
	s_load_b32 s3, s[0:1], 0x50
	s_bfe_u32 s2, ttmp6, 0x40014
	s_lshr_b32 s4, ttmp7, 16
	s_add_co_i32 s2, s2, 1
	s_bfe_u32 s6, ttmp6, 0x40008
	s_mul_i32 s5, s4, s2
	s_getreg_b32 s2, hwreg(HW_REG_IB_STS2, 6, 4)
	s_add_co_i32 s6, s6, s5
	s_cmp_eq_u32 s2, 0
	s_mov_b32 s13, 0
	s_cselect_b32 s12, s4, s6
	s_wait_kmcnt 0x0
	s_cmp_ge_u32 s12, s3
	s_cbranch_scc1 .LBB57_26
; %bb.1:
	s_clause 0x1
	s_load_b128 s[20:23], s[0:1], 0x30
	s_load_b32 s18, s[0:1], 0x0
	s_bfe_u32 s4, ttmp6, 0x4000c
	s_and_b32 s5, ttmp6, 15
	s_add_co_i32 s4, s4, 1
	s_load_b64 s[16:17], s[0:1], 0x48
	s_mul_i32 s4, ttmp9, s4
	v_mov_b32_e32 v18, 0
	s_add_co_i32 s5, s5, s4
	s_cmp_eq_u32 s2, 0
	s_cselect_b32 s24, ttmp9, s5
	s_clause 0x1
	s_load_b64 s[14:15], s[0:1], 0x28
	s_load_b256 s[4:11], s[0:1], 0x8
	v_lshl_or_b32 v0, s24, 6, v0
	s_wait_kmcnt 0x0
	s_lshl_b64 s[20:21], s[20:21], 4
	s_delay_alu instid0(VALU_DEP_1) | instskip(SKIP_3) | instid1(SALU_CYCLE_1)
	v_mad_u32 v2, s18, s24, v0
	v_ashrrev_i32_e32 v1, 31, v0
	v_cmp_gt_i32_e64 s2, s18, v0
	s_ashr_i32 s19, s18, 31
	s_lshl_b64 s[18:19], s[18:19], 4
	v_ashrrev_i32_e32 v3, 31, v2
	v_mul_u64_e32 v[12:13], s[22:23], v[0:1]
	s_delay_alu instid0(VALU_DEP_2) | instskip(SKIP_1) | instid1(VALU_DEP_1)
	v_lshl_add_u64 v[2:3], v[2:3], 4, s[16:17]
	s_add_nc_u64 s[16:17], s[0:1], 0x58
	v_add_nc_u64_e32 v[14:15], 8, v[2:3]
	s_branch .LBB57_4
.LBB57_2:                               ;   in Loop: Header=BB57_4 Depth=1
	s_wait_xcnt 0x0
	s_or_b32 exec_lo, exec_lo, s0
.LBB57_3:                               ;   in Loop: Header=BB57_4 Depth=1
	s_add_co_i32 s12, s12, 0x10000
	s_delay_alu instid0(SALU_CYCLE_1)
	s_cmp_lt_u32 s12, s3
	s_cbranch_scc0 .LBB57_26
.LBB57_4:                               ; =>This Loop Header: Depth=1
                                        ;     Child Loop BB57_17 Depth 2
	s_mul_u64 s[0:1], s[6:7], s[12:13]
	s_delay_alu instid0(SALU_CYCLE_1) | instskip(NEXT) | instid1(SALU_CYCLE_1)
	s_lshl_b64 s[0:1], s[0:1], 4
	s_add_nc_u64 s[0:1], s[4:5], s[0:1]
	global_load_b128 v[4:7], v18, s[0:1]
	s_wait_xcnt 0x0
	s_mul_u64 s[0:1], s[10:11], s[12:13]
	s_delay_alu instid0(SALU_CYCLE_1) | instskip(NEXT) | instid1(SALU_CYCLE_1)
	s_lshl_b64 s[0:1], s[0:1], 4
	s_add_nc_u64 s[0:1], s[8:9], s[0:1]
	s_wait_loadcnt 0x1
	global_load_b128 v[0:3], v18, s[0:1]
	s_wait_loadcnt 0x1
	v_cmp_neq_f64_e32 vcc_lo, 0, v[4:5]
	s_wait_xcnt 0x0
	v_cmp_neq_f64_e64 s0, 0, v[6:7]
	s_or_b32 s1, vcc_lo, s0
	s_mov_b32 s0, -1
	s_and_b32 vcc_lo, exec_lo, s1
	s_cbranch_vccz .LBB57_6
; %bb.5:                                ;   in Loop: Header=BB57_4 Depth=1
	s_and_not1_b32 vcc_lo, exec_lo, s0
	s_cbranch_vccnz .LBB57_3
	s_branch .LBB57_7
.LBB57_6:                               ;   in Loop: Header=BB57_4 Depth=1
	s_wait_loadcnt 0x0
	v_cmp_neq_f64_e32 vcc_lo, 1.0, v[0:1]
	v_cmp_neq_f64_e64 s0, 0, v[2:3]
	s_or_b32 s0, vcc_lo, s0
	s_delay_alu instid0(SALU_CYCLE_1)
	s_and_not1_b32 vcc_lo, exec_lo, s0
	s_cbranch_vccnz .LBB57_3
.LBB57_7:                               ;   in Loop: Header=BB57_4 Depth=1
	s_lshl_b64 s[22:23], s[12:13], 3
	s_xor_b32 s0, s1, -1
	s_add_nc_u64 s[22:23], s[14:15], s[22:23]
	s_and_not1_b32 vcc_lo, exec_lo, s0
	s_load_b64 s[22:23], s[22:23], 0x0
	s_wait_kmcnt 0x0
	s_wait_xcnt 0x0
	s_add_nc_u64 s[22:23], s[22:23], s[20:21]
	s_cbranch_vccnz .LBB57_12
; %bb.8:                                ;   in Loop: Header=BB57_4 Depth=1
	s_mov_b32 s1, 0
	s_mov_b32 s25, 0
                                        ; implicit-def: $vgpr10_vgpr11
	s_and_saveexec_b32 s26, s2
	s_cbranch_execz .LBB57_13
; %bb.9:                                ;   in Loop: Header=BB57_4 Depth=1
	s_wait_loadcnt 0x0
	v_cmp_neq_f64_e32 vcc_lo, 0, v[0:1]
	v_cmp_neq_f64_e64 s0, 0, v[2:3]
	v_mov_b64_e32 v[10:11], 0
	v_mov_b64_e32 v[8:9], 0
	s_or_b32 s0, vcc_lo, s0
	s_delay_alu instid0(SALU_CYCLE_1)
	s_and_not1_b32 vcc_lo, exec_lo, s0
	s_cbranch_vccnz .LBB57_11
; %bb.10:                               ;   in Loop: Header=BB57_4 Depth=1
	v_lshl_add_u64 v[8:9], v[12:13], 4, s[22:23]
	flat_load_b128 v[20:23], v[8:9]
	s_wait_loadcnt_dscnt 0x0
	s_wait_xcnt 0x0
	v_mul_f64_e32 v[8:9], v[2:3], v[22:23]
	v_mul_f64_e32 v[10:11], v[0:1], v[22:23]
	s_delay_alu instid0(VALU_DEP_2) | instskip(NEXT) | instid1(VALU_DEP_2)
	v_fma_f64 v[8:9], v[0:1], v[20:21], -v[8:9]
	v_fmac_f64_e32 v[10:11], v[2:3], v[20:21]
.LBB57_11:                              ;   in Loop: Header=BB57_4 Depth=1
	s_mov_b32 s25, exec_lo
	s_or_b32 exec_lo, exec_lo, s26
	s_delay_alu instid0(SALU_CYCLE_1)
	s_and_b32 vcc_lo, exec_lo, s1
	s_cbranch_vccnz .LBB57_14
	s_branch .LBB57_24
.LBB57_12:                              ;   in Loop: Header=BB57_4 Depth=1
	s_mov_b32 s25, 0
                                        ; implicit-def: $vgpr10_vgpr11
	s_cbranch_execnz .LBB57_14
	s_branch .LBB57_24
.LBB57_13:                              ;   in Loop: Header=BB57_4 Depth=1
	s_or_b32 exec_lo, exec_lo, s26
	s_delay_alu instid0(SALU_CYCLE_1)
	s_and_b32 vcc_lo, exec_lo, s1
	s_cbranch_vccz .LBB57_24
.LBB57_14:                              ;   in Loop: Header=BB57_4 Depth=1
                                        ; implicit-def: $vgpr10_vgpr11
	s_and_saveexec_b32 s26, s2
	s_cbranch_execz .LBB57_23
; %bb.15:                               ;   in Loop: Header=BB57_4 Depth=1
	s_load_b32 s0, s[16:17], 0x0
	v_mov_b64_e32 v[8:9], 0
	v_mov_b64_e32 v[16:17], 0
	s_wait_kmcnt 0x0
	s_cmp_ge_i32 s24, s0
	s_cbranch_scc1 .LBB57_18
; %bb.16:                               ;   in Loop: Header=BB57_4 Depth=1
	s_mov_b32 s1, s13
	v_mov_b64_e32 v[8:9], 0
	s_mul_u64 s[28:29], s[18:19], s[0:1]
	v_mov_b64_e32 v[16:17], 0
	v_mad_nc_u64_u32 v[10:11], s28, s12, v[14:15]
	s_mov_b32 s1, s24
	s_delay_alu instid0(VALU_DEP_1)
	v_mad_u32 v11, s29, s12, v11
.LBB57_17:                              ;   Parent Loop BB57_4 Depth=1
                                        ; =>  This Inner Loop Header: Depth=2
	global_load_b128 v[20:23], v[10:11], off offset:-8
	s_wait_xcnt 0x0
	v_add_nc_u64_e32 v[10:11], s[18:19], v[10:11]
	s_add_co_i32 s1, s1, 1
	s_delay_alu instid0(SALU_CYCLE_1)
	s_cmp_ge_i32 s1, s0
	s_wait_loadcnt 0x0
	v_add_f64_e32 v[16:17], v[16:17], v[20:21]
	v_add_f64_e32 v[8:9], v[8:9], v[22:23]
	s_cbranch_scc0 .LBB57_17
.LBB57_18:                              ;   in Loop: Header=BB57_4 Depth=1
	s_delay_alu instid0(VALU_DEP_1) | instskip(SKIP_4) | instid1(VALU_DEP_4)
	v_mul_f64_e32 v[20:21], v[6:7], v[8:9]
	v_mul_f64_e32 v[10:11], v[4:5], v[8:9]
	s_wait_loadcnt 0x0
	v_cmp_neq_f64_e32 vcc_lo, 0, v[0:1]
	v_cmp_neq_f64_e64 s0, 0, v[2:3]
	v_fma_f64 v[8:9], v[4:5], v[16:17], -v[20:21]
	s_delay_alu instid0(VALU_DEP_4) | instskip(SKIP_1) | instid1(SALU_CYCLE_1)
	v_fmac_f64_e32 v[10:11], v[6:7], v[16:17]
	s_or_b32 s0, vcc_lo, s0
	s_and_not1_b32 vcc_lo, exec_lo, s0
	s_mov_b32 s0, -1
	s_cbranch_vccz .LBB57_20
; %bb.19:                               ;   in Loop: Header=BB57_4 Depth=1
	s_mov_b32 s0, 0
.LBB57_20:                              ;   in Loop: Header=BB57_4 Depth=1
	s_delay_alu instid0(SALU_CYCLE_1)
	s_and_not1_b32 vcc_lo, exec_lo, s0
	s_cbranch_vccnz .LBB57_22
; %bb.21:                               ;   in Loop: Header=BB57_4 Depth=1
	v_lshl_add_u64 v[4:5], v[12:13], 4, s[22:23]
	flat_load_b128 v[4:7], v[4:5]
	s_wait_loadcnt_dscnt 0x0
	v_mul_f64_e32 v[16:17], v[2:3], v[6:7]
	v_mul_f64_e32 v[6:7], v[0:1], v[6:7]
	s_delay_alu instid0(VALU_DEP_2) | instskip(NEXT) | instid1(VALU_DEP_2)
	v_fma_f64 v[0:1], v[0:1], v[4:5], -v[16:17]
	v_fmac_f64_e32 v[6:7], v[2:3], v[4:5]
	s_delay_alu instid0(VALU_DEP_2) | instskip(NEXT) | instid1(VALU_DEP_2)
	v_add_f64_e32 v[8:9], v[8:9], v[0:1]
	v_add_f64_e32 v[10:11], v[10:11], v[6:7]
.LBB57_22:                              ;   in Loop: Header=BB57_4 Depth=1
	s_or_b32 s25, s25, exec_lo
.LBB57_23:                              ;   in Loop: Header=BB57_4 Depth=1
	s_wait_xcnt 0x0
	s_or_b32 exec_lo, exec_lo, s26
.LBB57_24:                              ;   in Loop: Header=BB57_4 Depth=1
	s_and_saveexec_b32 s0, s25
	s_cbranch_execz .LBB57_2
; %bb.25:                               ;   in Loop: Header=BB57_4 Depth=1
	s_wait_loadcnt 0x0
	v_lshl_add_u64 v[0:1], v[12:13], 4, s[22:23]
	flat_store_b128 v[0:1], v[8:11]
	s_branch .LBB57_2
.LBB57_26:
	s_endpgm
	.section	.rodata,"a",@progbits
	.p2align	6, 0x0
	.amdhsa_kernel _ZL36rocblas_hemvn_kernel_lower_block_sumILi64ElPK19rocblas_complex_numIdEPKPS1_S1_EviT1_lS7_lT2_lT0_lPT3_i
		.amdhsa_group_segment_fixed_size 0
		.amdhsa_private_segment_fixed_size 0
		.amdhsa_kernarg_size 344
		.amdhsa_user_sgpr_count 2
		.amdhsa_user_sgpr_dispatch_ptr 0
		.amdhsa_user_sgpr_queue_ptr 0
		.amdhsa_user_sgpr_kernarg_segment_ptr 1
		.amdhsa_user_sgpr_dispatch_id 0
		.amdhsa_user_sgpr_kernarg_preload_length 0
		.amdhsa_user_sgpr_kernarg_preload_offset 0
		.amdhsa_user_sgpr_private_segment_size 0
		.amdhsa_wavefront_size32 1
		.amdhsa_uses_dynamic_stack 0
		.amdhsa_enable_private_segment 0
		.amdhsa_system_sgpr_workgroup_id_x 1
		.amdhsa_system_sgpr_workgroup_id_y 0
		.amdhsa_system_sgpr_workgroup_id_z 1
		.amdhsa_system_sgpr_workgroup_info 0
		.amdhsa_system_vgpr_workitem_id 0
		.amdhsa_next_free_vgpr 24
		.amdhsa_next_free_sgpr 30
		.amdhsa_named_barrier_count 0
		.amdhsa_reserve_vcc 1
		.amdhsa_float_round_mode_32 0
		.amdhsa_float_round_mode_16_64 0
		.amdhsa_float_denorm_mode_32 3
		.amdhsa_float_denorm_mode_16_64 3
		.amdhsa_fp16_overflow 0
		.amdhsa_memory_ordered 1
		.amdhsa_forward_progress 1
		.amdhsa_inst_pref_size 8
		.amdhsa_round_robin_scheduling 0
		.amdhsa_exception_fp_ieee_invalid_op 0
		.amdhsa_exception_fp_denorm_src 0
		.amdhsa_exception_fp_ieee_div_zero 0
		.amdhsa_exception_fp_ieee_overflow 0
		.amdhsa_exception_fp_ieee_underflow 0
		.amdhsa_exception_fp_ieee_inexact 0
		.amdhsa_exception_int_div_zero 0
	.end_amdhsa_kernel
	.section	.text._ZL36rocblas_hemvn_kernel_lower_block_sumILi64ElPK19rocblas_complex_numIdEPKPS1_S1_EviT1_lS7_lT2_lT0_lPT3_i,"axG",@progbits,_ZL36rocblas_hemvn_kernel_lower_block_sumILi64ElPK19rocblas_complex_numIdEPKPS1_S1_EviT1_lS7_lT2_lT0_lPT3_i,comdat
.Lfunc_end57:
	.size	_ZL36rocblas_hemvn_kernel_lower_block_sumILi64ElPK19rocblas_complex_numIdEPKPS1_S1_EviT1_lS7_lT2_lT0_lPT3_i, .Lfunc_end57-_ZL36rocblas_hemvn_kernel_lower_block_sumILi64ElPK19rocblas_complex_numIdEPKPS1_S1_EviT1_lS7_lT2_lT0_lPT3_i
                                        ; -- End function
	.set _ZL36rocblas_hemvn_kernel_lower_block_sumILi64ElPK19rocblas_complex_numIdEPKPS1_S1_EviT1_lS7_lT2_lT0_lPT3_i.num_vgpr, 24
	.set _ZL36rocblas_hemvn_kernel_lower_block_sumILi64ElPK19rocblas_complex_numIdEPKPS1_S1_EviT1_lS7_lT2_lT0_lPT3_i.num_agpr, 0
	.set _ZL36rocblas_hemvn_kernel_lower_block_sumILi64ElPK19rocblas_complex_numIdEPKPS1_S1_EviT1_lS7_lT2_lT0_lPT3_i.numbered_sgpr, 30
	.set _ZL36rocblas_hemvn_kernel_lower_block_sumILi64ElPK19rocblas_complex_numIdEPKPS1_S1_EviT1_lS7_lT2_lT0_lPT3_i.num_named_barrier, 0
	.set _ZL36rocblas_hemvn_kernel_lower_block_sumILi64ElPK19rocblas_complex_numIdEPKPS1_S1_EviT1_lS7_lT2_lT0_lPT3_i.private_seg_size, 0
	.set _ZL36rocblas_hemvn_kernel_lower_block_sumILi64ElPK19rocblas_complex_numIdEPKPS1_S1_EviT1_lS7_lT2_lT0_lPT3_i.uses_vcc, 1
	.set _ZL36rocblas_hemvn_kernel_lower_block_sumILi64ElPK19rocblas_complex_numIdEPKPS1_S1_EviT1_lS7_lT2_lT0_lPT3_i.uses_flat_scratch, 0
	.set _ZL36rocblas_hemvn_kernel_lower_block_sumILi64ElPK19rocblas_complex_numIdEPKPS1_S1_EviT1_lS7_lT2_lT0_lPT3_i.has_dyn_sized_stack, 0
	.set _ZL36rocblas_hemvn_kernel_lower_block_sumILi64ElPK19rocblas_complex_numIdEPKPS1_S1_EviT1_lS7_lT2_lT0_lPT3_i.has_recursion, 0
	.set _ZL36rocblas_hemvn_kernel_lower_block_sumILi64ElPK19rocblas_complex_numIdEPKPS1_S1_EviT1_lS7_lT2_lT0_lPT3_i.has_indirect_call, 0
	.section	.AMDGPU.csdata,"",@progbits
; Kernel info:
; codeLenInByte = 920
; TotalNumSgprs: 32
; NumVgprs: 24
; ScratchSize: 0
; MemoryBound: 0
; FloatMode: 240
; IeeeMode: 1
; LDSByteSize: 0 bytes/workgroup (compile time only)
; SGPRBlocks: 0
; VGPRBlocks: 1
; NumSGPRsForWavesPerEU: 32
; NumVGPRsForWavesPerEU: 24
; NamedBarCnt: 0
; Occupancy: 16
; WaveLimiterHint : 1
; COMPUTE_PGM_RSRC2:SCRATCH_EN: 0
; COMPUTE_PGM_RSRC2:USER_SGPR: 2
; COMPUTE_PGM_RSRC2:TRAP_HANDLER: 0
; COMPUTE_PGM_RSRC2:TGID_X_EN: 1
; COMPUTE_PGM_RSRC2:TGID_Y_EN: 0
; COMPUTE_PGM_RSRC2:TGID_Z_EN: 1
; COMPUTE_PGM_RSRC2:TIDIG_COMP_CNT: 0
	.section	.text._ZL26rocblas_hemvn_kernel_lowerILb1ELi64ELi4ELi33ELi32ELi16EiPK19rocblas_complex_numIdEPKS3_PS1_EviT6_lT7_lT5_lS8_lS9_lS7_lT8_i,"axG",@progbits,_ZL26rocblas_hemvn_kernel_lowerILb1ELi64ELi4ELi33ELi32ELi16EiPK19rocblas_complex_numIdEPKS3_PS1_EviT6_lT7_lT5_lS8_lS9_lS7_lT8_i,comdat
	.globl	_ZL26rocblas_hemvn_kernel_lowerILb1ELi64ELi4ELi33ELi32ELi16EiPK19rocblas_complex_numIdEPKS3_PS1_EviT6_lT7_lT5_lS8_lS9_lS7_lT8_i ; -- Begin function _ZL26rocblas_hemvn_kernel_lowerILb1ELi64ELi4ELi33ELi32ELi16EiPK19rocblas_complex_numIdEPKS3_PS1_EviT6_lT7_lT5_lS8_lS9_lS7_lT8_i
	.p2align	8
	.type	_ZL26rocblas_hemvn_kernel_lowerILb1ELi64ELi4ELi33ELi32ELi16EiPK19rocblas_complex_numIdEPKS3_PS1_EviT6_lT7_lT5_lS8_lS9_lS7_lT8_i,@function
_ZL26rocblas_hemvn_kernel_lowerILb1ELi64ELi4ELi33ELi32ELi16EiPK19rocblas_complex_numIdEPKS3_PS1_EviT6_lT7_lT5_lS8_lS9_lS7_lT8_i: ; @_ZL26rocblas_hemvn_kernel_lowerILb1ELi64ELi4ELi33ELi32ELi16EiPK19rocblas_complex_numIdEPKS3_PS1_EviT6_lT7_lT5_lS8_lS9_lS7_lT8_i
; %bb.0:
	s_clause 0x1
	s_load_b64 s[2:3], s[0:1], 0x84
	s_load_b32 s33, s[0:1], 0x70
	s_bfe_u32 s4, ttmp6, 0x40014
	s_lshr_b32 s5, ttmp7, 16
	s_add_co_i32 s4, s4, 1
	s_bfe_u32 s6, ttmp6, 0x40008
	s_mul_i32 s7, s5, s4
	s_getreg_b32 s4, hwreg(HW_REG_IB_STS2, 6, 4)
	s_add_co_i32 s6, s6, s7
	s_mov_b32 s35, 0
	s_wait_kmcnt 0x0
	s_lshr_b32 s7, s2, 16
	s_and_b32 s2, s2, 0xffff
	s_and_b32 s3, s3, 0xffff
	s_mul_i32 s2, s7, s2
	s_cmp_eq_u32 s4, 0
	s_mul_i32 s2, s2, s3
	s_cselect_b32 s34, s5, s6
	s_cmp_lg_u32 s2, 0x100
	s_cselect_b32 s2, -1, 0
	s_cmp_ge_u32 s34, s33
	s_cselect_b32 s3, -1, 0
	s_delay_alu instid0(SALU_CYCLE_1) | instskip(NEXT) | instid1(SALU_CYCLE_1)
	s_or_b32 s2, s2, s3
	s_and_b32 vcc_lo, exec_lo, s2
	s_cbranch_vccnz .LBB58_137
; %bb.1:
	s_clause 0x1
	s_load_b32 s2, s[0:1], 0x0
	s_load_b32 s72, s[0:1], 0x28
	s_add_nc_u64 s[6:7], s[0:1], 0x78
	s_clause 0x4
	s_load_b256 s[24:31], s[0:1], 0x8
	s_load_b128 s[36:39], s[0:1], 0x38
	s_load_b32 s22, s[0:1], 0x48
	s_load_b64 s[8:9], s[0:1], 0x68
	s_load_b128 s[40:43], s[0:1], 0x58
	s_wait_xcnt 0x0
	s_bfe_u32 s1, ttmp6, 0x4000c
	s_load_b32 s6, s[6:7], 0x0
	s_add_co_i32 s1, s1, 1
	v_bfe_u32 v1, v0, 10, 10
	s_and_b32 s0, ttmp6, 15
	s_mul_i32 s1, ttmp9, s1
	v_and_b32_e32 v148, 0x3ff, v0
	s_add_co_i32 s1, s0, s1
	v_dual_lshlrev_b32 v2, 6, v1 :: v_dual_bitop2_b32 v150, 31, v0 bitop3:0x40
	v_mov_b32_e32 v151, 0
	s_wait_xcnt 0x0
	s_mov_b32 s7, s35
	v_cmp_eq_u32_e64 s0, 0, v1
	v_lshlrev_b32_e32 v5, 4, v150
	v_mul_u32_u24_e32 v14, 33, v150
	v_add_nc_u32_e32 v185, 0x4300, v2
	s_wait_kmcnt 0x0
	s_ashr_i32 s3, s2, 31
	s_ashr_i32 s73, s72, 31
	s_cmp_eq_u32 s4, 0
	v_lshl_or_b32 v10, v150, 9, v5
	s_cselect_b32 s84, ttmp9, s1
	s_lshr_b32 s1, s3, 26
	s_lshl_b32 s78, s84, 6
	s_add_co_i32 s1, s2, s1
	v_dual_add_nc_u32 v152, s78, v148 :: v_dual_add_nc_u32 v3, v2, v148
	s_and_not1_b32 s1, s1, 63
	v_lshlrev_b32_e32 v170, 4, v148
	s_add_co_i32 s4, s6, -1
	s_sub_co_i32 s1, s2, s1
	v_lshrrev_b32_e32 v4, 5, v3
	s_cmp_eq_u32 s84, s4
	s_mul_i32 s4, s2, s84
	s_cselect_b32 s44, s1, 0
	s_mul_u64 s[46:47], s[6:7], s[2:3]
	v_dual_add_nc_u32 v8, 24, v4 :: v_dual_lshlrev_b32 v9, 2, v4
	v_lshlrev_b32_e32 v11, 6, v4
	s_cmp_eq_u32 s44, 0
	v_dual_add_nc_u32 v6, 8, v4 :: v_dual_add_nc_u32 v7, 16, v4
	s_cselect_b32 s85, -1, 0
	s_cmp_lg_u32 s44, 0
	v_dual_add_nc_u32 v177, v10, v11 :: v_dual_bitop2_b32 v12, 1, v9 bitop3:0x54
	v_or_b32_e32 v10, 2, v9
	s_cselect_b32 s1, -1, 0
	s_ashr_i32 s5, s4, 31
	v_cmp_ge_u32_e64 s7, v9, v150
	s_lshl_b64 s[2:3], s[4:5], 4
	v_cmp_ge_u32_e64 s11, v10, v150
	s_add_nc_u64 s[48:49], s[8:9], s[2:3]
	v_cmp_eq_u32_e64 s8, v9, v150
	v_or_b32_e32 v9, 3, v9
	v_cmp_eq_u32_e64 s12, v10, v150
	v_dual_lshlrev_b32 v10, 4, v4 :: v_dual_lshlrev_b32 v180, 4, v14
	v_add_nc_u32_e32 v181, 48, v177
	s_sub_co_i32 s20, s44, 32
	v_cmp_le_i32_e64 s4, s44, v6
	v_cmp_le_i32_e64 s18, s20, v6
	v_mul_lo_u32 v6, v1, s72
	v_add_nc_u32_e32 v183, v180, v10
	v_mul_lo_u32 v154, s22, v152
	v_mad_u32 v156, s72, v4, v150
	v_mad_u32_u24 v172, 0x210, v4, v5
	v_cmp_le_i32_e64 s3, s44, v4
	v_cmp_le_i32_e64 s5, s44, v7
	v_mul_u32_u24_e32 v13, 0x840, v4
	v_cmp_le_i32_e64 s17, s20, v4
	v_cmp_le_i32_e64 s19, s20, v7
	v_cmp_eq_u32_e64 s21, 1, v4
	v_mul_i32_i24_e32 v7, 0xffffffd0, v4
	v_mad_u32_u24 v184, v4, 48, v183
	v_lshrrev_b32_e32 v4, 4, v3
	v_cmp_le_i32_e32 vcc_lo, s44, v148
	v_cmp_le_i32_e64 s6, s44, v8
	v_add_nc_u32_e32 v182, 0x4700, v11
	v_cmp_le_i32_e64 s20, s20, v8
	v_lshl_add_u32 v160, v6, 2, v148
	v_and_b32_e32 v6, 15, v0
	v_dual_add_nc_u32 v192, v5, v13 :: v_dual_bitop2_b32 v0, 48, v0 bitop3:0x40
	v_dual_lshlrev_b32 v8, 6, v4 :: v_dual_add_nc_u32 v194, v182, v7
	v_dual_ashrrev_i32 v155, 31, v154 :: v_dual_ashrrev_i32 v157, 31, v156
	v_dual_mov_b32 v149, v151 :: v_dual_add_nc_u32 v174, 0x2100, v172
	s_and_b32 s1, s1, vcc_lo
	s_mul_i32 s50, s72, s78
	s_lshl_b32 s52, s72, 3
	s_lshl_b32 s54, s72, 4
	s_mul_i32 s56, s72, 24
	v_cmp_ge_u32_e64 s9, v12, v150
	v_cmp_eq_u32_e64 s10, v12, v150
	v_mul_u32_u24_e32 v12, 0x210, v12
	v_cmp_ge_u32_e64 s13, v9, v150
	v_cmp_eq_u32_e64 s14, v9, v150
	v_dual_ashrrev_i32 v161, 31, v160 :: v_dual_bitop2_b32 v9, 32, v150 bitop3:0x54
	s_lshl_b32 s58, s72, 5
	s_mul_i32 s62, s22, s78
	v_lshlrev_b32_e32 v0, 4, v0
	v_or_b32_e32 v2, 0xf0, v170
	v_mad_u32_u24 v187, 0x430, v6, v8
	v_mul_i32_i24_e32 v4, 0xffffffd0, v4
	s_ashr_i32 s79, s78, 31
	s_ashr_i32 s51, s50, 31
	;; [unrolled: 1-line block ×7, first 2 shown]
	s_xor_b32 s23, s1, -1
	s_ashr_i32 s63, s62, 31
	v_sub_nc_u64_e32 v[158:159], 0, v[150:151]
	s_cmp_gt_i32 s84, 0
	v_sub_nc_u64_e32 v[162:163], 0, v[156:157]
	v_sub_nc_u64_e32 v[164:165], 0, v[148:149]
	v_add_nc_u32_e32 v171, 0x4700, v170
	v_add_nc_u32_e32 v173, 0x1080, v172
	;; [unrolled: 1-line block ×3, first 2 shown]
	v_cmp_gt_i32_e64 s2, s44, v150
	v_mad_u32_u24 v176, 0x210, v150, v5
	v_dual_add_nc_u32 v178, 16, v177 :: v_dual_add_nc_u32 v179, 32, v177
	v_cmp_gt_u32_e64 s15, 32, v3
	v_cmp_gt_i32_e64 s16, s44, v9
	s_cselect_b32 s86, -1, 0
	s_lshl_b32 s87, s22, 6
	v_add_nc_u32_e32 v149, 0x4300, v170
	v_mad_u32_u24 v186, 0x10c0, v1, v170
	v_cmp_gt_u32_e64 s22, 64, v3
	v_mad_u32_u24 v188, 0x430, v6, v0
	v_mad_u32_u24 v189, 0x430, v6, v2
	v_mad_u32_u24 v190, 0x430, v1, v170
	v_dual_ashrrev_i32 v153, 31, v152 :: v_dual_lshlrev_b32 v150, 4, v150
	v_add_nc_u32_e32 v191, 0x4700, v10
	v_add_nc_u32_e32 v193, v5, v12
	;; [unrolled: 1-line block ×3, first 2 shown]
	s_sub_nc_u64 s[60:61], 0, s[58:59]
	s_sub_nc_u64 s[62:63], 0, s[62:63]
	;; [unrolled: 1-line block ×3, first 2 shown]
	s_and_b32 s88, s0, s23
	s_lshl_b64 s[66:67], s[72:73], 7
	s_sub_nc_u64 s[68:69], 0, s[44:45]
	s_lshl_b64 s[70:71], s[72:73], 4
	s_mul_u64 s[72:73], s[72:73], 0xd0
	s_mov_b64 s[74:75], 0xfffffffffffffdf0
	s_mov_b64 s[76:77], 0xfffffffffffffe00
	s_lshl_b64 s[38:39], s[38:39], 4
	s_lshl_b64 s[30:31], s[30:31], 4
	;; [unrolled: 1-line block ×3, first 2 shown]
	s_branch .LBB58_4
.LBB58_2:                               ;   in Loop: Header=BB58_4 Depth=1
	s_wait_xcnt 0x0
	s_or_b32 exec_lo, exec_lo, s23
.LBB58_3:                               ;   in Loop: Header=BB58_4 Depth=1
	s_add_co_i32 s34, s34, 0x10000
	s_delay_alu instid0(SALU_CYCLE_1)
	s_cmp_lt_u32 s34, s33
	s_cbranch_scc0 .LBB58_137
.LBB58_4:                               ; =>This Loop Header: Depth=1
                                        ;     Child Loop BB58_113 Depth 2
	s_wait_xcnt 0x0
	s_mul_u64 s[80:81], s[26:27], s[34:35]
	s_delay_alu instid0(SALU_CYCLE_1) | instskip(NEXT) | instid1(SALU_CYCLE_1)
	s_lshl_b64 s[80:81], s[80:81], 4
	s_add_nc_u64 s[80:81], s[24:25], s[80:81]
	global_load_b128 v[0:3], v151, s[80:81]
	s_wait_loadcnt 0x0
	v_cmp_neq_f64_e32 vcc_lo, 0, v[0:1]
	v_cmp_neq_f64_e64 s23, 0, v[2:3]
	s_or_b32 s23, vcc_lo, s23
	s_delay_alu instid0(SALU_CYCLE_1)
	s_and_b32 vcc_lo, exec_lo, s23
	s_mov_b32 s23, -1
	s_cbranch_vccz .LBB58_6
; %bb.5:                                ;   in Loop: Header=BB58_4 Depth=1
	s_and_not1_b32 vcc_lo, exec_lo, s23
	s_cbranch_vccnz .LBB58_3
	s_branch .LBB58_7
.LBB58_6:                               ;   in Loop: Header=BB58_4 Depth=1
	s_wait_xcnt 0x0
	s_mul_u64 s[80:81], s[42:43], s[34:35]
	s_delay_alu instid0(SALU_CYCLE_1) | instskip(NEXT) | instid1(SALU_CYCLE_1)
	s_lshl_b64 s[80:81], s[80:81], 4
	s_add_nc_u64 s[80:81], s[40:41], s[80:81]
	global_load_b128 v[0:3], v151, s[80:81]
	s_wait_loadcnt 0x0
	v_cmp_eq_f64_e32 vcc_lo, 1.0, v[0:1]
	v_cmp_eq_f64_e64 s23, 0, v[2:3]
	s_and_b32 s23, vcc_lo, s23
	s_delay_alu instid0(SALU_CYCLE_1)
	s_and_not1_b32 vcc_lo, exec_lo, s23
	s_cbranch_execnz .LBB58_3
.LBB58_7:                               ;   in Loop: Header=BB58_4 Depth=1
	s_wait_xcnt 0x0
	s_lshl_b64 s[80:81], s[34:35], 3
	s_delay_alu instid0(SALU_CYCLE_1)
	s_add_nc_u64 s[82:83], s[36:37], s[80:81]
	s_add_nc_u64 s[80:81], s[28:29], s[80:81]
	s_clause 0x1
	global_load_b64 v[2:3], v151, s[82:83]
	global_load_b64 v[0:1], v151, s[80:81]
	s_wait_loadcnt 0x1
	v_add_nc_u64_e32 v[2:3], s[38:39], v[2:3]
	s_delay_alu instid0(VALU_DEP_1)
	v_lshl_add_u64 v[36:37], v[154:155], 4, v[2:3]
	s_wait_xcnt 0x0
	s_and_saveexec_b32 s23, s0
	s_cbranch_execz .LBB58_12
; %bb.8:                                ;   in Loop: Header=BB58_4 Depth=1
	s_and_saveexec_b32 s80, s1
	s_delay_alu instid0(SALU_CYCLE_1)
	s_xor_b32 s80, exec_lo, s80
; %bb.9:                                ;   in Loop: Header=BB58_4 Depth=1
	v_dual_mov_b32 v2, v151 :: v_dual_mov_b32 v3, v151
	v_dual_mov_b32 v4, v151 :: v_dual_mov_b32 v5, v151
	ds_store_b128 v171, v[2:5]
; %bb.10:                               ;   in Loop: Header=BB58_4 Depth=1
	s_and_not1_saveexec_b32 s80, s80
	s_cbranch_execz .LBB58_12
; %bb.11:                               ;   in Loop: Header=BB58_4 Depth=1
	flat_load_b128 v[2:5], v[36:37]
	s_wait_loadcnt_dscnt 0x0
	ds_store_2addr_b64 v171, v[2:3], v[4:5] offset1:1
.LBB58_12:                              ;   in Loop: Header=BB58_4 Depth=1
	s_wait_xcnt 0x0
	s_or_b32 exec_lo, exec_lo, s23
	s_wait_loadcnt 0x0
	v_add_nc_u64_e32 v[0:1], s[30:31], v[0:1]
	s_and_not1_b32 vcc_lo, exec_lo, s85
	s_mov_b32 s23, -1
	s_delay_alu instid0(VALU_DEP_1) | instskip(NEXT) | instid1(VALU_DEP_1)
	v_add_nc_u64_e32 v[0:1], s[78:79], v[0:1]
	v_lshl_add_u64 v[0:1], v[156:157], 4, v[0:1]
	s_delay_alu instid0(VALU_DEP_1)
	v_lshl_add_u64 v[4:5], s[50:51], 4, v[0:1]
	s_cbranch_vccnz .LBB58_14
; %bb.13:                               ;   in Loop: Header=BB58_4 Depth=1
	flat_load_b128 v[0:3], v[4:5]
	v_lshl_add_u64 v[6:7], s[52:53], 4, v[4:5]
	s_mov_b32 s23, 0
	s_wait_loadcnt_dscnt 0x0
	ds_store_2addr_b64 v172, v[0:1], v[2:3] offset1:1
	flat_load_b128 v[0:3], v[6:7]
	s_wait_xcnt 0x0
	v_add_nc_u64_e32 v[6:7], s[66:67], v[6:7]
	s_wait_loadcnt_dscnt 0x0
	ds_store_2addr_b64 v173, v[0:1], v[2:3] offset1:1
	flat_load_b128 v[0:3], v[6:7]
	s_wait_xcnt 0x0
	v_add_nc_u64_e32 v[6:7], s[66:67], v[6:7]
	s_wait_loadcnt_dscnt 0x0
	ds_store_2addr_b64 v174, v[0:1], v[2:3] offset1:1
	flat_load_b128 v[0:3], v[6:7]
	s_wait_loadcnt_dscnt 0x0
	ds_store_2addr_b64 v175, v[0:1], v[2:3] offset1:1
.LBB58_14:                              ;   in Loop: Header=BB58_4 Depth=1
	s_and_not1_b32 vcc_lo, exec_lo, s23
	s_cbranch_vccnz .LBB58_26
; %bb.15:                               ;   in Loop: Header=BB58_4 Depth=1
	s_wait_xcnt 0x0
	s_and_saveexec_b32 s23, s3
	s_delay_alu instid0(SALU_CYCLE_1)
	s_xor_b32 s23, exec_lo, s23
; %bb.16:                               ;   in Loop: Header=BB58_4 Depth=1
	v_dual_mov_b32 v0, v151 :: v_dual_mov_b32 v1, v151
	v_dual_mov_b32 v2, v151 :: v_dual_mov_b32 v3, v151
	ds_store_b128 v172, v[0:3]
; %bb.17:                               ;   in Loop: Header=BB58_4 Depth=1
	s_or_saveexec_b32 s23, s23
	v_lshl_add_u64 v[0:1], v[158:159], 4, v[4:5]
	s_delay_alu instid0(VALU_DEP_1) | instskip(NEXT) | instid1(VALU_DEP_1)
	v_lshl_add_u64 v[0:1], s[44:45], 4, v[0:1]
	v_add_nc_u64_e32 v[0:1], -16, v[0:1]
	s_delay_alu instid0(VALU_DEP_1)
	v_dual_cndmask_b32 v1, v1, v5, s2 :: v_dual_cndmask_b32 v0, v0, v4, s2
	s_xor_b32 exec_lo, exec_lo, s23
	s_cbranch_execnz .LBB58_119
; %bb.18:                               ;   in Loop: Header=BB58_4 Depth=1
	s_or_b32 exec_lo, exec_lo, s23
	s_and_saveexec_b32 s23, s4
	s_delay_alu instid0(SALU_CYCLE_1)
	s_xor_b32 s23, exec_lo, s23
	s_cbranch_execnz .LBB58_120
.LBB58_19:                              ;   in Loop: Header=BB58_4 Depth=1
	s_and_not1_saveexec_b32 s23, s23
	s_cbranch_execnz .LBB58_121
.LBB58_20:                              ;   in Loop: Header=BB58_4 Depth=1
	s_or_b32 exec_lo, exec_lo, s23
	s_and_saveexec_b32 s23, s5
	s_delay_alu instid0(SALU_CYCLE_1)
	s_xor_b32 s23, exec_lo, s23
	s_cbranch_execnz .LBB58_122
.LBB58_21:                              ;   in Loop: Header=BB58_4 Depth=1
	s_and_not1_saveexec_b32 s23, s23
	s_cbranch_execnz .LBB58_123
.LBB58_22:                              ;   in Loop: Header=BB58_4 Depth=1
	s_or_b32 exec_lo, exec_lo, s23
	s_and_saveexec_b32 s23, s6
	s_delay_alu instid0(SALU_CYCLE_1)
	s_xor_b32 s23, exec_lo, s23
	s_cbranch_execnz .LBB58_124
.LBB58_23:                              ;   in Loop: Header=BB58_4 Depth=1
	s_and_not1_saveexec_b32 s23, s23
	s_cbranch_execz .LBB58_25
.LBB58_24:                              ;   in Loop: Header=BB58_4 Depth=1
	v_lshl_add_u64 v[2:3], s[56:57], 4, v[0:1]
	flat_load_b128 v[6:9], v[2:3]
	s_wait_loadcnt_dscnt 0x0
	ds_store_2addr_b64 v175, v[6:7], v[8:9] offset1:1
.LBB58_25:                              ;   in Loop: Header=BB58_4 Depth=1
	s_wait_xcnt 0x0
	s_or_b32 exec_lo, exec_lo, s23
	v_add_nc_u64_e32 v[0:1], v[0:1], v[150:151]
	s_delay_alu instid0(VALU_DEP_1) | instskip(NEXT) | instid1(VALU_DEP_1)
	v_lshl_add_u64 v[0:1], s[68:69], 4, v[0:1]
	v_add_nc_u64_e32 v[0:1], 16, v[0:1]
	s_delay_alu instid0(VALU_DEP_1)
	v_dual_cndmask_b32 v5, v1, v5, s2 :: v_dual_cndmask_b32 v4, v0, v4, s2
.LBB58_26:                              ;   in Loop: Header=BB58_4 Depth=1
	s_mov_b32 s23, 0
	s_wait_dscnt 0x0
	s_barrier_signal -1
	s_barrier_wait -1
	s_wait_xcnt 0x0
	s_and_saveexec_b32 s80, s7
	s_delay_alu instid0(SALU_CYCLE_1)
	s_xor_b32 s80, exec_lo, s80
; %bb.27:                               ;   in Loop: Header=BB58_4 Depth=1
	s_and_b32 s23, s8, exec_lo
; %bb.28:                               ;   in Loop: Header=BB58_4 Depth=1
	s_or_saveexec_b32 s80, s80
	v_mov_b64_e32 v[2:3], 0
	v_mov_b32_e32 v6, v176
	s_xor_b32 exec_lo, exec_lo, s80
	s_cbranch_execz .LBB58_30
; %bb.29:                               ;   in Loop: Header=BB58_4 Depth=1
	ds_load_b128 v[0:3], v192
	v_mov_b32_e32 v6, v177
	s_or_b32 s23, s23, exec_lo
	s_wait_dscnt 0x0
	v_xor_b32_e32 v3, 0x80000000, v3
	ds_store_b64 v177, v[0:1]
.LBB58_30:                              ;   in Loop: Header=BB58_4 Depth=1
	s_or_b32 exec_lo, exec_lo, s80
	s_and_saveexec_b32 s80, s23
; %bb.31:                               ;   in Loop: Header=BB58_4 Depth=1
	ds_store_b64 v6, v[2:3] offset:8
; %bb.32:                               ;   in Loop: Header=BB58_4 Depth=1
	s_or_b32 exec_lo, exec_lo, s80
	s_mov_b32 s23, 0
	s_and_saveexec_b32 s80, s9
	s_delay_alu instid0(SALU_CYCLE_1)
	s_xor_b32 s80, exec_lo, s80
; %bb.33:                               ;   in Loop: Header=BB58_4 Depth=1
	s_and_b32 s23, s10, exec_lo
; %bb.34:                               ;   in Loop: Header=BB58_4 Depth=1
	s_or_saveexec_b32 s80, s80
	v_mov_b64_e32 v[2:3], 0
	v_mov_b32_e32 v6, v176
	s_xor_b32 exec_lo, exec_lo, s80
	s_cbranch_execz .LBB58_36
; %bb.35:                               ;   in Loop: Header=BB58_4 Depth=1
	ds_load_b128 v[0:3], v193
	v_mov_b32_e32 v6, v178
	s_or_b32 s23, s23, exec_lo
	s_wait_dscnt 0x0
	v_xor_b32_e32 v3, 0x80000000, v3
	ds_store_b64 v178, v[0:1]
.LBB58_36:                              ;   in Loop: Header=BB58_4 Depth=1
	s_or_b32 exec_lo, exec_lo, s80
	s_and_saveexec_b32 s80, s23
; %bb.37:                               ;   in Loop: Header=BB58_4 Depth=1
	ds_store_b64 v6, v[2:3] offset:8
; %bb.38:                               ;   in Loop: Header=BB58_4 Depth=1
	s_or_b32 exec_lo, exec_lo, s80
	s_mov_b32 s23, 0
	s_and_saveexec_b32 s80, s11
	s_delay_alu instid0(SALU_CYCLE_1)
	s_xor_b32 s80, exec_lo, s80
; %bb.39:                               ;   in Loop: Header=BB58_4 Depth=1
	s_and_b32 s23, s12, exec_lo
; %bb.40:                               ;   in Loop: Header=BB58_4 Depth=1
	s_or_saveexec_b32 s80, s80
	v_mov_b64_e32 v[2:3], 0
	v_mov_b32_e32 v6, v176
	s_xor_b32 exec_lo, exec_lo, s80
	s_cbranch_execz .LBB58_42
; %bb.41:                               ;   in Loop: Header=BB58_4 Depth=1
	ds_load_b128 v[0:3], v193 offset:528
	v_mov_b32_e32 v6, v179
	s_or_b32 s23, s23, exec_lo
	s_wait_dscnt 0x0
	v_xor_b32_e32 v3, 0x80000000, v3
	ds_store_b64 v179, v[0:1]
.LBB58_42:                              ;   in Loop: Header=BB58_4 Depth=1
	s_or_b32 exec_lo, exec_lo, s80
	s_and_saveexec_b32 s80, s23
; %bb.43:                               ;   in Loop: Header=BB58_4 Depth=1
	ds_store_b64 v6, v[2:3] offset:8
; %bb.44:                               ;   in Loop: Header=BB58_4 Depth=1
	s_or_b32 exec_lo, exec_lo, s80
	s_mov_b32 s23, 0
	s_and_saveexec_b32 s80, s13
	s_delay_alu instid0(SALU_CYCLE_1)
	s_xor_b32 s80, exec_lo, s80
; %bb.45:                               ;   in Loop: Header=BB58_4 Depth=1
	s_and_b32 s23, s14, exec_lo
; %bb.46:                               ;   in Loop: Header=BB58_4 Depth=1
	s_or_saveexec_b32 s80, s80
	v_mov_b64_e32 v[2:3], 0
	v_mov_b32_e32 v6, v176
	s_xor_b32 exec_lo, exec_lo, s80
	s_cbranch_execz .LBB58_48
; %bb.47:                               ;   in Loop: Header=BB58_4 Depth=1
	ds_load_b128 v[0:3], v193 offset:1056
	v_mov_b32_e32 v6, v181
	s_or_b32 s23, s23, exec_lo
	s_wait_dscnt 0x0
	v_xor_b32_e32 v3, 0x80000000, v3
	ds_store_b64 v181, v[0:1]
.LBB58_48:                              ;   in Loop: Header=BB58_4 Depth=1
	s_or_b32 exec_lo, exec_lo, s80
	s_and_saveexec_b32 s80, s23
; %bb.49:                               ;   in Loop: Header=BB58_4 Depth=1
	ds_store_b64 v6, v[2:3] offset:8
; %bb.50:                               ;   in Loop: Header=BB58_4 Depth=1
	s_or_b32 exec_lo, exec_lo, s80
	s_wait_dscnt 0x0
	s_barrier_signal -1
	s_barrier_wait -1
	ds_load_b128 v[0:3], v182
	ds_load_b128 v[6:9], v182 offset:16
	ds_load_b128 v[10:13], v182 offset:32
	;; [unrolled: 1-line block ×3, first 2 shown]
	ds_load_b128 v[18:21], v192
	s_wait_dscnt 0x0
	v_mul_f64_e32 v[22:23], v[2:3], v[20:21]
	v_mul_f64_e32 v[20:21], v[0:1], v[20:21]
	s_delay_alu instid0(VALU_DEP_2) | instskip(NEXT) | instid1(VALU_DEP_2)
	v_fma_f64 v[22:23], v[0:1], v[18:19], -v[22:23]
	v_fmac_f64_e32 v[20:21], v[2:3], v[18:19]
	v_mov_b64_e32 v[0:1], 0
	s_delay_alu instid0(VALU_DEP_3) | instskip(NEXT) | instid1(VALU_DEP_3)
	v_add_f64_e32 v[2:3], 0, v[22:23]
	v_add_f64_e32 v[22:23], 0, v[20:21]
	ds_load_b128 v[18:21], v193
	s_wait_dscnt 0x0
	v_mul_f64_e32 v[24:25], v[8:9], v[20:21]
	s_delay_alu instid0(VALU_DEP_1) | instskip(SKIP_1) | instid1(VALU_DEP_2)
	v_fma_f64 v[24:25], v[6:7], v[18:19], -v[24:25]
	v_mul_f64_e32 v[6:7], v[6:7], v[20:21]
	v_add_f64_e32 v[2:3], v[2:3], v[24:25]
	s_delay_alu instid0(VALU_DEP_2) | instskip(NEXT) | instid1(VALU_DEP_1)
	v_fmac_f64_e32 v[6:7], v[8:9], v[18:19]
	v_add_f64_e32 v[18:19], v[22:23], v[6:7]
	ds_load_b128 v[6:9], v193 offset:528
	s_wait_dscnt 0x0
	v_mul_f64_e32 v[20:21], v[12:13], v[8:9]
	v_mul_f64_e32 v[8:9], v[10:11], v[8:9]
	s_delay_alu instid0(VALU_DEP_2) | instskip(NEXT) | instid1(VALU_DEP_2)
	v_fma_f64 v[20:21], v[10:11], v[6:7], -v[20:21]
	v_fmac_f64_e32 v[8:9], v[12:13], v[6:7]
	s_delay_alu instid0(VALU_DEP_2) | instskip(NEXT) | instid1(VALU_DEP_2)
	v_add_f64_e32 v[2:3], v[2:3], v[20:21]
	v_add_f64_e32 v[10:11], v[18:19], v[8:9]
	ds_load_b128 v[6:9], v193 offset:1056
	s_wait_dscnt 0x0
	s_barrier_signal -1
	s_barrier_wait -1
	v_mul_f64_e32 v[12:13], v[16:17], v[8:9]
	v_mul_f64_e32 v[8:9], v[14:15], v[8:9]
	s_delay_alu instid0(VALU_DEP_2) | instskip(NEXT) | instid1(VALU_DEP_2)
	v_fma_f64 v[12:13], v[14:15], v[6:7], -v[12:13]
	v_fmac_f64_e32 v[8:9], v[16:17], v[6:7]
	s_delay_alu instid0(VALU_DEP_2) | instskip(NEXT) | instid1(VALU_DEP_2)
	v_add_f64_e32 v[6:7], v[2:3], v[12:13]
	v_add_f64_e32 v[8:9], v[10:11], v[8:9]
	v_mov_b64_e32 v[2:3], 0
	ds_store_b128 v183, v[6:9]
	s_wait_dscnt 0x0
	s_barrier_signal -1
	s_barrier_wait -1
	s_and_saveexec_b32 s23, s15
	s_cbranch_execz .LBB58_52
; %bb.51:                               ;   in Loop: Header=BB58_4 Depth=1
	ds_load_b128 v[0:3], v180
	ds_load_b128 v[6:9], v180 offset:16
	s_wait_dscnt 0x0
	v_add_f64_e32 v[10:11], v[6:7], v[0:1]
	v_add_f64_e32 v[12:13], v[8:9], v[2:3]
	ds_load_b128 v[0:3], v180 offset:32
	ds_load_b128 v[6:9], v180 offset:48
	s_wait_dscnt 0x1
	v_add_f64_e32 v[0:1], v[10:11], v[0:1]
	v_add_f64_e32 v[2:3], v[12:13], v[2:3]
	s_wait_dscnt 0x0
	s_delay_alu instid0(VALU_DEP_2) | instskip(NEXT) | instid1(VALU_DEP_2)
	v_add_f64_e32 v[10:11], v[0:1], v[6:7]
	v_add_f64_e32 v[12:13], v[2:3], v[8:9]
	ds_load_b128 v[0:3], v180 offset:64
	ds_load_b128 v[6:9], v180 offset:80
	s_wait_dscnt 0x1
	v_add_f64_e32 v[0:1], v[10:11], v[0:1]
	v_add_f64_e32 v[2:3], v[12:13], v[2:3]
	s_wait_dscnt 0x0
	s_delay_alu instid0(VALU_DEP_2) | instskip(NEXT) | instid1(VALU_DEP_2)
	;; [unrolled: 9-line block ×3, first 2 shown]
	v_add_f64_e32 v[0:1], v[0:1], v[6:7]
	v_add_f64_e32 v[2:3], v[2:3], v[8:9]
.LBB58_52:                              ;   in Loop: Header=BB58_4 Depth=1
	s_or_b32 exec_lo, exec_lo, s23
	v_lshl_add_u64 v[4:5], s[58:59], 4, v[4:5]
	s_and_not1_b32 vcc_lo, exec_lo, s85
	s_mov_b32 s23, -1
	s_barrier_signal -1
	s_delay_alu instid0(VALU_DEP_1)
	v_add_nc_u64_e32 v[8:9], 0x200, v[4:5]
	s_barrier_wait -1
	s_cbranch_vccnz .LBB58_54
; %bb.53:                               ;   in Loop: Header=BB58_4 Depth=1
	flat_load_b128 v[10:13], v[8:9]
	v_lshl_add_u64 v[6:7], s[52:53], 4, v[4:5]
	s_mov_b32 s23, 0
	s_wait_loadcnt_dscnt 0x0
	ds_store_2addr_b64 v172, v[10:11], v[12:13] offset1:1
	flat_load_b128 v[10:13], v[6:7] offset:512
	s_wait_xcnt 0x0
	v_add_nc_u64_e32 v[6:7], s[66:67], v[6:7]
	s_wait_loadcnt_dscnt 0x0
	ds_store_2addr_b64 v173, v[10:11], v[12:13] offset1:1
	flat_load_b128 v[10:13], v[6:7] offset:512
	s_wait_xcnt 0x0
	v_add_nc_u64_e32 v[6:7], s[66:67], v[6:7]
	s_wait_loadcnt_dscnt 0x0
	ds_store_2addr_b64 v174, v[10:11], v[12:13] offset1:1
	flat_load_b128 v[10:13], v[6:7] offset:512
	s_wait_loadcnt_dscnt 0x0
	ds_store_2addr_b64 v175, v[10:11], v[12:13] offset1:1
.LBB58_54:                              ;   in Loop: Header=BB58_4 Depth=1
	s_and_not1_b32 vcc_lo, exec_lo, s23
	s_cbranch_vccnz .LBB58_66
; %bb.55:                               ;   in Loop: Header=BB58_4 Depth=1
	s_wait_xcnt 0x0
	s_and_saveexec_b32 s23, s17
	s_delay_alu instid0(SALU_CYCLE_1)
	s_xor_b32 s23, exec_lo, s23
; %bb.56:                               ;   in Loop: Header=BB58_4 Depth=1
	v_dual_mov_b32 v10, v151 :: v_dual_mov_b32 v11, v151
	v_dual_mov_b32 v12, v151 :: v_dual_mov_b32 v13, v151
	ds_store_b128 v172, v[10:13]
; %bb.57:                               ;   in Loop: Header=BB58_4 Depth=1
	s_or_saveexec_b32 s23, s23
	v_lshl_add_u64 v[4:5], v[158:159], 4, v[4:5]
	s_delay_alu instid0(VALU_DEP_1) | instskip(NEXT) | instid1(VALU_DEP_1)
	v_lshl_add_u64 v[4:5], s[44:45], 4, v[4:5]
	v_add_nc_u64_e32 v[4:5], -16, v[4:5]
	s_delay_alu instid0(VALU_DEP_1)
	v_dual_cndmask_b32 v5, v5, v9, s16 :: v_dual_cndmask_b32 v4, v4, v8, s16
	s_xor_b32 exec_lo, exec_lo, s23
	s_cbranch_execnz .LBB58_125
; %bb.58:                               ;   in Loop: Header=BB58_4 Depth=1
	s_or_b32 exec_lo, exec_lo, s23
	s_and_saveexec_b32 s23, s18
	s_delay_alu instid0(SALU_CYCLE_1)
	s_xor_b32 s23, exec_lo, s23
	s_cbranch_execnz .LBB58_126
.LBB58_59:                              ;   in Loop: Header=BB58_4 Depth=1
	s_and_not1_saveexec_b32 s23, s23
	s_cbranch_execnz .LBB58_127
.LBB58_60:                              ;   in Loop: Header=BB58_4 Depth=1
	s_or_b32 exec_lo, exec_lo, s23
	s_and_saveexec_b32 s23, s19
	s_delay_alu instid0(SALU_CYCLE_1)
	s_xor_b32 s23, exec_lo, s23
	s_cbranch_execnz .LBB58_128
.LBB58_61:                              ;   in Loop: Header=BB58_4 Depth=1
	s_and_not1_saveexec_b32 s23, s23
	s_cbranch_execnz .LBB58_129
.LBB58_62:                              ;   in Loop: Header=BB58_4 Depth=1
	s_or_b32 exec_lo, exec_lo, s23
	s_and_saveexec_b32 s23, s20
	s_delay_alu instid0(SALU_CYCLE_1)
	s_xor_b32 s23, exec_lo, s23
	s_cbranch_execnz .LBB58_130
.LBB58_63:                              ;   in Loop: Header=BB58_4 Depth=1
	s_and_not1_saveexec_b32 s23, s23
	s_cbranch_execz .LBB58_65
.LBB58_64:                              ;   in Loop: Header=BB58_4 Depth=1
	v_lshl_add_u64 v[6:7], s[56:57], 4, v[4:5]
	flat_load_b128 v[10:13], v[6:7]
	s_wait_loadcnt_dscnt 0x0
	ds_store_2addr_b64 v175, v[10:11], v[12:13] offset1:1
.LBB58_65:                              ;   in Loop: Header=BB58_4 Depth=1
	s_wait_xcnt 0x0
	s_or_b32 exec_lo, exec_lo, s23
	v_add_nc_u64_e32 v[4:5], v[4:5], v[150:151]
	s_delay_alu instid0(VALU_DEP_1) | instskip(NEXT) | instid1(VALU_DEP_1)
	v_lshl_add_u64 v[4:5], s[68:69], 4, v[4:5]
	v_add_nc_u64_e32 v[4:5], 0x210, v[4:5]
	s_delay_alu instid0(VALU_DEP_1)
	v_dual_cndmask_b32 v9, v5, v9, s16 :: v_dual_cndmask_b32 v8, v4, v8, s16
.LBB58_66:                              ;   in Loop: Header=BB58_4 Depth=1
	s_mov_b32 s23, 0
	s_wait_dscnt 0x0
	s_barrier_signal -1
	s_barrier_wait -1
	s_wait_xcnt 0x0
	s_and_saveexec_b32 s80, s7
	s_delay_alu instid0(SALU_CYCLE_1)
	s_xor_b32 s80, exec_lo, s80
; %bb.67:                               ;   in Loop: Header=BB58_4 Depth=1
	s_and_b32 s23, s8, exec_lo
; %bb.68:                               ;   in Loop: Header=BB58_4 Depth=1
	s_or_saveexec_b32 s80, s80
	v_mov_b64_e32 v[6:7], 0
	v_mov_b32_e32 v10, v176
	s_xor_b32 exec_lo, exec_lo, s80
	s_cbranch_execz .LBB58_70
; %bb.69:                               ;   in Loop: Header=BB58_4 Depth=1
	ds_load_b128 v[4:7], v192
	v_mov_b32_e32 v10, v177
	s_or_b32 s23, s23, exec_lo
	s_wait_dscnt 0x0
	v_xor_b32_e32 v7, 0x80000000, v7
	ds_store_b64 v177, v[4:5]
.LBB58_70:                              ;   in Loop: Header=BB58_4 Depth=1
	s_or_b32 exec_lo, exec_lo, s80
	s_and_saveexec_b32 s80, s23
; %bb.71:                               ;   in Loop: Header=BB58_4 Depth=1
	ds_store_b64 v10, v[6:7] offset:8
; %bb.72:                               ;   in Loop: Header=BB58_4 Depth=1
	s_or_b32 exec_lo, exec_lo, s80
	s_mov_b32 s23, 0
	s_and_saveexec_b32 s80, s9
	s_delay_alu instid0(SALU_CYCLE_1)
	s_xor_b32 s80, exec_lo, s80
; %bb.73:                               ;   in Loop: Header=BB58_4 Depth=1
	s_and_b32 s23, s10, exec_lo
; %bb.74:                               ;   in Loop: Header=BB58_4 Depth=1
	s_or_saveexec_b32 s80, s80
	v_mov_b64_e32 v[6:7], 0
	v_mov_b32_e32 v10, v176
	s_xor_b32 exec_lo, exec_lo, s80
	s_cbranch_execz .LBB58_76
; %bb.75:                               ;   in Loop: Header=BB58_4 Depth=1
	ds_load_b128 v[4:7], v193
	v_mov_b32_e32 v10, v178
	s_or_b32 s23, s23, exec_lo
	s_wait_dscnt 0x0
	v_xor_b32_e32 v7, 0x80000000, v7
	ds_store_b64 v178, v[4:5]
.LBB58_76:                              ;   in Loop: Header=BB58_4 Depth=1
	s_or_b32 exec_lo, exec_lo, s80
	s_and_saveexec_b32 s80, s23
; %bb.77:                               ;   in Loop: Header=BB58_4 Depth=1
	ds_store_b64 v10, v[6:7] offset:8
; %bb.78:                               ;   in Loop: Header=BB58_4 Depth=1
	s_or_b32 exec_lo, exec_lo, s80
	s_mov_b32 s23, 0
	s_and_saveexec_b32 s80, s11
	s_delay_alu instid0(SALU_CYCLE_1)
	s_xor_b32 s80, exec_lo, s80
; %bb.79:                               ;   in Loop: Header=BB58_4 Depth=1
	s_and_b32 s23, s12, exec_lo
; %bb.80:                               ;   in Loop: Header=BB58_4 Depth=1
	s_or_saveexec_b32 s80, s80
	v_mov_b64_e32 v[6:7], 0
	v_mov_b32_e32 v10, v176
	s_xor_b32 exec_lo, exec_lo, s80
	s_cbranch_execz .LBB58_82
; %bb.81:                               ;   in Loop: Header=BB58_4 Depth=1
	ds_load_b128 v[4:7], v193 offset:528
	v_mov_b32_e32 v10, v179
	s_or_b32 s23, s23, exec_lo
	s_wait_dscnt 0x0
	v_xor_b32_e32 v7, 0x80000000, v7
	ds_store_b64 v179, v[4:5]
.LBB58_82:                              ;   in Loop: Header=BB58_4 Depth=1
	s_or_b32 exec_lo, exec_lo, s80
	s_and_saveexec_b32 s80, s23
; %bb.83:                               ;   in Loop: Header=BB58_4 Depth=1
	ds_store_b64 v10, v[6:7] offset:8
; %bb.84:                               ;   in Loop: Header=BB58_4 Depth=1
	s_or_b32 exec_lo, exec_lo, s80
	s_mov_b32 s23, 0
	s_and_saveexec_b32 s80, s13
	s_delay_alu instid0(SALU_CYCLE_1)
	s_xor_b32 s80, exec_lo, s80
; %bb.85:                               ;   in Loop: Header=BB58_4 Depth=1
	s_and_b32 s23, s14, exec_lo
; %bb.86:                               ;   in Loop: Header=BB58_4 Depth=1
	s_or_saveexec_b32 s80, s80
	v_mov_b64_e32 v[6:7], 0
	v_mov_b32_e32 v10, v176
	s_xor_b32 exec_lo, exec_lo, s80
	s_cbranch_execz .LBB58_88
; %bb.87:                               ;   in Loop: Header=BB58_4 Depth=1
	ds_load_b128 v[4:7], v193 offset:1056
	v_mov_b32_e32 v10, v181
	s_or_b32 s23, s23, exec_lo
	s_wait_dscnt 0x0
	v_xor_b32_e32 v7, 0x80000000, v7
	ds_store_b64 v181, v[4:5]
.LBB58_88:                              ;   in Loop: Header=BB58_4 Depth=1
	s_or_b32 exec_lo, exec_lo, s80
	s_and_saveexec_b32 s80, s23
; %bb.89:                               ;   in Loop: Header=BB58_4 Depth=1
	ds_store_b64 v10, v[6:7] offset:8
; %bb.90:                               ;   in Loop: Header=BB58_4 Depth=1
	s_or_b32 exec_lo, exec_lo, s80
	s_wait_dscnt 0x0
	s_barrier_signal -1
	s_barrier_wait -1
	ds_load_b128 v[4:7], v182 offset:512
	ds_load_b128 v[10:13], v182 offset:528
	;; [unrolled: 1-line block ×4, first 2 shown]
	ds_load_b128 v[22:25], v192
	s_wait_dscnt 0x0
	v_mul_f64_e32 v[26:27], v[6:7], v[24:25]
	s_delay_alu instid0(VALU_DEP_1) | instskip(SKIP_1) | instid1(VALU_DEP_1)
	v_fma_f64 v[26:27], v[4:5], v[22:23], -v[26:27]
	v_mul_f64_e32 v[4:5], v[4:5], v[24:25]
	v_fmac_f64_e32 v[4:5], v[6:7], v[22:23]
	s_delay_alu instid0(VALU_DEP_3) | instskip(NEXT) | instid1(VALU_DEP_2)
	v_add_f64_e32 v[22:23], 0, v[26:27]
	v_add_f64_e32 v[24:25], 0, v[4:5]
	ds_load_b128 v[4:7], v193
	s_wait_dscnt 0x0
	v_mul_f64_e32 v[26:27], v[12:13], v[6:7]
	v_mul_f64_e32 v[6:7], v[10:11], v[6:7]
	s_delay_alu instid0(VALU_DEP_2) | instskip(NEXT) | instid1(VALU_DEP_2)
	v_fma_f64 v[26:27], v[10:11], v[4:5], -v[26:27]
	v_fmac_f64_e32 v[6:7], v[12:13], v[4:5]
	s_delay_alu instid0(VALU_DEP_2) | instskip(NEXT) | instid1(VALU_DEP_2)
	v_add_f64_e32 v[10:11], v[22:23], v[26:27]
	v_add_f64_e32 v[12:13], v[24:25], v[6:7]
	ds_load_b128 v[4:7], v193 offset:528
	s_wait_dscnt 0x0
	v_mul_f64_e32 v[22:23], v[16:17], v[6:7]
	v_mul_f64_e32 v[6:7], v[14:15], v[6:7]
	s_delay_alu instid0(VALU_DEP_2) | instskip(NEXT) | instid1(VALU_DEP_2)
	v_fma_f64 v[22:23], v[14:15], v[4:5], -v[22:23]
	v_fmac_f64_e32 v[6:7], v[16:17], v[4:5]
	s_delay_alu instid0(VALU_DEP_2) | instskip(NEXT) | instid1(VALU_DEP_2)
	v_add_f64_e32 v[10:11], v[10:11], v[22:23]
	v_add_f64_e32 v[12:13], v[12:13], v[6:7]
	ds_load_b128 v[4:7], v193 offset:1056
	s_wait_dscnt 0x0
	s_barrier_signal -1
	s_barrier_wait -1
	v_mul_f64_e32 v[14:15], v[20:21], v[6:7]
	v_mul_f64_e32 v[6:7], v[18:19], v[6:7]
	s_delay_alu instid0(VALU_DEP_2) | instskip(NEXT) | instid1(VALU_DEP_2)
	v_fma_f64 v[14:15], v[18:19], v[4:5], -v[14:15]
	v_fmac_f64_e32 v[6:7], v[20:21], v[4:5]
	s_delay_alu instid0(VALU_DEP_2) | instskip(NEXT) | instid1(VALU_DEP_2)
	v_add_f64_e32 v[4:5], v[10:11], v[14:15]
	v_add_f64_e32 v[6:7], v[12:13], v[6:7]
	ds_store_b128 v183, v[4:7]
	s_wait_dscnt 0x0
	s_barrier_signal -1
	s_barrier_wait -1
	s_and_saveexec_b32 s23, s21
	s_cbranch_execz .LBB58_92
; %bb.91:                               ;   in Loop: Header=BB58_4 Depth=1
	ds_load_b128 v[0:3], v180
	ds_load_b128 v[4:7], v180 offset:16
	s_wait_dscnt 0x0
	v_add_f64_e32 v[10:11], v[4:5], v[0:1]
	v_add_f64_e32 v[12:13], v[6:7], v[2:3]
	ds_load_b128 v[0:3], v180 offset:32
	ds_load_b128 v[4:7], v180 offset:48
	s_wait_dscnt 0x1
	v_add_f64_e32 v[0:1], v[10:11], v[0:1]
	v_add_f64_e32 v[2:3], v[12:13], v[2:3]
	s_wait_dscnt 0x0
	s_delay_alu instid0(VALU_DEP_2) | instskip(NEXT) | instid1(VALU_DEP_2)
	v_add_f64_e32 v[10:11], v[0:1], v[4:5]
	v_add_f64_e32 v[12:13], v[2:3], v[6:7]
	ds_load_b128 v[0:3], v180 offset:64
	ds_load_b128 v[4:7], v180 offset:80
	s_wait_dscnt 0x1
	v_add_f64_e32 v[0:1], v[10:11], v[0:1]
	v_add_f64_e32 v[2:3], v[12:13], v[2:3]
	s_wait_dscnt 0x0
	s_delay_alu instid0(VALU_DEP_2) | instskip(NEXT) | instid1(VALU_DEP_2)
	;; [unrolled: 9-line block ×3, first 2 shown]
	v_add_f64_e32 v[0:1], v[0:1], v[4:5]
	v_add_f64_e32 v[2:3], v[2:3], v[6:7]
.LBB58_92:                              ;   in Loop: Header=BB58_4 Depth=1
	s_or_b32 exec_lo, exec_lo, s23
	v_lshl_add_u64 v[38:39], s[60:61], 4, v[8:9]
	s_and_not1_b32 vcc_lo, exec_lo, s85
	s_mov_b32 s23, -1
	s_barrier_signal -1
	s_barrier_wait -1
	s_cbranch_vccnz .LBB58_94
; %bb.93:                               ;   in Loop: Header=BB58_4 Depth=1
	flat_load_b128 v[4:7], v[38:39]
	v_lshl_add_u64 v[8:9], s[52:53], 4, v[38:39]
	s_mov_b32 s23, 0
	s_wait_loadcnt_dscnt 0x0
	ds_store_2addr_b64 v172, v[4:5], v[6:7] offset1:1
	flat_load_b128 v[4:7], v[8:9]
	s_wait_xcnt 0x0
	v_add_nc_u64_e32 v[8:9], s[66:67], v[8:9]
	s_wait_loadcnt_dscnt 0x0
	ds_store_2addr_b64 v173, v[4:5], v[6:7] offset1:1
	flat_load_b128 v[4:7], v[8:9]
	s_wait_xcnt 0x0
	v_add_nc_u64_e32 v[8:9], s[66:67], v[8:9]
	s_wait_loadcnt_dscnt 0x0
	ds_store_2addr_b64 v174, v[4:5], v[6:7] offset1:1
	flat_load_b128 v[4:7], v[8:9]
	s_wait_loadcnt_dscnt 0x0
	ds_store_2addr_b64 v175, v[4:5], v[6:7] offset1:1
.LBB58_94:                              ;   in Loop: Header=BB58_4 Depth=1
	s_and_not1_b32 vcc_lo, exec_lo, s23
	s_cbranch_vccnz .LBB58_106
; %bb.95:                               ;   in Loop: Header=BB58_4 Depth=1
	s_wait_xcnt 0x0
	s_and_saveexec_b32 s23, s3
	s_delay_alu instid0(SALU_CYCLE_1)
	s_xor_b32 s23, exec_lo, s23
; %bb.96:                               ;   in Loop: Header=BB58_4 Depth=1
	v_dual_mov_b32 v4, v151 :: v_dual_mov_b32 v5, v151
	v_dual_mov_b32 v6, v151 :: v_dual_mov_b32 v7, v151
	ds_store_b128 v172, v[4:7]
; %bb.97:                               ;   in Loop: Header=BB58_4 Depth=1
	s_or_saveexec_b32 s23, s23
	v_lshl_add_u64 v[4:5], v[158:159], 4, v[38:39]
	s_delay_alu instid0(VALU_DEP_1) | instskip(NEXT) | instid1(VALU_DEP_1)
	v_lshl_add_u64 v[4:5], s[44:45], 4, v[4:5]
	v_add_nc_u64_e32 v[4:5], s[74:75], v[4:5]
	s_delay_alu instid0(VALU_DEP_1)
	v_dual_cndmask_b32 v5, v5, v39, s16 :: v_dual_cndmask_b32 v4, v4, v38, s16
	s_xor_b32 exec_lo, exec_lo, s23
	s_cbranch_execnz .LBB58_131
; %bb.98:                               ;   in Loop: Header=BB58_4 Depth=1
	s_or_b32 exec_lo, exec_lo, s23
	s_and_saveexec_b32 s23, s4
	s_delay_alu instid0(SALU_CYCLE_1)
	s_xor_b32 s23, exec_lo, s23
	s_cbranch_execnz .LBB58_132
.LBB58_99:                              ;   in Loop: Header=BB58_4 Depth=1
	s_and_not1_saveexec_b32 s23, s23
	s_cbranch_execnz .LBB58_133
.LBB58_100:                             ;   in Loop: Header=BB58_4 Depth=1
	s_or_b32 exec_lo, exec_lo, s23
	s_and_saveexec_b32 s23, s5
	s_delay_alu instid0(SALU_CYCLE_1)
	s_xor_b32 s23, exec_lo, s23
	s_cbranch_execnz .LBB58_134
.LBB58_101:                             ;   in Loop: Header=BB58_4 Depth=1
	s_and_not1_saveexec_b32 s23, s23
	s_cbranch_execnz .LBB58_135
.LBB58_102:                             ;   in Loop: Header=BB58_4 Depth=1
	s_or_b32 exec_lo, exec_lo, s23
	s_and_saveexec_b32 s23, s6
	s_delay_alu instid0(SALU_CYCLE_1)
	s_xor_b32 s23, exec_lo, s23
	s_cbranch_execnz .LBB58_136
.LBB58_103:                             ;   in Loop: Header=BB58_4 Depth=1
	s_and_not1_saveexec_b32 s23, s23
	s_cbranch_execz .LBB58_105
.LBB58_104:                             ;   in Loop: Header=BB58_4 Depth=1
	v_lshl_add_u64 v[6:7], s[56:57], 4, v[4:5]
	flat_load_b128 v[6:9], v[6:7]
	s_wait_loadcnt_dscnt 0x0
	ds_store_2addr_b64 v175, v[6:7], v[8:9] offset1:1
.LBB58_105:                             ;   in Loop: Header=BB58_4 Depth=1
	s_wait_xcnt 0x0
	s_or_b32 exec_lo, exec_lo, s23
	v_add_nc_u64_e32 v[4:5], v[4:5], v[150:151]
	s_delay_alu instid0(VALU_DEP_1) | instskip(NEXT) | instid1(VALU_DEP_1)
	v_lshl_add_u64 v[4:5], s[68:69], 4, v[4:5]
	v_add_nc_u64_e32 v[4:5], 0x210, v[4:5]
	s_delay_alu instid0(VALU_DEP_1)
	v_dual_cndmask_b32 v39, v5, v39, s16 :: v_dual_cndmask_b32 v38, v4, v38, s16
.LBB58_106:                             ;   in Loop: Header=BB58_4 Depth=1
	s_wait_dscnt 0x0
	s_barrier_signal -1
	s_barrier_wait -1
	ds_load_b128 v[4:7], v194
	s_wait_xcnt 0x0
	ds_load_b128 v[8:11], v172
	ds_load_b128 v[12:15], v173
	ds_load_b128 v[16:19], v191 offset:384
	ds_load_b128 v[20:23], v191 offset:128
	;; [unrolled: 1-line block ×3, first 2 shown]
	s_wait_dscnt 0x4
	v_mul_f64_e32 v[28:29], v[6:7], v[10:11]
	v_mul_f64_e32 v[30:31], v[4:5], v[10:11]
	s_wait_dscnt 0x1
	v_mul_f64_e32 v[32:33], v[22:23], v[14:15]
	v_mul_f64_e32 v[14:15], v[20:21], v[14:15]
	s_delay_alu instid0(VALU_DEP_4) | instskip(NEXT) | instid1(VALU_DEP_4)
	v_fma_f64 v[28:29], v[4:5], v[8:9], -v[28:29]
	v_fmac_f64_e32 v[30:31], v[6:7], v[8:9]
	ds_load_b128 v[4:7], v174
	ds_load_b128 v[8:11], v175
	v_fma_f64 v[20:21], v[20:21], v[12:13], -v[32:33]
	v_fmac_f64_e32 v[14:15], v[22:23], v[12:13]
	s_wait_dscnt 0x1
	v_mul_f64_e32 v[34:35], v[26:27], v[6:7]
	v_mul_f64_e32 v[6:7], v[24:25], v[6:7]
	v_add_f64_e32 v[12:13], 0, v[28:29]
	v_add_f64_e32 v[22:23], 0, v[30:31]
	s_wait_dscnt 0x0
	v_mul_f64_e32 v[28:29], v[18:19], v[10:11]
	v_mul_f64_e32 v[10:11], v[16:17], v[10:11]
	v_fma_f64 v[24:25], v[24:25], v[4:5], -v[34:35]
	v_fmac_f64_e32 v[6:7], v[26:27], v[4:5]
	v_add_f64_e32 v[4:5], v[12:13], v[20:21]
	v_add_f64_e32 v[12:13], v[22:23], v[14:15]
	v_fma_f64 v[14:15], v[16:17], v[8:9], -v[28:29]
	v_fmac_f64_e32 v[10:11], v[18:19], v[8:9]
	s_delay_alu instid0(VALU_DEP_4) | instskip(NEXT) | instid1(VALU_DEP_4)
	v_add_f64_e32 v[4:5], v[4:5], v[24:25]
	v_add_f64_e32 v[6:7], v[12:13], v[6:7]
	s_delay_alu instid0(VALU_DEP_2) | instskip(NEXT) | instid1(VALU_DEP_2)
	v_add_f64_e32 v[40:41], v[4:5], v[14:15]
	v_add_f64_e32 v[42:43], v[6:7], v[10:11]
	ds_load_b128 v[28:31], v184
	ds_load_b128 v[20:23], v184 offset:16
	ds_load_b128 v[8:11], v184 offset:32
	;; [unrolled: 1-line block ×7, first 2 shown]
	s_wait_dscnt 0x0
	s_barrier_signal -1
	s_barrier_wait -1
	ds_store_b128 v183, v[40:43]
	s_wait_dscnt 0x0
	s_barrier_signal -1
	s_barrier_wait -1
	s_and_saveexec_b32 s23, s21
	s_cbranch_execz .LBB58_108
; %bb.107:                              ;   in Loop: Header=BB58_4 Depth=1
	ds_load_b128 v[40:43], v180
	ds_load_b128 v[44:47], v180 offset:16
	s_wait_dscnt 0x1
	v_add_f64_e32 v[0:1], v[0:1], v[40:41]
	v_add_f64_e32 v[2:3], v[2:3], v[42:43]
	s_wait_dscnt 0x0
	s_delay_alu instid0(VALU_DEP_2) | instskip(NEXT) | instid1(VALU_DEP_2)
	v_add_f64_e32 v[44:45], v[0:1], v[44:45]
	v_add_f64_e32 v[46:47], v[2:3], v[46:47]
	ds_load_b128 v[0:3], v180 offset:32
	ds_load_b128 v[40:43], v180 offset:48
	s_wait_dscnt 0x1
	v_add_f64_e32 v[0:1], v[44:45], v[0:1]
	v_add_f64_e32 v[2:3], v[46:47], v[2:3]
	s_wait_dscnt 0x0
	s_delay_alu instid0(VALU_DEP_2) | instskip(NEXT) | instid1(VALU_DEP_2)
	v_add_f64_e32 v[44:45], v[0:1], v[40:41]
	v_add_f64_e32 v[46:47], v[2:3], v[42:43]
	ds_load_b128 v[0:3], v180 offset:64
	;; [unrolled: 9-line block ×3, first 2 shown]
	ds_load_b128 v[40:43], v180 offset:112
	s_wait_dscnt 0x1
	v_add_f64_e32 v[0:1], v[44:45], v[0:1]
	v_add_f64_e32 v[2:3], v[46:47], v[2:3]
	s_wait_dscnt 0x0
	s_delay_alu instid0(VALU_DEP_2) | instskip(NEXT) | instid1(VALU_DEP_2)
	v_add_f64_e32 v[0:1], v[0:1], v[40:41]
	v_add_f64_e32 v[2:3], v[2:3], v[42:43]
.LBB58_108:                             ;   in Loop: Header=BB58_4 Depth=1
	s_or_b32 exec_lo, exec_lo, s23
	v_mul_f64_e32 v[40:41], v[30:31], v[34:35]
	v_mul_f64_e32 v[30:31], v[30:31], v[32:33]
	;; [unrolled: 1-line block ×4, first 2 shown]
	s_barrier_signal -1
	s_barrier_wait -1
	s_delay_alu instid0(VALU_DEP_4) | instskip(NEXT) | instid1(VALU_DEP_4)
	v_fmac_f64_e32 v[40:41], v[28:29], v[32:33]
	v_fma_f64 v[28:29], v[28:29], v[34:35], -v[30:31]
	v_mul_f64_e32 v[30:31], v[10:11], v[18:19]
	v_mul_f64_e32 v[10:11], v[10:11], v[16:17]
	v_fmac_f64_e32 v[42:43], v[20:21], v[24:25]
	v_fma_f64 v[20:21], v[20:21], v[26:27], -v[22:23]
	v_mul_f64_e32 v[26:27], v[6:7], v[14:15]
	v_mul_f64_e32 v[6:7], v[6:7], v[12:13]
	v_add_f64_e32 v[22:23], 0, v[40:41]
	v_add_f64_e32 v[24:25], 0, v[28:29]
	v_fmac_f64_e32 v[30:31], v[8:9], v[16:17]
	v_fma_f64 v[8:9], v[8:9], v[18:19], -v[10:11]
	v_fmac_f64_e32 v[26:27], v[4:5], v[12:13]
	v_fma_f64 v[6:7], v[4:5], v[14:15], -v[6:7]
	v_add_f64_e32 v[10:11], v[22:23], v[42:43]
	v_add_f64_e32 v[16:17], v[24:25], v[20:21]
	s_delay_alu instid0(VALU_DEP_2) | instskip(NEXT) | instid1(VALU_DEP_2)
	v_add_f64_e32 v[4:5], v[10:11], v[30:31]
	v_add_f64_e32 v[8:9], v[16:17], v[8:9]
	s_delay_alu instid0(VALU_DEP_2) | instskip(NEXT) | instid1(VALU_DEP_2)
	v_add_f64_e32 v[4:5], v[4:5], v[26:27]
	v_add_f64_e32 v[6:7], v[8:9], v[6:7]
	ds_store_b128 v183, v[4:7]
	s_wait_dscnt 0x0
	s_barrier_signal -1
	s_barrier_wait -1
	s_and_saveexec_b32 s23, s15
	s_cbranch_execz .LBB58_110
; %bb.109:                              ;   in Loop: Header=BB58_4 Depth=1
	ds_load_b128 v[4:7], v180
	ds_load_b128 v[8:11], v180 offset:16
	s_wait_dscnt 0x1
	v_add_f64_e32 v[0:1], v[0:1], v[4:5]
	v_add_f64_e32 v[2:3], v[2:3], v[6:7]
	s_wait_dscnt 0x0
	s_delay_alu instid0(VALU_DEP_2) | instskip(NEXT) | instid1(VALU_DEP_2)
	v_add_f64_e32 v[8:9], v[0:1], v[8:9]
	v_add_f64_e32 v[10:11], v[2:3], v[10:11]
	ds_load_b128 v[0:3], v180 offset:32
	ds_load_b128 v[4:7], v180 offset:48
	s_wait_dscnt 0x1
	v_add_f64_e32 v[0:1], v[8:9], v[0:1]
	v_add_f64_e32 v[2:3], v[10:11], v[2:3]
	s_wait_dscnt 0x0
	s_delay_alu instid0(VALU_DEP_2) | instskip(NEXT) | instid1(VALU_DEP_2)
	v_add_f64_e32 v[8:9], v[0:1], v[4:5]
	v_add_f64_e32 v[10:11], v[2:3], v[6:7]
	ds_load_b128 v[0:3], v180 offset:64
	;; [unrolled: 9-line block ×3, first 2 shown]
	ds_load_b128 v[4:7], v180 offset:112
	s_wait_dscnt 0x1
	v_add_f64_e32 v[0:1], v[8:9], v[0:1]
	v_add_f64_e32 v[2:3], v[10:11], v[2:3]
	s_wait_dscnt 0x0
	s_delay_alu instid0(VALU_DEP_2) | instskip(NEXT) | instid1(VALU_DEP_2)
	v_add_f64_e32 v[0:1], v[0:1], v[4:5]
	v_add_f64_e32 v[2:3], v[2:3], v[6:7]
.LBB58_110:                             ;   in Loop: Header=BB58_4 Depth=1
	s_or_b32 exec_lo, exec_lo, s23
	s_mul_u64 s[80:81], s[46:47], s[34:35]
	s_and_not1_b32 vcc_lo, exec_lo, s86
	s_lshl_b64 s[80:81], s[80:81], 4
	s_delay_alu instid0(SALU_CYCLE_1)
	s_add_nc_u64 s[80:81], s[48:49], s[80:81]
	s_barrier_signal -1
	s_barrier_wait -1
	s_cbranch_vccnz .LBB58_117
; %bb.111:                              ;   in Loop: Header=BB58_4 Depth=1
	v_lshl_add_u64 v[4:5], s[64:65], 4, v[38:39]
	v_lshl_add_u64 v[166:167], s[62:63], 4, v[36:37]
	v_mov_b32_e32 v196, v148
	s_mov_b32 s82, 0
	s_mov_b32 s23, s84
	v_lshl_add_u64 v[4:5], v[162:163], 4, v[4:5]
	s_delay_alu instid0(VALU_DEP_1) | instskip(NEXT) | instid1(VALU_DEP_1)
	v_lshl_add_u64 v[4:5], v[160:161], 4, v[4:5]
	v_lshl_add_u64 v[6:7], v[164:165], 4, v[4:5]
	v_add_nc_u64_e32 v[4:5], s[76:77], v[4:5]
	s_delay_alu instid0(VALU_DEP_2) | instskip(NEXT) | instid1(VALU_DEP_1)
	v_lshl_add_u64 v[6:7], s[44:45], 4, v[6:7]
	v_add_nc_u64_e32 v[6:7], s[74:75], v[6:7]
	s_delay_alu instid0(VALU_DEP_1)
	v_dual_cndmask_b32 v5, v5, v7, s1 :: v_dual_cndmask_b32 v4, v4, v6, s1
	s_branch .LBB58_113
.LBB58_112:                             ;   in Loop: Header=BB58_113 Depth=2
	s_wait_xcnt 0x0
	s_or_b32 exec_lo, exec_lo, s83
	v_dual_mul_f64 v[84:85], v[18:19], v[38:39] :: v_dual_add_nc_u32 v196, 64, v196
	v_mul_f64_e32 v[38:39], v[16:17], v[38:39]
	v_mul_f64_e32 v[86:87], v[14:15], v[50:51]
	;; [unrolled: 1-line block ×3, first 2 shown]
	s_add_co_i32 s23, s23, -1
	s_add_co_i32 s82, s82, s87
	s_cmp_eq_u32 s23, 0
	s_wait_storecnt 0x0
	s_barrier_signal -1
	s_barrier_wait -1
	s_delay_alu instid0(VALU_DEP_4) | instskip(NEXT) | instid1(VALU_DEP_4)
	v_fma_f64 v[16:17], v[16:17], v[36:37], -v[84:85]
	v_fmac_f64_e32 v[38:39], v[18:19], v[36:37]
	v_mul_f64_e32 v[18:19], v[10:11], v[46:47]
	v_mul_f64_e32 v[36:37], v[8:9], v[46:47]
	v_fma_f64 v[12:13], v[12:13], v[48:49], -v[86:87]
	v_fmac_f64_e32 v[50:51], v[14:15], v[48:49]
	v_mul_f64_e32 v[14:15], v[6:7], v[30:31]
	v_add_f64_e32 v[0:1], v[0:1], v[16:17]
	v_mul_f64_e32 v[16:17], v[4:5], v[30:31]
	v_add_f64_e32 v[2:3], v[2:3], v[38:39]
	v_fma_f64 v[8:9], v[8:9], v[44:45], -v[18:19]
	v_fmac_f64_e32 v[36:37], v[10:11], v[44:45]
	v_mul_f64_e32 v[10:11], v[42:43], v[74:75]
	v_fma_f64 v[4:5], v[4:5], v[28:29], -v[14:15]
	v_mul_f64_e32 v[14:15], v[24:25], v[78:79]
	v_add_f64_e32 v[0:1], v[0:1], v[12:13]
	v_mul_f64_e32 v[12:13], v[40:41], v[74:75]
	v_add_f64_e32 v[2:3], v[2:3], v[50:51]
	v_fmac_f64_e32 v[16:17], v[6:7], v[28:29]
	v_mul_f64_e32 v[6:7], v[34:35], v[82:83]
	v_fma_f64 v[10:11], v[40:41], v[72:73], -v[10:11]
	v_fmac_f64_e32 v[14:15], v[26:27], v[76:77]
	v_add_f64_e32 v[0:1], v[0:1], v[8:9]
	v_mul_f64_e32 v[8:9], v[32:33], v[82:83]
	v_add_f64_e32 v[2:3], v[2:3], v[36:37]
	v_fmac_f64_e32 v[12:13], v[42:43], v[72:73]
	v_fma_f64 v[6:7], v[32:33], v[80:81], -v[6:7]
	v_add_f64_e32 v[0:1], v[0:1], v[4:5]
	v_mul_f64_e32 v[4:5], v[26:27], v[78:79]
	v_add_f64_e32 v[2:3], v[2:3], v[16:17]
	v_fmac_f64_e32 v[8:9], v[34:35], v[80:81]
	s_delay_alu instid0(VALU_DEP_4) | instskip(SKIP_1) | instid1(VALU_DEP_4)
	v_add_f64_e32 v[0:1], v[0:1], v[10:11]
	v_mul_f64_e32 v[10:11], v[22:23], v[70:71]
	v_add_f64_e32 v[2:3], v[2:3], v[12:13]
	v_mul_f64_e32 v[12:13], v[20:21], v[70:71]
	v_fma_f64 v[4:5], v[24:25], v[76:77], -v[4:5]
	v_add_f64_e32 v[0:1], v[0:1], v[6:7]
	v_mul_f64_e32 v[6:7], v[66:67], v[122:123]
	v_add_f64_e32 v[2:3], v[2:3], v[8:9]
	v_mul_f64_e32 v[8:9], v[64:65], v[122:123]
	v_fma_f64 v[10:11], v[20:21], v[68:69], -v[10:11]
	v_fmac_f64_e32 v[12:13], v[22:23], v[68:69]
	v_add_f64_e32 v[0:1], v[0:1], v[4:5]
	v_mul_f64_e32 v[4:5], v[62:63], v[130:131]
	v_add_f64_e32 v[2:3], v[2:3], v[14:15]
	v_mul_f64_e32 v[14:15], v[60:61], v[130:131]
	v_fma_f64 v[6:7], v[64:65], v[120:121], -v[6:7]
	v_fmac_f64_e32 v[8:9], v[66:67], v[120:121]
	;; [unrolled: 6-line block ×8, first 2 shown]
	v_add_f64_e32 v[0:1], v[0:1], v[10:11]
	v_fma_f64 v[4:5], v[96:97], v[136:137], -v[4:5]
	v_add_f64_e32 v[2:3], v[2:3], v[12:13]
	v_fmac_f64_e32 v[14:15], v[98:99], v[136:137]
	s_delay_alu instid0(VALU_DEP_4) | instskip(NEXT) | instid1(VALU_DEP_3)
	v_add_f64_e32 v[0:1], v[0:1], v[6:7]
	v_add_f64_e32 v[2:3], v[2:3], v[8:9]
	s_delay_alu instid0(VALU_DEP_2) | instskip(SKIP_1) | instid1(VALU_DEP_3)
	v_add_f64_e32 v[0:1], v[0:1], v[4:5]
	v_add_nc_u64_e32 v[4:5], s[72:73], v[168:169]
	v_add_f64_e32 v[2:3], v[2:3], v[14:15]
	s_cbranch_scc1 .LBB58_117
.LBB58_113:                             ;   Parent Loop BB58_4 Depth=1
                                        ; =>  This Inner Loop Header: Depth=2
	s_and_saveexec_b32 s89, s0
	s_cbranch_execz .LBB58_115
; %bb.114:                              ;   in Loop: Header=BB58_113 Depth=2
	s_ashr_i32 s83, s82, 31
	s_delay_alu instid0(SALU_CYCLE_1)
	v_lshl_add_u64 v[6:7], s[82:83], 4, v[166:167]
	flat_load_b128 v[6:9], v[6:7]
	s_wait_loadcnt_dscnt 0x0
	ds_store_2addr_b64 v149, v[6:7], v[8:9] offset1:1
.LBB58_115:                             ;   in Loop: Header=BB58_113 Depth=2
	s_wait_xcnt 0x0
	s_or_b32 exec_lo, exec_lo, s89
	v_add_nc_u64_e32 v[6:7], s[70:71], v[4:5]
	s_wait_dscnt 0x0
	s_barrier_signal -1
	s_barrier_wait -1
	s_delay_alu instid0(VALU_DEP_1) | instskip(NEXT) | instid1(VALU_DEP_1)
	v_add_nc_u64_e32 v[8:9], s[70:71], v[6:7]
	v_add_nc_u64_e32 v[28:29], s[70:71], v[8:9]
	s_clause 0x3
	flat_load_b128 v[16:19], v[4:5]
	flat_load_b128 v[12:15], v[6:7]
	;; [unrolled: 1-line block ×4, first 2 shown]
	ds_load_b128 v[20:23], v171
	ds_load_b128 v[36:39], v185
	s_wait_loadcnt_dscnt 0x301
	v_mul_f64_e32 v[24:25], v[18:19], v[22:23]
	v_mul_f64_e32 v[26:27], v[18:19], v[20:21]
	s_wait_loadcnt 0x2
	v_mul_f64_e32 v[32:33], v[14:15], v[22:23]
	v_mul_f64_e32 v[30:31], v[14:15], v[20:21]
	s_wait_loadcnt 0x1
	;; [unrolled: 3-line block ×3, first 2 shown]
	v_mul_f64_e32 v[52:53], v[6:7], v[22:23]
	v_mul_f64_e32 v[44:45], v[6:7], v[20:21]
	v_fmac_f64_e32 v[24:25], v[16:17], v[20:21]
	v_fma_f64 v[26:27], v[16:17], v[22:23], -v[26:27]
	v_fmac_f64_e32 v[32:33], v[12:13], v[20:21]
	v_fma_f64 v[34:35], v[12:13], v[22:23], -v[30:31]
	;; [unrolled: 2-line block ×4, first 2 shown]
	v_add_nc_u64_e32 v[20:21], s[72:73], v[28:29]
	ds_load_b128 v[48:51], v185 offset:16
	ds_load_b128 v[44:47], v185 offset:32
	s_wait_xcnt 0x0
	ds_load_b128 v[28:31], v185 offset:48
	ds_store_b128 v186, v[24:27]
	ds_store_b128 v186, v[32:35] offset:1072
	ds_store_b128 v186, v[40:43] offset:2144
	;; [unrolled: 1-line block ×3, first 2 shown]
	v_add_nc_u64_e32 v[22:23], s[70:71], v[20:21]
	s_wait_dscnt 0x0
	s_barrier_signal -1
	s_barrier_wait -1
	ds_load_b128 v[116:119], v187
	ds_load_b128 v[104:107], v187 offset:16
	ds_load_b128 v[92:95], v187 offset:32
	;; [unrolled: 1-line block ×3, first 2 shown]
	s_wait_dscnt 0x0
	v_add_nc_u64_e32 v[56:57], s[70:71], v[22:23]
	s_barrier_signal -1
	s_barrier_wait -1
	s_delay_alu instid0(VALU_DEP_1)
	v_add_nc_u64_e32 v[68:69], s[70:71], v[56:57]
	s_clause 0x3
	flat_load_b128 v[40:43], v[20:21]
	flat_load_b128 v[32:35], v[22:23]
	;; [unrolled: 1-line block ×4, first 2 shown]
	ds_load_b128 v[52:55], v171
	ds_load_b128 v[72:75], v185 offset:256
	s_wait_loadcnt_dscnt 0x301
	v_mul_f64_e32 v[58:59], v[42:43], v[52:53]
	s_wait_xcnt 0x1
	v_mul_f64_e32 v[56:57], v[42:43], v[54:55]
	s_wait_loadcnt 0x2
	v_mul_f64_e32 v[62:63], v[34:35], v[52:53]
	v_mul_f64_e32 v[60:61], v[34:35], v[54:55]
	s_wait_loadcnt 0x1
	v_mul_f64_e32 v[66:67], v[26:27], v[52:53]
	;; [unrolled: 3-line block ×3, first 2 shown]
	v_mul_f64_e32 v[88:89], v[22:23], v[54:55]
	v_fma_f64 v[58:59], v[40:41], v[54:55], -v[58:59]
	v_fmac_f64_e32 v[56:57], v[40:41], v[52:53]
	v_fma_f64 v[62:63], v[32:33], v[54:55], -v[62:63]
	v_fmac_f64_e32 v[60:61], v[32:33], v[52:53]
	;; [unrolled: 2-line block ×4, first 2 shown]
	v_add_nc_u64_e32 v[52:53], s[72:73], v[68:69]
	ds_load_b128 v[80:83], v185 offset:272
	ds_load_b128 v[76:79], v185 offset:288
	s_wait_xcnt 0x0
	ds_load_b128 v[68:71], v185 offset:304
	ds_store_b128 v186, v[56:59]
	ds_store_b128 v186, v[60:63] offset:1072
	ds_store_b128 v186, v[64:67] offset:2144
	;; [unrolled: 1-line block ×3, first 2 shown]
	v_add_nc_u64_e32 v[54:55], s[70:71], v[52:53]
	s_wait_dscnt 0x0
	s_barrier_signal -1
	s_barrier_wait -1
	ds_load_b128 v[198:201], v187
	ds_load_b128 v[202:205], v187 offset:16
	ds_load_b128 v[206:209], v187 offset:32
	ds_load_b128 v[210:213], v187 offset:48
	s_wait_dscnt 0x0
	v_add_nc_u64_e32 v[96:97], s[70:71], v[54:55]
	s_barrier_signal -1
	s_barrier_wait -1
	s_delay_alu instid0(VALU_DEP_1)
	v_add_nc_u64_e32 v[112:113], s[70:71], v[96:97]
	s_clause 0x2
	flat_load_b128 v[64:67], v[52:53]
	flat_load_b128 v[60:63], v[54:55]
	;; [unrolled: 1-line block ×4, first 2 shown]
	ds_load_b128 v[88:91], v171
	ds_load_b128 v[120:123], v185 offset:512
	v_add_f64_e32 v[198:199], 0, v[198:199]
	v_add_f64_e32 v[200:201], 0, v[200:201]
	s_delay_alu instid0(VALU_DEP_2) | instskip(NEXT) | instid1(VALU_DEP_2)
	v_add_f64_e32 v[198:199], v[198:199], v[202:203]
	v_add_f64_e32 v[200:201], v[200:201], v[204:205]
	s_delay_alu instid0(VALU_DEP_2) | instskip(NEXT) | instid1(VALU_DEP_2)
	v_add_f64_e32 v[198:199], v[198:199], v[206:207]
	v_add_f64_e32 v[200:201], v[200:201], v[208:209]
	s_wait_loadcnt_dscnt 0x301
	v_mul_f64_e32 v[98:99], v[66:67], v[88:89]
	s_wait_xcnt 0x1
	v_mul_f64_e32 v[96:97], v[66:67], v[90:91]
	s_wait_loadcnt 0x2
	v_mul_f64_e32 v[102:103], v[62:63], v[88:89]
	v_mul_f64_e32 v[100:101], v[62:63], v[90:91]
	s_wait_loadcnt 0x1
	v_mul_f64_e32 v[110:111], v[58:59], v[88:89]
	;; [unrolled: 3-line block ×3, first 2 shown]
	v_mul_f64_e32 v[132:133], v[54:55], v[90:91]
	v_fma_f64 v[98:99], v[64:65], v[90:91], -v[98:99]
	v_fmac_f64_e32 v[96:97], v[64:65], v[88:89]
	v_fma_f64 v[102:103], v[60:61], v[90:91], -v[102:103]
	v_fmac_f64_e32 v[100:101], v[60:61], v[88:89]
	;; [unrolled: 2-line block ×4, first 2 shown]
	v_add_nc_u64_e32 v[88:89], s[72:73], v[112:113]
	ds_load_b128 v[128:131], v185 offset:528
	ds_load_b128 v[124:127], v185 offset:544
	s_wait_xcnt 0x0
	ds_load_b128 v[112:115], v185 offset:560
	ds_store_b128 v186, v[96:99]
	ds_store_b128 v186, v[100:103] offset:1072
	ds_store_b128 v186, v[108:111] offset:2144
	;; [unrolled: 1-line block ×3, first 2 shown]
	v_add_nc_u64_e32 v[90:91], s[70:71], v[88:89]
	s_wait_dscnt 0x0
	s_barrier_signal -1
	s_barrier_wait -1
	ds_load_b128 v[214:217], v187
	ds_load_b128 v[218:221], v187 offset:16
	ds_load_b128 v[222:225], v187 offset:32
	;; [unrolled: 1-line block ×3, first 2 shown]
	s_wait_dscnt 0x0
	v_add_nc_u64_e32 v[136:137], s[70:71], v[90:91]
	s_barrier_signal -1
	s_barrier_wait -1
	s_delay_alu instid0(VALU_DEP_1)
	v_add_nc_u64_e32 v[168:169], s[70:71], v[136:137]
	flat_load_b128 v[108:111], v[88:89]
	flat_load_b128 v[100:103], v[90:91]
	;; [unrolled: 1-line block ×4, first 2 shown]
	s_wait_xcnt 0x1
	ds_load_b128 v[136:139], v171
	ds_load_b128 v[132:135], v185 offset:768
	v_add_f64_e32 v[214:215], 0, v[214:215]
	v_add_f64_e32 v[216:217], 0, v[216:217]
	s_delay_alu instid0(VALU_DEP_2) | instskip(NEXT) | instid1(VALU_DEP_2)
	v_add_f64_e32 v[202:203], v[214:215], v[218:219]
	v_add_f64_e32 v[204:205], v[216:217], v[220:221]
	s_delay_alu instid0(VALU_DEP_2) | instskip(NEXT) | instid1(VALU_DEP_2)
	v_add_f64_e32 v[202:203], v[202:203], v[222:223]
	v_add_f64_e32 v[204:205], v[204:205], v[224:225]
	s_wait_loadcnt_dscnt 0x301
	v_mul_f64_e32 v[140:141], v[110:111], v[136:137]
	v_mul_f64_e32 v[230:231], v[110:111], v[138:139]
	s_wait_loadcnt 0x2
	v_mul_f64_e32 v[142:143], v[102:103], v[136:137]
	v_mul_f64_e32 v[234:235], v[102:103], v[138:139]
	s_wait_loadcnt 0x1
	;; [unrolled: 3-line block ×3, first 2 shown]
	v_mul_f64_e32 v[146:147], v[98:99], v[136:137]
	v_mul_f64_e32 v[242:243], v[98:99], v[138:139]
	v_fma_f64 v[232:233], v[108:109], v[138:139], -v[140:141]
	v_fmac_f64_e32 v[230:231], v[108:109], v[136:137]
	v_fma_f64 v[236:237], v[100:101], v[138:139], -v[142:143]
	v_fmac_f64_e32 v[234:235], v[100:101], v[136:137]
	;; [unrolled: 2-line block ×4, first 2 shown]
	ds_load_b128 v[144:147], v185 offset:784
	ds_load_b128 v[140:143], v185 offset:800
	;; [unrolled: 1-line block ×3, first 2 shown]
	ds_store_b128 v186, v[230:233]
	ds_store_b128 v186, v[234:237] offset:1072
	ds_store_b128 v186, v[238:241] offset:2144
	;; [unrolled: 1-line block ×3, first 2 shown]
	s_wait_dscnt 0x0
	s_barrier_signal -1
	s_barrier_wait -1
	ds_load_b128 v[230:233], v187
	v_add_f64_e32 v[234:235], 0, v[116:117]
	v_add_f64_e32 v[236:237], 0, v[118:119]
	ds_load_b128 v[116:119], v187 offset:16
	s_wait_dscnt 0x1
	v_add_f64_e32 v[230:231], 0, v[230:231]
	v_add_f64_e32 v[232:233], 0, v[232:233]
	v_add_f64_e32 v[234:235], v[234:235], v[104:105]
	v_add_f64_e32 v[236:237], v[236:237], v[106:107]
	ds_load_b128 v[104:107], v187 offset:32
	s_wait_dscnt 0x1
	v_add_f64_e32 v[116:117], v[230:231], v[116:117]
	v_add_f64_e32 v[118:119], v[232:233], v[118:119]
	;; [unrolled: 1-line block ×4, first 2 shown]
	ds_load_b128 v[92:95], v187 offset:48
	s_wait_dscnt 0x0
	s_barrier_signal -1
	s_barrier_wait -1
	v_add_f64_e32 v[206:207], v[116:117], v[104:105]
	v_add_f64_e32 v[208:209], v[118:119], v[106:107]
	;; [unrolled: 1-line block ×10, first 2 shown]
	ds_store_b128 v195, v[84:87]
	ds_store_b128 v195, v[104:107] offset:256
	ds_store_b128 v195, v[116:119] offset:512
	;; [unrolled: 1-line block ×3, first 2 shown]
	s_wait_dscnt 0x0
	s_barrier_signal -1
	s_barrier_wait -1
	s_wait_xcnt 0x0
	s_and_saveexec_b32 s83, s22
	s_cbranch_execz .LBB58_112
; %bb.116:                              ;   in Loop: Header=BB58_113 Depth=2
	ds_load_b128 v[84:87], v188
	ds_load_b128 v[92:95], v188 offset:16
	s_wait_dscnt 0x0
	v_add_f64_e32 v[104:105], v[92:93], v[84:85]
	v_add_f64_e32 v[106:107], v[94:95], v[86:87]
	ds_load_b128 v[84:87], v188 offset:32
	ds_load_b128 v[92:95], v188 offset:48
	s_wait_dscnt 0x1
	v_add_f64_e32 v[84:85], v[104:105], v[84:85]
	v_add_f64_e32 v[86:87], v[106:107], v[86:87]
	s_wait_dscnt 0x0
	s_delay_alu instid0(VALU_DEP_2) | instskip(NEXT) | instid1(VALU_DEP_2)
	v_add_f64_e32 v[104:105], v[84:85], v[92:93]
	v_add_f64_e32 v[106:107], v[86:87], v[94:95]
	ds_load_b128 v[84:87], v188 offset:64
	ds_load_b128 v[92:95], v188 offset:80
	s_wait_dscnt 0x1
	v_add_f64_e32 v[84:85], v[104:105], v[84:85]
	v_add_f64_e32 v[86:87], v[106:107], v[86:87]
	s_wait_dscnt 0x0
	s_delay_alu instid0(VALU_DEP_2) | instskip(NEXT) | instid1(VALU_DEP_2)
	;; [unrolled: 9-line block ×6, first 2 shown]
	v_add_f64_e32 v[104:105], v[84:85], v[92:93]
	v_add_f64_e32 v[106:107], v[86:87], v[94:95]
	ds_load_b128 v[84:87], v188 offset:224
	ds_load_b128 v[92:95], v189
	s_wait_dscnt 0x1
	v_add_f64_e32 v[84:85], v[104:105], v[84:85]
	v_add_f64_e32 v[86:87], v[106:107], v[86:87]
	s_wait_dscnt 0x0
	s_delay_alu instid0(VALU_DEP_2) | instskip(NEXT) | instid1(VALU_DEP_2)
	v_add_f64_e32 v[84:85], v[84:85], v[92:93]
	v_add_f64_e32 v[86:87], v[86:87], v[94:95]
	global_store_b128 v196, v[84:87], s[80:81] scale_offset
	s_branch .LBB58_112
.LBB58_117:                             ;   in Loop: Header=BB58_4 Depth=1
	ds_store_b128 v190, v[0:3]
	s_wait_dscnt 0x0
	s_barrier_signal -1
	s_barrier_wait -1
	s_and_saveexec_b32 s23, s88
	s_cbranch_execz .LBB58_2
; %bb.118:                              ;   in Loop: Header=BB58_4 Depth=1
	ds_load_b128 v[0:3], v170 offset:1072
	ds_load_b128 v[4:7], v170
	s_wait_dscnt 0x0
	v_add_f64_e32 v[8:9], v[0:1], v[4:5]
	v_add_f64_e32 v[10:11], v[2:3], v[6:7]
	ds_load_b128 v[0:3], v170 offset:2144
	ds_load_b128 v[4:7], v170 offset:3216
	s_wait_dscnt 0x1
	v_add_f64_e32 v[0:1], v[8:9], v[0:1]
	v_add_f64_e32 v[2:3], v[10:11], v[2:3]
	s_wait_dscnt 0x0
	s_delay_alu instid0(VALU_DEP_2) | instskip(NEXT) | instid1(VALU_DEP_2)
	v_add_f64_e32 v[0:1], v[0:1], v[4:5]
	v_add_f64_e32 v[2:3], v[2:3], v[6:7]
	v_lshl_add_u64 v[4:5], v[152:153], 4, s[80:81]
	global_store_b128 v[4:5], v[0:3], off
	s_branch .LBB58_2
.LBB58_119:                             ;   in Loop: Header=BB58_4 Depth=1
	flat_load_b128 v[6:9], v[0:1]
	s_wait_loadcnt_dscnt 0x0
	ds_store_2addr_b64 v172, v[6:7], v[8:9] offset1:1
	s_wait_xcnt 0x0
	s_or_b32 exec_lo, exec_lo, s23
	s_and_saveexec_b32 s23, s4
	s_delay_alu instid0(SALU_CYCLE_1)
	s_xor_b32 s23, exec_lo, s23
	s_cbranch_execz .LBB58_19
.LBB58_120:                             ;   in Loop: Header=BB58_4 Depth=1
	v_dual_mov_b32 v6, v151 :: v_dual_mov_b32 v7, v151
	v_dual_mov_b32 v8, v151 :: v_dual_mov_b32 v9, v151
	ds_store_b128 v173, v[6:9]
	s_and_not1_saveexec_b32 s23, s23
	s_cbranch_execz .LBB58_20
.LBB58_121:                             ;   in Loop: Header=BB58_4 Depth=1
	v_lshl_add_u64 v[2:3], s[52:53], 4, v[0:1]
	flat_load_b128 v[6:9], v[2:3]
	s_wait_loadcnt_dscnt 0x0
	ds_store_2addr_b64 v173, v[6:7], v[8:9] offset1:1
	s_wait_xcnt 0x0
	s_or_b32 exec_lo, exec_lo, s23
	s_and_saveexec_b32 s23, s5
	s_delay_alu instid0(SALU_CYCLE_1)
	s_xor_b32 s23, exec_lo, s23
	s_cbranch_execz .LBB58_21
.LBB58_122:                             ;   in Loop: Header=BB58_4 Depth=1
	v_dual_mov_b32 v6, v151 :: v_dual_mov_b32 v7, v151
	v_dual_mov_b32 v8, v151 :: v_dual_mov_b32 v9, v151
	ds_store_b128 v174, v[6:9]
	s_and_not1_saveexec_b32 s23, s23
	s_cbranch_execz .LBB58_22
.LBB58_123:                             ;   in Loop: Header=BB58_4 Depth=1
	v_lshl_add_u64 v[2:3], s[54:55], 4, v[0:1]
	flat_load_b128 v[6:9], v[2:3]
	s_wait_loadcnt_dscnt 0x0
	ds_store_2addr_b64 v174, v[6:7], v[8:9] offset1:1
	s_wait_xcnt 0x0
	s_or_b32 exec_lo, exec_lo, s23
	s_and_saveexec_b32 s23, s6
	s_delay_alu instid0(SALU_CYCLE_1)
	s_xor_b32 s23, exec_lo, s23
	s_cbranch_execz .LBB58_23
.LBB58_124:                             ;   in Loop: Header=BB58_4 Depth=1
	v_dual_mov_b32 v6, v151 :: v_dual_mov_b32 v7, v151
	v_dual_mov_b32 v8, v151 :: v_dual_mov_b32 v9, v151
	ds_store_b128 v175, v[6:9]
	s_and_not1_saveexec_b32 s23, s23
	s_cbranch_execnz .LBB58_24
	s_branch .LBB58_25
.LBB58_125:                             ;   in Loop: Header=BB58_4 Depth=1
	flat_load_b128 v[10:13], v[4:5]
	s_wait_loadcnt_dscnt 0x0
	ds_store_2addr_b64 v172, v[10:11], v[12:13] offset1:1
	s_wait_xcnt 0x0
	s_or_b32 exec_lo, exec_lo, s23
	s_and_saveexec_b32 s23, s18
	s_delay_alu instid0(SALU_CYCLE_1)
	s_xor_b32 s23, exec_lo, s23
	s_cbranch_execz .LBB58_59
.LBB58_126:                             ;   in Loop: Header=BB58_4 Depth=1
	v_dual_mov_b32 v10, v151 :: v_dual_mov_b32 v11, v151
	v_dual_mov_b32 v12, v151 :: v_dual_mov_b32 v13, v151
	ds_store_b128 v173, v[10:13]
	s_and_not1_saveexec_b32 s23, s23
	s_cbranch_execz .LBB58_60
.LBB58_127:                             ;   in Loop: Header=BB58_4 Depth=1
	v_lshl_add_u64 v[6:7], s[52:53], 4, v[4:5]
	flat_load_b128 v[10:13], v[6:7]
	s_wait_loadcnt_dscnt 0x0
	ds_store_2addr_b64 v173, v[10:11], v[12:13] offset1:1
	s_wait_xcnt 0x0
	s_or_b32 exec_lo, exec_lo, s23
	s_and_saveexec_b32 s23, s19
	s_delay_alu instid0(SALU_CYCLE_1)
	s_xor_b32 s23, exec_lo, s23
	s_cbranch_execz .LBB58_61
.LBB58_128:                             ;   in Loop: Header=BB58_4 Depth=1
	v_dual_mov_b32 v10, v151 :: v_dual_mov_b32 v11, v151
	v_dual_mov_b32 v12, v151 :: v_dual_mov_b32 v13, v151
	ds_store_b128 v174, v[10:13]
	s_and_not1_saveexec_b32 s23, s23
	s_cbranch_execz .LBB58_62
.LBB58_129:                             ;   in Loop: Header=BB58_4 Depth=1
	v_lshl_add_u64 v[6:7], s[54:55], 4, v[4:5]
	flat_load_b128 v[10:13], v[6:7]
	s_wait_loadcnt_dscnt 0x0
	ds_store_2addr_b64 v174, v[10:11], v[12:13] offset1:1
	s_wait_xcnt 0x0
	s_or_b32 exec_lo, exec_lo, s23
	s_and_saveexec_b32 s23, s20
	s_delay_alu instid0(SALU_CYCLE_1)
	s_xor_b32 s23, exec_lo, s23
	s_cbranch_execz .LBB58_63
.LBB58_130:                             ;   in Loop: Header=BB58_4 Depth=1
	v_dual_mov_b32 v10, v151 :: v_dual_mov_b32 v11, v151
	v_dual_mov_b32 v12, v151 :: v_dual_mov_b32 v13, v151
	ds_store_b128 v175, v[10:13]
	s_and_not1_saveexec_b32 s23, s23
	s_cbranch_execnz .LBB58_64
	s_branch .LBB58_65
.LBB58_131:                             ;   in Loop: Header=BB58_4 Depth=1
	flat_load_b128 v[6:9], v[4:5]
	s_wait_loadcnt_dscnt 0x0
	ds_store_2addr_b64 v172, v[6:7], v[8:9] offset1:1
	s_wait_xcnt 0x0
	s_or_b32 exec_lo, exec_lo, s23
	s_and_saveexec_b32 s23, s4
	s_delay_alu instid0(SALU_CYCLE_1)
	s_xor_b32 s23, exec_lo, s23
	s_cbranch_execz .LBB58_99
.LBB58_132:                             ;   in Loop: Header=BB58_4 Depth=1
	v_dual_mov_b32 v6, v151 :: v_dual_mov_b32 v7, v151
	v_dual_mov_b32 v8, v151 :: v_dual_mov_b32 v9, v151
	ds_store_b128 v173, v[6:9]
	s_and_not1_saveexec_b32 s23, s23
	s_cbranch_execz .LBB58_100
.LBB58_133:                             ;   in Loop: Header=BB58_4 Depth=1
	v_lshl_add_u64 v[6:7], s[52:53], 4, v[4:5]
	flat_load_b128 v[6:9], v[6:7]
	s_wait_loadcnt_dscnt 0x0
	ds_store_2addr_b64 v173, v[6:7], v[8:9] offset1:1
	s_wait_xcnt 0x0
	s_or_b32 exec_lo, exec_lo, s23
	s_and_saveexec_b32 s23, s5
	s_delay_alu instid0(SALU_CYCLE_1)
	s_xor_b32 s23, exec_lo, s23
	s_cbranch_execz .LBB58_101
.LBB58_134:                             ;   in Loop: Header=BB58_4 Depth=1
	v_dual_mov_b32 v6, v151 :: v_dual_mov_b32 v7, v151
	v_dual_mov_b32 v8, v151 :: v_dual_mov_b32 v9, v151
	ds_store_b128 v174, v[6:9]
	s_and_not1_saveexec_b32 s23, s23
	s_cbranch_execz .LBB58_102
.LBB58_135:                             ;   in Loop: Header=BB58_4 Depth=1
	v_lshl_add_u64 v[6:7], s[54:55], 4, v[4:5]
	flat_load_b128 v[6:9], v[6:7]
	s_wait_loadcnt_dscnt 0x0
	ds_store_2addr_b64 v174, v[6:7], v[8:9] offset1:1
	s_wait_xcnt 0x0
	s_or_b32 exec_lo, exec_lo, s23
	s_and_saveexec_b32 s23, s6
	s_delay_alu instid0(SALU_CYCLE_1)
	s_xor_b32 s23, exec_lo, s23
	s_cbranch_execz .LBB58_103
.LBB58_136:                             ;   in Loop: Header=BB58_4 Depth=1
	v_dual_mov_b32 v6, v151 :: v_dual_mov_b32 v7, v151
	v_dual_mov_b32 v8, v151 :: v_dual_mov_b32 v9, v151
	ds_store_b128 v175, v[6:9]
	s_and_not1_saveexec_b32 s23, s23
	s_cbranch_execnz .LBB58_104
	s_branch .LBB58_105
.LBB58_137:
	s_sendmsg sendmsg(MSG_DEALLOC_VGPRS)
	s_endpgm
	.section	.rodata,"a",@progbits
	.p2align	6, 0x0
	.amdhsa_kernel _ZL26rocblas_hemvn_kernel_lowerILb1ELi64ELi4ELi33ELi32ELi16EiPK19rocblas_complex_numIdEPKS3_PS1_EviT6_lT7_lT5_lS8_lS9_lS7_lT8_i
		.amdhsa_group_segment_fixed_size 19200
		.amdhsa_private_segment_fixed_size 0
		.amdhsa_kernarg_size 376
		.amdhsa_user_sgpr_count 2
		.amdhsa_user_sgpr_dispatch_ptr 0
		.amdhsa_user_sgpr_queue_ptr 0
		.amdhsa_user_sgpr_kernarg_segment_ptr 1
		.amdhsa_user_sgpr_dispatch_id 0
		.amdhsa_user_sgpr_kernarg_preload_length 0
		.amdhsa_user_sgpr_kernarg_preload_offset 0
		.amdhsa_user_sgpr_private_segment_size 0
		.amdhsa_wavefront_size32 1
		.amdhsa_uses_dynamic_stack 0
		.amdhsa_enable_private_segment 0
		.amdhsa_system_sgpr_workgroup_id_x 1
		.amdhsa_system_sgpr_workgroup_id_y 0
		.amdhsa_system_sgpr_workgroup_id_z 1
		.amdhsa_system_sgpr_workgroup_info 0
		.amdhsa_system_vgpr_workitem_id 1
		.amdhsa_next_free_vgpr 246
		.amdhsa_next_free_sgpr 90
		.amdhsa_named_barrier_count 0
		.amdhsa_reserve_vcc 1
		.amdhsa_float_round_mode_32 0
		.amdhsa_float_round_mode_16_64 0
		.amdhsa_float_denorm_mode_32 3
		.amdhsa_float_denorm_mode_16_64 3
		.amdhsa_fp16_overflow 0
		.amdhsa_memory_ordered 1
		.amdhsa_forward_progress 1
		.amdhsa_inst_pref_size 68
		.amdhsa_round_robin_scheduling 0
		.amdhsa_exception_fp_ieee_invalid_op 0
		.amdhsa_exception_fp_denorm_src 0
		.amdhsa_exception_fp_ieee_div_zero 0
		.amdhsa_exception_fp_ieee_overflow 0
		.amdhsa_exception_fp_ieee_underflow 0
		.amdhsa_exception_fp_ieee_inexact 0
		.amdhsa_exception_int_div_zero 0
	.end_amdhsa_kernel
	.section	.text._ZL26rocblas_hemvn_kernel_lowerILb1ELi64ELi4ELi33ELi32ELi16EiPK19rocblas_complex_numIdEPKS3_PS1_EviT6_lT7_lT5_lS8_lS9_lS7_lT8_i,"axG",@progbits,_ZL26rocblas_hemvn_kernel_lowerILb1ELi64ELi4ELi33ELi32ELi16EiPK19rocblas_complex_numIdEPKS3_PS1_EviT6_lT7_lT5_lS8_lS9_lS7_lT8_i,comdat
.Lfunc_end58:
	.size	_ZL26rocblas_hemvn_kernel_lowerILb1ELi64ELi4ELi33ELi32ELi16EiPK19rocblas_complex_numIdEPKS3_PS1_EviT6_lT7_lT5_lS8_lS9_lS7_lT8_i, .Lfunc_end58-_ZL26rocblas_hemvn_kernel_lowerILb1ELi64ELi4ELi33ELi32ELi16EiPK19rocblas_complex_numIdEPKS3_PS1_EviT6_lT7_lT5_lS8_lS9_lS7_lT8_i
                                        ; -- End function
	.set _ZL26rocblas_hemvn_kernel_lowerILb1ELi64ELi4ELi33ELi32ELi16EiPK19rocblas_complex_numIdEPKS3_PS1_EviT6_lT7_lT5_lS8_lS9_lS7_lT8_i.num_vgpr, 246
	.set _ZL26rocblas_hemvn_kernel_lowerILb1ELi64ELi4ELi33ELi32ELi16EiPK19rocblas_complex_numIdEPKS3_PS1_EviT6_lT7_lT5_lS8_lS9_lS7_lT8_i.num_agpr, 0
	.set _ZL26rocblas_hemvn_kernel_lowerILb1ELi64ELi4ELi33ELi32ELi16EiPK19rocblas_complex_numIdEPKS3_PS1_EviT6_lT7_lT5_lS8_lS9_lS7_lT8_i.numbered_sgpr, 90
	.set _ZL26rocblas_hemvn_kernel_lowerILb1ELi64ELi4ELi33ELi32ELi16EiPK19rocblas_complex_numIdEPKS3_PS1_EviT6_lT7_lT5_lS8_lS9_lS7_lT8_i.num_named_barrier, 0
	.set _ZL26rocblas_hemvn_kernel_lowerILb1ELi64ELi4ELi33ELi32ELi16EiPK19rocblas_complex_numIdEPKS3_PS1_EviT6_lT7_lT5_lS8_lS9_lS7_lT8_i.private_seg_size, 0
	.set _ZL26rocblas_hemvn_kernel_lowerILb1ELi64ELi4ELi33ELi32ELi16EiPK19rocblas_complex_numIdEPKS3_PS1_EviT6_lT7_lT5_lS8_lS9_lS7_lT8_i.uses_vcc, 1
	.set _ZL26rocblas_hemvn_kernel_lowerILb1ELi64ELi4ELi33ELi32ELi16EiPK19rocblas_complex_numIdEPKS3_PS1_EviT6_lT7_lT5_lS8_lS9_lS7_lT8_i.uses_flat_scratch, 1
	.set _ZL26rocblas_hemvn_kernel_lowerILb1ELi64ELi4ELi33ELi32ELi16EiPK19rocblas_complex_numIdEPKS3_PS1_EviT6_lT7_lT5_lS8_lS9_lS7_lT8_i.has_dyn_sized_stack, 0
	.set _ZL26rocblas_hemvn_kernel_lowerILb1ELi64ELi4ELi33ELi32ELi16EiPK19rocblas_complex_numIdEPKS3_PS1_EviT6_lT7_lT5_lS8_lS9_lS7_lT8_i.has_recursion, 0
	.set _ZL26rocblas_hemvn_kernel_lowerILb1ELi64ELi4ELi33ELi32ELi16EiPK19rocblas_complex_numIdEPKS3_PS1_EviT6_lT7_lT5_lS8_lS9_lS7_lT8_i.has_indirect_call, 0
	.section	.AMDGPU.csdata,"",@progbits
; Kernel info:
; codeLenInByte = 8648
; TotalNumSgprs: 92
; NumVgprs: 246
; ScratchSize: 0
; MemoryBound: 0
; FloatMode: 240
; IeeeMode: 1
; LDSByteSize: 19200 bytes/workgroup (compile time only)
; SGPRBlocks: 0
; VGPRBlocks: 15
; NumSGPRsForWavesPerEU: 92
; NumVGPRsForWavesPerEU: 246
; NamedBarCnt: 0
; Occupancy: 4
; WaveLimiterHint : 0
; COMPUTE_PGM_RSRC2:SCRATCH_EN: 0
; COMPUTE_PGM_RSRC2:USER_SGPR: 2
; COMPUTE_PGM_RSRC2:TRAP_HANDLER: 0
; COMPUTE_PGM_RSRC2:TGID_X_EN: 1
; COMPUTE_PGM_RSRC2:TGID_Y_EN: 0
; COMPUTE_PGM_RSRC2:TGID_Z_EN: 1
; COMPUTE_PGM_RSRC2:TIDIG_COMP_CNT: 1
	.section	.text._ZL36rocblas_hemvn_kernel_lower_block_sumILi64EiPK19rocblas_complex_numIdEPKPS1_S1_EviT1_lS7_lT2_lT0_lPT3_i,"axG",@progbits,_ZL36rocblas_hemvn_kernel_lower_block_sumILi64EiPK19rocblas_complex_numIdEPKPS1_S1_EviT1_lS7_lT2_lT0_lPT3_i,comdat
	.globl	_ZL36rocblas_hemvn_kernel_lower_block_sumILi64EiPK19rocblas_complex_numIdEPKPS1_S1_EviT1_lS7_lT2_lT0_lPT3_i ; -- Begin function _ZL36rocblas_hemvn_kernel_lower_block_sumILi64EiPK19rocblas_complex_numIdEPKPS1_S1_EviT1_lS7_lT2_lT0_lPT3_i
	.p2align	8
	.type	_ZL36rocblas_hemvn_kernel_lower_block_sumILi64EiPK19rocblas_complex_numIdEPKPS1_S1_EviT1_lS7_lT2_lT0_lPT3_i,@function
_ZL36rocblas_hemvn_kernel_lower_block_sumILi64EiPK19rocblas_complex_numIdEPKPS1_S1_EviT1_lS7_lT2_lT0_lPT3_i: ; @_ZL36rocblas_hemvn_kernel_lower_block_sumILi64EiPK19rocblas_complex_numIdEPKPS1_S1_EviT1_lS7_lT2_lT0_lPT3_i
; %bb.0:
	s_load_b32 s3, s[0:1], 0x50
	s_bfe_u32 s2, ttmp6, 0x40014
	s_lshr_b32 s4, ttmp7, 16
	s_add_co_i32 s2, s2, 1
	s_bfe_u32 s6, ttmp6, 0x40008
	s_mul_i32 s5, s4, s2
	s_getreg_b32 s2, hwreg(HW_REG_IB_STS2, 6, 4)
	s_add_co_i32 s6, s6, s5
	s_cmp_eq_u32 s2, 0
	s_mov_b32 s17, 0
	s_cselect_b32 s16, s4, s6
	s_wait_kmcnt 0x0
	s_cmp_ge_u32 s16, s3
	s_cbranch_scc1 .LBB59_26
; %bb.1:
	s_clause 0x2
	s_load_b32 s20, s[0:1], 0x0
	s_load_b32 s21, s[0:1], 0x38
	s_load_b64 s[18:19], s[0:1], 0x48
	s_bfe_u32 s4, ttmp6, 0x4000c
	s_and_b32 s5, ttmp6, 15
	s_add_co_i32 s4, s4, 1
	v_mov_b32_e32 v18, 0
	s_mul_i32 s4, ttmp9, s4
	s_delay_alu instid0(SALU_CYCLE_1)
	s_add_co_i32 s5, s5, s4
	s_cmp_eq_u32 s2, 0
	s_cselect_b32 s24, ttmp9, s5
	s_clause 0x1
	s_load_b128 s[12:15], s[0:1], 0x28
	s_load_b256 s[4:11], s[0:1], 0x8
	v_lshl_or_b32 v2, s24, 6, v0
	s_wait_kmcnt 0x0
	s_delay_alu instid0(VALU_DEP_1) | instskip(SKIP_3) | instid1(SALU_CYCLE_1)
	v_mad_u32 v0, s20, s24, v2
	v_mul_lo_u32 v12, s21, v2
	v_cmp_gt_i32_e64 s2, s20, v2
	s_ashr_i32 s21, s20, 31
	s_lshl_b64 s[20:21], s[20:21], 4
	v_ashrrev_i32_e32 v1, 31, v0
	v_ashrrev_i32_e32 v13, 31, v12
	s_lshl_b64 s[14:15], s[14:15], 4
	s_delay_alu instid0(VALU_DEP_2) | instskip(SKIP_1) | instid1(VALU_DEP_1)
	v_lshl_add_u64 v[0:1], v[0:1], 4, s[18:19]
	s_add_nc_u64 s[18:19], s[0:1], 0x58
	v_add_nc_u64_e32 v[14:15], 8, v[0:1]
	s_branch .LBB59_4
.LBB59_2:                               ;   in Loop: Header=BB59_4 Depth=1
	s_wait_xcnt 0x0
	s_or_b32 exec_lo, exec_lo, s0
.LBB59_3:                               ;   in Loop: Header=BB59_4 Depth=1
	s_add_co_i32 s16, s16, 0x10000
	s_delay_alu instid0(SALU_CYCLE_1)
	s_cmp_lt_u32 s16, s3
	s_cbranch_scc0 .LBB59_26
.LBB59_4:                               ; =>This Loop Header: Depth=1
                                        ;     Child Loop BB59_17 Depth 2
	s_mul_u64 s[0:1], s[6:7], s[16:17]
	s_delay_alu instid0(SALU_CYCLE_1) | instskip(NEXT) | instid1(SALU_CYCLE_1)
	s_lshl_b64 s[0:1], s[0:1], 4
	s_add_nc_u64 s[0:1], s[4:5], s[0:1]
	global_load_b128 v[4:7], v18, s[0:1]
	s_wait_xcnt 0x0
	s_mul_u64 s[0:1], s[10:11], s[16:17]
	s_delay_alu instid0(SALU_CYCLE_1) | instskip(NEXT) | instid1(SALU_CYCLE_1)
	s_lshl_b64 s[0:1], s[0:1], 4
	s_add_nc_u64 s[0:1], s[8:9], s[0:1]
	s_wait_loadcnt 0x1
	global_load_b128 v[0:3], v18, s[0:1]
	s_wait_loadcnt 0x1
	v_cmp_neq_f64_e32 vcc_lo, 0, v[4:5]
	s_wait_xcnt 0x0
	v_cmp_neq_f64_e64 s0, 0, v[6:7]
	s_or_b32 s1, vcc_lo, s0
	s_mov_b32 s0, -1
	s_and_b32 vcc_lo, exec_lo, s1
	s_cbranch_vccz .LBB59_6
; %bb.5:                                ;   in Loop: Header=BB59_4 Depth=1
	s_and_not1_b32 vcc_lo, exec_lo, s0
	s_cbranch_vccnz .LBB59_3
	s_branch .LBB59_7
.LBB59_6:                               ;   in Loop: Header=BB59_4 Depth=1
	s_wait_loadcnt 0x0
	v_cmp_neq_f64_e32 vcc_lo, 1.0, v[0:1]
	v_cmp_neq_f64_e64 s0, 0, v[2:3]
	s_or_b32 s0, vcc_lo, s0
	s_delay_alu instid0(SALU_CYCLE_1)
	s_and_not1_b32 vcc_lo, exec_lo, s0
	s_cbranch_vccnz .LBB59_3
.LBB59_7:                               ;   in Loop: Header=BB59_4 Depth=1
	s_lshl_b64 s[22:23], s[16:17], 3
	s_xor_b32 s0, s1, -1
	s_add_nc_u64 s[22:23], s[12:13], s[22:23]
	s_and_not1_b32 vcc_lo, exec_lo, s0
	s_load_b64 s[22:23], s[22:23], 0x0
	s_wait_kmcnt 0x0
	s_wait_xcnt 0x0
	s_add_nc_u64 s[22:23], s[22:23], s[14:15]
	s_cbranch_vccnz .LBB59_12
; %bb.8:                                ;   in Loop: Header=BB59_4 Depth=1
	s_mov_b32 s1, 0
	s_mov_b32 s25, 0
                                        ; implicit-def: $vgpr10_vgpr11
	s_and_saveexec_b32 s26, s2
	s_cbranch_execz .LBB59_13
; %bb.9:                                ;   in Loop: Header=BB59_4 Depth=1
	s_wait_loadcnt 0x0
	v_cmp_neq_f64_e32 vcc_lo, 0, v[0:1]
	v_cmp_neq_f64_e64 s0, 0, v[2:3]
	v_mov_b64_e32 v[10:11], 0
	v_mov_b64_e32 v[8:9], 0
	s_or_b32 s0, vcc_lo, s0
	s_delay_alu instid0(SALU_CYCLE_1)
	s_and_not1_b32 vcc_lo, exec_lo, s0
	s_cbranch_vccnz .LBB59_11
; %bb.10:                               ;   in Loop: Header=BB59_4 Depth=1
	v_lshl_add_u64 v[8:9], v[12:13], 4, s[22:23]
	flat_load_b128 v[20:23], v[8:9]
	s_wait_loadcnt_dscnt 0x0
	s_wait_xcnt 0x0
	v_mul_f64_e32 v[8:9], v[2:3], v[22:23]
	v_mul_f64_e32 v[10:11], v[0:1], v[22:23]
	s_delay_alu instid0(VALU_DEP_2) | instskip(NEXT) | instid1(VALU_DEP_2)
	v_fma_f64 v[8:9], v[0:1], v[20:21], -v[8:9]
	v_fmac_f64_e32 v[10:11], v[2:3], v[20:21]
.LBB59_11:                              ;   in Loop: Header=BB59_4 Depth=1
	s_mov_b32 s25, exec_lo
	s_or_b32 exec_lo, exec_lo, s26
	s_delay_alu instid0(SALU_CYCLE_1)
	s_and_b32 vcc_lo, exec_lo, s1
	s_cbranch_vccnz .LBB59_14
	s_branch .LBB59_24
.LBB59_12:                              ;   in Loop: Header=BB59_4 Depth=1
	s_mov_b32 s25, 0
                                        ; implicit-def: $vgpr10_vgpr11
	s_cbranch_execnz .LBB59_14
	s_branch .LBB59_24
.LBB59_13:                              ;   in Loop: Header=BB59_4 Depth=1
	s_or_b32 exec_lo, exec_lo, s26
	s_delay_alu instid0(SALU_CYCLE_1)
	s_and_b32 vcc_lo, exec_lo, s1
	s_cbranch_vccz .LBB59_24
.LBB59_14:                              ;   in Loop: Header=BB59_4 Depth=1
                                        ; implicit-def: $vgpr10_vgpr11
	s_and_saveexec_b32 s26, s2
	s_cbranch_execz .LBB59_23
; %bb.15:                               ;   in Loop: Header=BB59_4 Depth=1
	s_load_b32 s0, s[18:19], 0x0
	v_mov_b64_e32 v[8:9], 0
	v_mov_b64_e32 v[16:17], 0
	s_wait_kmcnt 0x0
	s_cmp_ge_i32 s24, s0
	s_cbranch_scc1 .LBB59_18
; %bb.16:                               ;   in Loop: Header=BB59_4 Depth=1
	s_mov_b32 s1, s17
	v_mov_b64_e32 v[8:9], 0
	s_mul_u64 s[28:29], s[20:21], s[0:1]
	v_mov_b64_e32 v[16:17], 0
	v_mad_nc_u64_u32 v[10:11], s28, s16, v[14:15]
	s_mov_b32 s1, s24
	s_delay_alu instid0(VALU_DEP_1)
	v_mad_u32 v11, s29, s16, v11
.LBB59_17:                              ;   Parent Loop BB59_4 Depth=1
                                        ; =>  This Inner Loop Header: Depth=2
	global_load_b128 v[20:23], v[10:11], off offset:-8
	s_wait_xcnt 0x0
	v_add_nc_u64_e32 v[10:11], s[20:21], v[10:11]
	s_add_co_i32 s1, s1, 1
	s_delay_alu instid0(SALU_CYCLE_1)
	s_cmp_ge_i32 s1, s0
	s_wait_loadcnt 0x0
	v_add_f64_e32 v[16:17], v[16:17], v[20:21]
	v_add_f64_e32 v[8:9], v[8:9], v[22:23]
	s_cbranch_scc0 .LBB59_17
.LBB59_18:                              ;   in Loop: Header=BB59_4 Depth=1
	s_delay_alu instid0(VALU_DEP_1) | instskip(SKIP_4) | instid1(VALU_DEP_4)
	v_mul_f64_e32 v[20:21], v[6:7], v[8:9]
	v_mul_f64_e32 v[10:11], v[4:5], v[8:9]
	s_wait_loadcnt 0x0
	v_cmp_neq_f64_e32 vcc_lo, 0, v[0:1]
	v_cmp_neq_f64_e64 s0, 0, v[2:3]
	v_fma_f64 v[8:9], v[4:5], v[16:17], -v[20:21]
	s_delay_alu instid0(VALU_DEP_4) | instskip(SKIP_1) | instid1(SALU_CYCLE_1)
	v_fmac_f64_e32 v[10:11], v[6:7], v[16:17]
	s_or_b32 s0, vcc_lo, s0
	s_and_not1_b32 vcc_lo, exec_lo, s0
	s_mov_b32 s0, -1
	s_cbranch_vccz .LBB59_20
; %bb.19:                               ;   in Loop: Header=BB59_4 Depth=1
	s_mov_b32 s0, 0
.LBB59_20:                              ;   in Loop: Header=BB59_4 Depth=1
	s_delay_alu instid0(SALU_CYCLE_1)
	s_and_not1_b32 vcc_lo, exec_lo, s0
	s_cbranch_vccnz .LBB59_22
; %bb.21:                               ;   in Loop: Header=BB59_4 Depth=1
	v_lshl_add_u64 v[4:5], v[12:13], 4, s[22:23]
	flat_load_b128 v[4:7], v[4:5]
	s_wait_loadcnt_dscnt 0x0
	v_mul_f64_e32 v[16:17], v[2:3], v[6:7]
	v_mul_f64_e32 v[6:7], v[0:1], v[6:7]
	s_delay_alu instid0(VALU_DEP_2) | instskip(NEXT) | instid1(VALU_DEP_2)
	v_fma_f64 v[0:1], v[0:1], v[4:5], -v[16:17]
	v_fmac_f64_e32 v[6:7], v[2:3], v[4:5]
	s_delay_alu instid0(VALU_DEP_2) | instskip(NEXT) | instid1(VALU_DEP_2)
	v_add_f64_e32 v[8:9], v[8:9], v[0:1]
	v_add_f64_e32 v[10:11], v[10:11], v[6:7]
.LBB59_22:                              ;   in Loop: Header=BB59_4 Depth=1
	s_or_b32 s25, s25, exec_lo
.LBB59_23:                              ;   in Loop: Header=BB59_4 Depth=1
	s_wait_xcnt 0x0
	s_or_b32 exec_lo, exec_lo, s26
.LBB59_24:                              ;   in Loop: Header=BB59_4 Depth=1
	s_and_saveexec_b32 s0, s25
	s_cbranch_execz .LBB59_2
; %bb.25:                               ;   in Loop: Header=BB59_4 Depth=1
	s_wait_loadcnt 0x0
	v_lshl_add_u64 v[0:1], v[12:13], 4, s[22:23]
	flat_store_b128 v[0:1], v[8:11]
	s_branch .LBB59_2
.LBB59_26:
	s_endpgm
	.section	.rodata,"a",@progbits
	.p2align	6, 0x0
	.amdhsa_kernel _ZL36rocblas_hemvn_kernel_lower_block_sumILi64EiPK19rocblas_complex_numIdEPKPS1_S1_EviT1_lS7_lT2_lT0_lPT3_i
		.amdhsa_group_segment_fixed_size 0
		.amdhsa_private_segment_fixed_size 0
		.amdhsa_kernarg_size 344
		.amdhsa_user_sgpr_count 2
		.amdhsa_user_sgpr_dispatch_ptr 0
		.amdhsa_user_sgpr_queue_ptr 0
		.amdhsa_user_sgpr_kernarg_segment_ptr 1
		.amdhsa_user_sgpr_dispatch_id 0
		.amdhsa_user_sgpr_kernarg_preload_length 0
		.amdhsa_user_sgpr_kernarg_preload_offset 0
		.amdhsa_user_sgpr_private_segment_size 0
		.amdhsa_wavefront_size32 1
		.amdhsa_uses_dynamic_stack 0
		.amdhsa_enable_private_segment 0
		.amdhsa_system_sgpr_workgroup_id_x 1
		.amdhsa_system_sgpr_workgroup_id_y 0
		.amdhsa_system_sgpr_workgroup_id_z 1
		.amdhsa_system_sgpr_workgroup_info 0
		.amdhsa_system_vgpr_workitem_id 0
		.amdhsa_next_free_vgpr 24
		.amdhsa_next_free_sgpr 30
		.amdhsa_named_barrier_count 0
		.amdhsa_reserve_vcc 1
		.amdhsa_float_round_mode_32 0
		.amdhsa_float_round_mode_16_64 0
		.amdhsa_float_denorm_mode_32 3
		.amdhsa_float_denorm_mode_16_64 3
		.amdhsa_fp16_overflow 0
		.amdhsa_memory_ordered 1
		.amdhsa_forward_progress 1
		.amdhsa_inst_pref_size 8
		.amdhsa_round_robin_scheduling 0
		.amdhsa_exception_fp_ieee_invalid_op 0
		.amdhsa_exception_fp_denorm_src 0
		.amdhsa_exception_fp_ieee_div_zero 0
		.amdhsa_exception_fp_ieee_overflow 0
		.amdhsa_exception_fp_ieee_underflow 0
		.amdhsa_exception_fp_ieee_inexact 0
		.amdhsa_exception_int_div_zero 0
	.end_amdhsa_kernel
	.section	.text._ZL36rocblas_hemvn_kernel_lower_block_sumILi64EiPK19rocblas_complex_numIdEPKPS1_S1_EviT1_lS7_lT2_lT0_lPT3_i,"axG",@progbits,_ZL36rocblas_hemvn_kernel_lower_block_sumILi64EiPK19rocblas_complex_numIdEPKPS1_S1_EviT1_lS7_lT2_lT0_lPT3_i,comdat
.Lfunc_end59:
	.size	_ZL36rocblas_hemvn_kernel_lower_block_sumILi64EiPK19rocblas_complex_numIdEPKPS1_S1_EviT1_lS7_lT2_lT0_lPT3_i, .Lfunc_end59-_ZL36rocblas_hemvn_kernel_lower_block_sumILi64EiPK19rocblas_complex_numIdEPKPS1_S1_EviT1_lS7_lT2_lT0_lPT3_i
                                        ; -- End function
	.set _ZL36rocblas_hemvn_kernel_lower_block_sumILi64EiPK19rocblas_complex_numIdEPKPS1_S1_EviT1_lS7_lT2_lT0_lPT3_i.num_vgpr, 24
	.set _ZL36rocblas_hemvn_kernel_lower_block_sumILi64EiPK19rocblas_complex_numIdEPKPS1_S1_EviT1_lS7_lT2_lT0_lPT3_i.num_agpr, 0
	.set _ZL36rocblas_hemvn_kernel_lower_block_sumILi64EiPK19rocblas_complex_numIdEPKPS1_S1_EviT1_lS7_lT2_lT0_lPT3_i.numbered_sgpr, 30
	.set _ZL36rocblas_hemvn_kernel_lower_block_sumILi64EiPK19rocblas_complex_numIdEPKPS1_S1_EviT1_lS7_lT2_lT0_lPT3_i.num_named_barrier, 0
	.set _ZL36rocblas_hemvn_kernel_lower_block_sumILi64EiPK19rocblas_complex_numIdEPKPS1_S1_EviT1_lS7_lT2_lT0_lPT3_i.private_seg_size, 0
	.set _ZL36rocblas_hemvn_kernel_lower_block_sumILi64EiPK19rocblas_complex_numIdEPKPS1_S1_EviT1_lS7_lT2_lT0_lPT3_i.uses_vcc, 1
	.set _ZL36rocblas_hemvn_kernel_lower_block_sumILi64EiPK19rocblas_complex_numIdEPKPS1_S1_EviT1_lS7_lT2_lT0_lPT3_i.uses_flat_scratch, 0
	.set _ZL36rocblas_hemvn_kernel_lower_block_sumILi64EiPK19rocblas_complex_numIdEPKPS1_S1_EviT1_lS7_lT2_lT0_lPT3_i.has_dyn_sized_stack, 0
	.set _ZL36rocblas_hemvn_kernel_lower_block_sumILi64EiPK19rocblas_complex_numIdEPKPS1_S1_EviT1_lS7_lT2_lT0_lPT3_i.has_recursion, 0
	.set _ZL36rocblas_hemvn_kernel_lower_block_sumILi64EiPK19rocblas_complex_numIdEPKPS1_S1_EviT1_lS7_lT2_lT0_lPT3_i.has_indirect_call, 0
	.section	.AMDGPU.csdata,"",@progbits
; Kernel info:
; codeLenInByte = 928
; TotalNumSgprs: 32
; NumVgprs: 24
; ScratchSize: 0
; MemoryBound: 0
; FloatMode: 240
; IeeeMode: 1
; LDSByteSize: 0 bytes/workgroup (compile time only)
; SGPRBlocks: 0
; VGPRBlocks: 1
; NumSGPRsForWavesPerEU: 32
; NumVGPRsForWavesPerEU: 24
; NamedBarCnt: 0
; Occupancy: 16
; WaveLimiterHint : 1
; COMPUTE_PGM_RSRC2:SCRATCH_EN: 0
; COMPUTE_PGM_RSRC2:USER_SGPR: 2
; COMPUTE_PGM_RSRC2:TRAP_HANDLER: 0
; COMPUTE_PGM_RSRC2:TGID_X_EN: 1
; COMPUTE_PGM_RSRC2:TGID_Y_EN: 0
; COMPUTE_PGM_RSRC2:TGID_Z_EN: 1
; COMPUTE_PGM_RSRC2:TIDIG_COMP_CNT: 0
	.section	.text._ZL26rocblas_hemvn_kernel_lowerILb1ELi64ELi4ELi33ELi32ELi16El19rocblas_complex_numIdEPKPKS1_PS1_EviT6_lT7_lT5_lS8_lS9_lS7_lT8_i,"axG",@progbits,_ZL26rocblas_hemvn_kernel_lowerILb1ELi64ELi4ELi33ELi32ELi16El19rocblas_complex_numIdEPKPKS1_PS1_EviT6_lT7_lT5_lS8_lS9_lS7_lT8_i,comdat
	.globl	_ZL26rocblas_hemvn_kernel_lowerILb1ELi64ELi4ELi33ELi32ELi16El19rocblas_complex_numIdEPKPKS1_PS1_EviT6_lT7_lT5_lS8_lS9_lS7_lT8_i ; -- Begin function _ZL26rocblas_hemvn_kernel_lowerILb1ELi64ELi4ELi33ELi32ELi16El19rocblas_complex_numIdEPKPKS1_PS1_EviT6_lT7_lT5_lS8_lS9_lS7_lT8_i
	.p2align	8
	.type	_ZL26rocblas_hemvn_kernel_lowerILb1ELi64ELi4ELi33ELi32ELi16El19rocblas_complex_numIdEPKPKS1_PS1_EviT6_lT7_lT5_lS8_lS9_lS7_lT8_i,@function
_ZL26rocblas_hemvn_kernel_lowerILb1ELi64ELi4ELi33ELi32ELi16El19rocblas_complex_numIdEPKPKS1_PS1_EviT6_lT7_lT5_lS8_lS9_lS7_lT8_i: ; @_ZL26rocblas_hemvn_kernel_lowerILb1ELi64ELi4ELi33ELi32ELi16El19rocblas_complex_numIdEPKPKS1_PS1_EviT6_lT7_lT5_lS8_lS9_lS7_lT8_i
; %bb.0:
	s_clause 0x1
	s_load_b64 s[2:3], s[0:1], 0x94
	s_load_b32 s23, s[0:1], 0x80
	s_bfe_u32 s4, ttmp6, 0x40014
	s_lshr_b32 s5, ttmp7, 16
	s_add_co_i32 s4, s4, 1
	s_bfe_u32 s6, ttmp6, 0x40008
	s_mul_i32 s4, s5, s4
	s_getreg_b32 s8, hwreg(HW_REG_IB_STS2, 6, 4)
	s_add_co_i32 s6, s6, s4
	s_mov_b32 s37, 0
	s_wait_kmcnt 0x0
	s_lshr_b32 s4, s2, 16
	s_and_b32 s2, s2, 0xffff
	s_and_b32 s3, s3, 0xffff
	s_mul_i32 s2, s4, s2
	s_cmp_eq_u32 s8, 0
	s_mul_i32 s2, s2, s3
	s_cselect_b32 s34, s5, s6
	s_cmp_lg_u32 s2, 0x100
	s_cselect_b32 s2, -1, 0
	s_cmp_ge_u32 s34, s23
	s_cselect_b32 s3, -1, 0
	s_delay_alu instid0(SALU_CYCLE_1) | instskip(NEXT) | instid1(SALU_CYCLE_1)
	s_or_b32 s2, s2, s3
	s_and_b32 vcc_lo, exec_lo, s2
	s_cbranch_vccnz .LBB60_137
; %bb.1:
	s_clause 0x3
	s_load_b128 s[4:7], s[0:1], 0x8
	s_load_b128 s[12:15], s[0:1], 0x60
	s_load_b32 s10, s[0:1], 0x0
	s_load_b64 s[2:3], s[0:1], 0x78
	s_add_nc_u64 s[16:17], s[0:1], 0x88
	s_clause 0x3
	s_load_b128 s[24:27], s[0:1], 0x20
	s_load_b64 s[66:67], s[0:1], 0x30
	s_load_b64 s[38:39], s[0:1], 0x50
	s_load_b128 s[28:31], s[0:1], 0x40
	v_bfe_u32 v1, v0, 10, 10
	s_load_b32 s36, s[16:17], 0x0
	s_wait_xcnt 0x0
	s_bfe_u32 s0, ttmp6, 0x4000c
	v_and_b32_e32 v148, 0x3ff, v0
	s_add_co_i32 s0, s0, 1
	v_dual_lshlrev_b32 v4, 6, v1 :: v_dual_bitop2_b32 v150, 31, v0 bitop3:0x40
	s_mul_i32 s9, ttmp9, s0
	v_mov_b32_e32 v151, 0
	v_cmp_eq_u32_e64 s0, 0, v1
	s_delay_alu instid0(VALU_DEP_3) | instskip(SKIP_1) | instid1(VALU_DEP_4)
	v_dual_add_nc_u32 v5, v4, v148 :: v_dual_lshlrev_b32 v149, 4, v148
	v_mul_u32_u24_e32 v14, 33, v150
	v_sub_nc_u64_e32 v[158:159], 0, v[150:151]
	s_wait_kmcnt 0x0
	v_cmp_eq_f64_e64 s1, s[4:5], 0
	v_cmp_eq_f64_e64 s5, s[6:7], 0
	v_cmp_neq_f64_e64 s6, s[12:13], 1.0
	v_cmp_neq_f64_e64 s7, s[14:15], 0
	s_and_b32 s4, ttmp6, 15
	s_ashr_i32 s11, s10, 31
	s_add_co_i32 s4, s4, s9
	s_cmp_eq_u32 s8, 0
	v_lshrrev_b32_e32 v2, 5, v5
	s_cselect_b32 s33, ttmp9, s4
	s_lshr_b32 s4, s11, 26
	s_lshl_b32 s72, s33, 6
	s_delay_alu instid0(SALU_CYCLE_1) | instskip(SKIP_2) | instid1(VALU_DEP_2)
	v_dual_lshlrev_b32 v6, 4, v150 :: v_dual_add_nc_u32 v154, s72, v148
	s_add_co_i32 s9, s10, s4
	v_dual_add_nc_u32 v8, 24, v2 :: v_dual_lshlrev_b32 v9, 2, v2
	v_lshl_or_b32 v10, v150, 9, v6
	v_lshlrev_b32_e32 v11, 6, v2
	s_and_not1_b32 s9, s9, 63
	s_add_co_i32 s8, s36, -1
	s_sub_co_i32 s9, s10, s9
	v_mad_nc_u64_u32 v[152:153], s66, v2, v[150:151]
	v_dual_add_nc_u32 v174, v10, v11 :: v_dual_bitop2_b32 v10, 2, v9 bitop3:0x54
	s_mul_u64 s[40:41], s[36:37], s[10:11]
	v_dual_add_nc_u32 v3, 8, v2 :: v_dual_add_nc_u32 v7, 16, v2
	v_lshlrev_b32_e32 v177, 4, v14
	s_delay_alu instid0(VALU_DEP_3)
	v_cmp_ge_u32_e64 s11, v10, v150
	v_cmp_eq_u32_e64 s12, v10, v150
	v_lshlrev_b32_e32 v10, 4, v2
	s_mul_i32 s4, s10, s33
	s_and_b32 s76, s1, s5
	v_add_nc_u32_e32 v168, 0x4700, v149
	s_or_b32 s77, s6, s7
	s_cmp_eq_u32 s33, s8
	v_mad_u32_u24 v169, 0x210, v2, v6
	s_cselect_b32 s42, s9, 0
	v_dual_ashrrev_i32 v155, 31, v154 :: v_dual_bitop2_b32 v12, 1, v9 bitop3:0x54
	s_cmp_eq_u32 s42, 0
	v_cmp_le_i32_e64 s6, s42, v8
	s_cselect_b32 s78, -1, 0
	s_cmp_lg_u32 s42, 0
	v_mad_u32 v153, s67, v2, v153
	s_cselect_b32 s1, -1, 0
	s_sub_co_i32 s20, s42, 32
	s_ashr_i32 s5, s4, 31
	v_cmp_le_i32_e64 s17, s20, v2
	v_cmp_le_i32_e64 s18, s20, v3
	;; [unrolled: 1-line block ×4, first 2 shown]
	v_dual_lshrrev_b32 v8, 4, v5 :: v_dual_add_nc_u32 v180, v177, v10
	s_lshl_b64 s[4:5], s[4:5], 4
	v_mul_u32_u24_e32 v13, 0x840, v2
	s_add_nc_u64 s[50:51], s[2:3], s[4:5]
	v_cmp_le_i32_e64 s3, s42, v2
	v_cmp_le_i32_e64 s4, s42, v3
	;; [unrolled: 1-line block ×3, first 2 shown]
	v_cmp_eq_u32_e64 s21, 1, v2
	v_mul_i32_i24_e32 v7, 0xffffffd0, v2
	v_mad_u32_u24 v181, v2, 48, v180
	v_dual_mov_b32 v3, v151 :: v_dual_lshlrev_b32 v2, 2, v1
	v_mul_u64_e32 v[156:157], s[38:39], v[154:155]
	v_cmp_ge_u32_e64 s7, v9, v150
	v_cmp_eq_u32_e64 s8, v9, v150
	v_or_b32_e32 v9, 3, v9
	v_mul_u64_e32 v[162:163], s[66:67], v[2:3]
	v_dual_add_nc_u32 v178, 48, v174 :: v_dual_lshlrev_b32 v2, 6, v8
	v_cmp_le_i32_e32 vcc_lo, s42, v148
	s_delay_alu instid0(VALU_DEP_4)
	v_cmp_ge_u32_e64 s13, v9, v150
	v_cmp_eq_u32_e64 s14, v9, v150
	v_or_b32_e32 v9, 32, v150
	v_cmp_ge_u32_e64 s9, v12, v150
	v_cmp_eq_u32_e64 s10, v12, v150
	v_mul_u32_u24_e32 v12, 0x210, v12
	v_add_nc_u32_e32 v179, 0x4700, v11
	v_cmp_gt_i32_e64 s16, s42, v9
	v_and_b32_e32 v9, 15, v0
	v_and_b32_e32 v0, 48, v0
	v_or_b32_e32 v3, 0xf0, v149
	s_and_b32 s1, s1, vcc_lo
	v_sub_nc_u64_e32 v[160:161], 0, v[152:153]
	v_mad_u32_u24 v185, 0x430, v9, v2
	v_dual_lshlrev_b32 v0, 4, v0 :: v_dual_add_nc_u32 v190, v6, v13
	v_mul_i32_i24_e32 v2, 0xffffffd0, v8
	s_ashr_i32 s73, s72, 31
	v_add_nc_u32_e32 v170, 0x1080, v169
	v_add_nc_u32_e32 v171, 0x2100, v169
	s_lshl_b64 s[44:45], s[66:67], 7
	s_lshl_b64 s[46:47], s[66:67], 8
	v_add_nc_u32_e32 v172, 0x3180, v169
	v_cmp_gt_i32_e64 s2, s42, v150
	s_ashr_i32 s43, s42, 31
	v_mad_u32_u24 v173, 0x210, v150, v6
	v_dual_add_nc_u32 v175, 16, v174 :: v_dual_add_nc_u32 v176, 32, v174
	v_cmp_gt_u32_e64 s15, 32, v5
	s_lshl_b64 s[54:55], s[66:67], 5
	s_xor_b32 s35, s1, -1
	v_add_nc_u32_e32 v182, 0x4300, v149
	v_add_nc_u32_e32 v183, 0x4300, v4
	v_mad_u32_u24 v184, 0x10c0, v1, v149
	v_cmp_gt_u32_e64 s22, 64, v5
	v_mad_u32_u24 v186, 0x430, v9, v0
	v_mad_u32_u24 v187, 0x430, v9, v3
	;; [unrolled: 1-line block ×3, first 2 shown]
	v_add_nc_u32_e32 v189, 0x4700, v10
	v_dual_add_nc_u32 v191, v6, v12 :: v_dual_add_nc_u32 v192, v179, v7
	v_add_nc_u32_e32 v193, v185, v2
	v_lshlrev_b32_e32 v150, 4, v150
	s_mul_u64 s[48:49], s[66:67], s[72:73]
	s_mul_u64 s[58:59], s[38:39], s[72:73]
	s_cmp_gt_i32 s33, 0
	s_mul_u64 s[52:53], s[66:67], 0x180
	s_sub_nc_u64 s[56:57], 0, s[54:55]
	s_sub_nc_u64 s[58:59], 0, s[58:59]
	s_cselect_b32 s79, -1, 0
	s_sub_nc_u64 s[60:61], 0, s[48:49]
	s_and_b32 s80, s0, s35
	s_sub_nc_u64 s[62:63], 0, s[42:43]
	s_lshl_b64 s[64:65], s[66:67], 4
	s_mul_u64 s[66:67], s[66:67], 0xd0
	s_mov_b64 s[68:69], 0xfffffffffffffdf0
	s_mov_b64 s[70:71], 0xfffffffffffffe00
	s_lshl_b64 s[30:31], s[30:31], 4
	s_lshl_b64 s[26:27], s[26:27], 4
	s_lshl_b64 s[72:73], s[72:73], 4
	s_branch .LBB60_4
.LBB60_2:                               ;   in Loop: Header=BB60_4 Depth=1
	s_wait_xcnt 0x0
	s_or_b32 exec_lo, exec_lo, s35
.LBB60_3:                               ;   in Loop: Header=BB60_4 Depth=1
	s_add_co_i32 s34, s34, 0x10000
	s_delay_alu instid0(SALU_CYCLE_1)
	s_cmp_lt_u32 s34, s23
	s_cbranch_scc0 .LBB60_137
.LBB60_4:                               ; =>This Loop Header: Depth=1
                                        ;     Child Loop BB60_113 Depth 2
	s_and_not1_b32 vcc_lo, exec_lo, s76
	s_mov_b32 s35, -1
	s_cbranch_vccz .LBB60_6
; %bb.5:                                ;   in Loop: Header=BB60_4 Depth=1
	s_and_not1_b32 vcc_lo, exec_lo, s35
	s_cbranch_vccnz .LBB60_3
	s_branch .LBB60_7
.LBB60_6:                               ;   in Loop: Header=BB60_4 Depth=1
	s_and_b32 vcc_lo, exec_lo, s77
	s_cbranch_execnz .LBB60_3
.LBB60_7:                               ;   in Loop: Header=BB60_4 Depth=1
	v_mov_b32_e32 v0, s34
	s_clause 0x1
	global_load_b64 v[2:3], v0, s[28:29] scale_offset
	global_load_b64 v[0:1], v0, s[24:25] scale_offset
	s_wait_loadcnt 0x1
	v_add_nc_u64_e32 v[2:3], s[30:31], v[2:3]
	s_delay_alu instid0(VALU_DEP_1)
	v_lshl_add_u64 v[36:37], v[156:157], 4, v[2:3]
	s_wait_xcnt 0x0
	s_and_saveexec_b32 s35, s0
	s_cbranch_execz .LBB60_12
; %bb.8:                                ;   in Loop: Header=BB60_4 Depth=1
	s_and_saveexec_b32 s36, s1
	s_delay_alu instid0(SALU_CYCLE_1)
	s_xor_b32 s36, exec_lo, s36
; %bb.9:                                ;   in Loop: Header=BB60_4 Depth=1
	v_dual_mov_b32 v2, v151 :: v_dual_mov_b32 v3, v151
	v_dual_mov_b32 v4, v151 :: v_dual_mov_b32 v5, v151
	ds_store_b128 v168, v[2:5]
; %bb.10:                               ;   in Loop: Header=BB60_4 Depth=1
	s_and_not1_saveexec_b32 s36, s36
	s_cbranch_execz .LBB60_12
; %bb.11:                               ;   in Loop: Header=BB60_4 Depth=1
	flat_load_b128 v[2:5], v[36:37]
	s_wait_loadcnt_dscnt 0x0
	ds_store_2addr_b64 v168, v[2:3], v[4:5] offset1:1
.LBB60_12:                              ;   in Loop: Header=BB60_4 Depth=1
	s_wait_xcnt 0x0
	s_or_b32 exec_lo, exec_lo, s35
	s_wait_loadcnt 0x0
	v_add_nc_u64_e32 v[0:1], s[26:27], v[0:1]
	s_and_not1_b32 vcc_lo, exec_lo, s78
	s_mov_b32 s35, -1
	s_delay_alu instid0(VALU_DEP_1) | instskip(NEXT) | instid1(VALU_DEP_1)
	v_add_nc_u64_e32 v[0:1], s[72:73], v[0:1]
	v_lshl_add_u64 v[0:1], v[152:153], 4, v[0:1]
	s_delay_alu instid0(VALU_DEP_1)
	v_lshl_add_u64 v[4:5], s[48:49], 4, v[0:1]
	s_cbranch_vccnz .LBB60_14
; %bb.13:                               ;   in Loop: Header=BB60_4 Depth=1
	flat_load_b128 v[0:3], v[4:5]
	v_add_nc_u64_e32 v[6:7], s[44:45], v[4:5]
	s_mov_b32 s35, 0
	s_wait_loadcnt_dscnt 0x0
	ds_store_2addr_b64 v169, v[0:1], v[2:3] offset1:1
	flat_load_b128 v[0:3], v[6:7]
	s_wait_xcnt 0x0
	v_add_nc_u64_e32 v[6:7], s[44:45], v[6:7]
	s_wait_loadcnt_dscnt 0x0
	ds_store_2addr_b64 v170, v[0:1], v[2:3] offset1:1
	flat_load_b128 v[0:3], v[6:7]
	s_wait_xcnt 0x0
	v_add_nc_u64_e32 v[6:7], s[44:45], v[6:7]
	s_wait_loadcnt_dscnt 0x0
	ds_store_2addr_b64 v171, v[0:1], v[2:3] offset1:1
	flat_load_b128 v[0:3], v[6:7]
	s_wait_loadcnt_dscnt 0x0
	ds_store_2addr_b64 v172, v[0:1], v[2:3] offset1:1
.LBB60_14:                              ;   in Loop: Header=BB60_4 Depth=1
	s_and_not1_b32 vcc_lo, exec_lo, s35
	s_cbranch_vccnz .LBB60_26
; %bb.15:                               ;   in Loop: Header=BB60_4 Depth=1
	s_wait_xcnt 0x0
	s_and_saveexec_b32 s35, s3
	s_delay_alu instid0(SALU_CYCLE_1)
	s_xor_b32 s35, exec_lo, s35
; %bb.16:                               ;   in Loop: Header=BB60_4 Depth=1
	v_dual_mov_b32 v0, v151 :: v_dual_mov_b32 v1, v151
	v_dual_mov_b32 v2, v151 :: v_dual_mov_b32 v3, v151
	ds_store_b128 v169, v[0:3]
; %bb.17:                               ;   in Loop: Header=BB60_4 Depth=1
	s_or_saveexec_b32 s35, s35
	v_lshl_add_u64 v[0:1], v[158:159], 4, v[4:5]
	s_delay_alu instid0(VALU_DEP_1) | instskip(NEXT) | instid1(VALU_DEP_1)
	v_lshl_add_u64 v[0:1], s[42:43], 4, v[0:1]
	v_add_nc_u64_e32 v[0:1], -16, v[0:1]
	s_delay_alu instid0(VALU_DEP_1)
	v_dual_cndmask_b32 v1, v1, v5, s2 :: v_dual_cndmask_b32 v0, v0, v4, s2
	s_xor_b32 exec_lo, exec_lo, s35
	s_cbranch_execnz .LBB60_119
; %bb.18:                               ;   in Loop: Header=BB60_4 Depth=1
	s_or_b32 exec_lo, exec_lo, s35
	s_and_saveexec_b32 s35, s4
	s_delay_alu instid0(SALU_CYCLE_1)
	s_xor_b32 s35, exec_lo, s35
	s_cbranch_execnz .LBB60_120
.LBB60_19:                              ;   in Loop: Header=BB60_4 Depth=1
	s_and_not1_saveexec_b32 s35, s35
	s_cbranch_execnz .LBB60_121
.LBB60_20:                              ;   in Loop: Header=BB60_4 Depth=1
	s_or_b32 exec_lo, exec_lo, s35
	s_and_saveexec_b32 s35, s5
	s_delay_alu instid0(SALU_CYCLE_1)
	s_xor_b32 s35, exec_lo, s35
	s_cbranch_execnz .LBB60_122
.LBB60_21:                              ;   in Loop: Header=BB60_4 Depth=1
	s_and_not1_saveexec_b32 s35, s35
	s_cbranch_execnz .LBB60_123
.LBB60_22:                              ;   in Loop: Header=BB60_4 Depth=1
	s_or_b32 exec_lo, exec_lo, s35
	s_and_saveexec_b32 s35, s6
	s_delay_alu instid0(SALU_CYCLE_1)
	s_xor_b32 s35, exec_lo, s35
	s_cbranch_execnz .LBB60_124
.LBB60_23:                              ;   in Loop: Header=BB60_4 Depth=1
	s_and_not1_saveexec_b32 s35, s35
	s_cbranch_execz .LBB60_25
.LBB60_24:                              ;   in Loop: Header=BB60_4 Depth=1
	v_add_nc_u64_e32 v[2:3], s[52:53], v[0:1]
	flat_load_b128 v[6:9], v[2:3]
	s_wait_loadcnt_dscnt 0x0
	ds_store_2addr_b64 v172, v[6:7], v[8:9] offset1:1
.LBB60_25:                              ;   in Loop: Header=BB60_4 Depth=1
	s_wait_xcnt 0x0
	s_or_b32 exec_lo, exec_lo, s35
	v_add_nc_u64_e32 v[0:1], v[0:1], v[150:151]
	s_delay_alu instid0(VALU_DEP_1) | instskip(NEXT) | instid1(VALU_DEP_1)
	v_lshl_add_u64 v[0:1], s[62:63], 4, v[0:1]
	v_add_nc_u64_e32 v[0:1], 16, v[0:1]
	s_delay_alu instid0(VALU_DEP_1)
	v_dual_cndmask_b32 v5, v1, v5, s2 :: v_dual_cndmask_b32 v4, v0, v4, s2
.LBB60_26:                              ;   in Loop: Header=BB60_4 Depth=1
	s_mov_b32 s35, s37
	s_mov_b32 s36, 0
	s_wait_dscnt 0x0
	s_barrier_signal -1
	s_barrier_wait -1
	s_wait_xcnt 0x0
	s_and_saveexec_b32 s74, s7
	s_delay_alu instid0(SALU_CYCLE_1)
	s_xor_b32 s74, exec_lo, s74
; %bb.27:                               ;   in Loop: Header=BB60_4 Depth=1
	s_and_b32 s36, s8, exec_lo
; %bb.28:                               ;   in Loop: Header=BB60_4 Depth=1
	s_or_saveexec_b32 s74, s74
	v_mov_b64_e32 v[2:3], 0
	v_mov_b32_e32 v6, v173
	s_xor_b32 exec_lo, exec_lo, s74
	s_cbranch_execz .LBB60_30
; %bb.29:                               ;   in Loop: Header=BB60_4 Depth=1
	ds_load_b128 v[0:3], v190
	v_mov_b32_e32 v6, v174
	s_or_b32 s36, s36, exec_lo
	s_wait_dscnt 0x0
	v_xor_b32_e32 v3, 0x80000000, v3
	ds_store_b64 v174, v[0:1]
.LBB60_30:                              ;   in Loop: Header=BB60_4 Depth=1
	s_or_b32 exec_lo, exec_lo, s74
	s_and_saveexec_b32 s74, s36
; %bb.31:                               ;   in Loop: Header=BB60_4 Depth=1
	ds_store_b64 v6, v[2:3] offset:8
; %bb.32:                               ;   in Loop: Header=BB60_4 Depth=1
	s_or_b32 exec_lo, exec_lo, s74
	s_mov_b32 s36, 0
	s_and_saveexec_b32 s74, s9
	s_delay_alu instid0(SALU_CYCLE_1)
	s_xor_b32 s74, exec_lo, s74
; %bb.33:                               ;   in Loop: Header=BB60_4 Depth=1
	s_and_b32 s36, s10, exec_lo
; %bb.34:                               ;   in Loop: Header=BB60_4 Depth=1
	s_or_saveexec_b32 s74, s74
	v_mov_b64_e32 v[2:3], 0
	v_mov_b32_e32 v6, v173
	s_xor_b32 exec_lo, exec_lo, s74
	s_cbranch_execz .LBB60_36
; %bb.35:                               ;   in Loop: Header=BB60_4 Depth=1
	ds_load_b128 v[0:3], v191
	v_mov_b32_e32 v6, v175
	s_or_b32 s36, s36, exec_lo
	s_wait_dscnt 0x0
	v_xor_b32_e32 v3, 0x80000000, v3
	ds_store_b64 v175, v[0:1]
.LBB60_36:                              ;   in Loop: Header=BB60_4 Depth=1
	s_or_b32 exec_lo, exec_lo, s74
	s_and_saveexec_b32 s74, s36
; %bb.37:                               ;   in Loop: Header=BB60_4 Depth=1
	ds_store_b64 v6, v[2:3] offset:8
; %bb.38:                               ;   in Loop: Header=BB60_4 Depth=1
	s_or_b32 exec_lo, exec_lo, s74
	s_mov_b32 s36, 0
	s_and_saveexec_b32 s74, s11
	s_delay_alu instid0(SALU_CYCLE_1)
	s_xor_b32 s74, exec_lo, s74
; %bb.39:                               ;   in Loop: Header=BB60_4 Depth=1
	s_and_b32 s36, s12, exec_lo
; %bb.40:                               ;   in Loop: Header=BB60_4 Depth=1
	s_or_saveexec_b32 s74, s74
	v_mov_b64_e32 v[2:3], 0
	v_mov_b32_e32 v6, v173
	s_xor_b32 exec_lo, exec_lo, s74
	s_cbranch_execz .LBB60_42
; %bb.41:                               ;   in Loop: Header=BB60_4 Depth=1
	ds_load_b128 v[0:3], v191 offset:528
	v_mov_b32_e32 v6, v176
	s_or_b32 s36, s36, exec_lo
	s_wait_dscnt 0x0
	v_xor_b32_e32 v3, 0x80000000, v3
	ds_store_b64 v176, v[0:1]
.LBB60_42:                              ;   in Loop: Header=BB60_4 Depth=1
	s_or_b32 exec_lo, exec_lo, s74
	s_and_saveexec_b32 s74, s36
; %bb.43:                               ;   in Loop: Header=BB60_4 Depth=1
	ds_store_b64 v6, v[2:3] offset:8
; %bb.44:                               ;   in Loop: Header=BB60_4 Depth=1
	s_or_b32 exec_lo, exec_lo, s74
	s_mov_b32 s36, 0
	s_and_saveexec_b32 s74, s13
	s_delay_alu instid0(SALU_CYCLE_1)
	s_xor_b32 s74, exec_lo, s74
; %bb.45:                               ;   in Loop: Header=BB60_4 Depth=1
	s_and_b32 s36, s14, exec_lo
; %bb.46:                               ;   in Loop: Header=BB60_4 Depth=1
	s_or_saveexec_b32 s74, s74
	v_mov_b64_e32 v[2:3], 0
	v_mov_b32_e32 v6, v173
	s_xor_b32 exec_lo, exec_lo, s74
	s_cbranch_execz .LBB60_48
; %bb.47:                               ;   in Loop: Header=BB60_4 Depth=1
	ds_load_b128 v[0:3], v191 offset:1056
	v_mov_b32_e32 v6, v178
	s_or_b32 s36, s36, exec_lo
	s_wait_dscnt 0x0
	v_xor_b32_e32 v3, 0x80000000, v3
	ds_store_b64 v178, v[0:1]
.LBB60_48:                              ;   in Loop: Header=BB60_4 Depth=1
	s_or_b32 exec_lo, exec_lo, s74
	s_and_saveexec_b32 s74, s36
; %bb.49:                               ;   in Loop: Header=BB60_4 Depth=1
	ds_store_b64 v6, v[2:3] offset:8
; %bb.50:                               ;   in Loop: Header=BB60_4 Depth=1
	s_or_b32 exec_lo, exec_lo, s74
	s_wait_dscnt 0x0
	s_barrier_signal -1
	s_barrier_wait -1
	ds_load_b128 v[0:3], v190
	ds_load_b128 v[6:9], v179
	ds_load_b128 v[10:13], v179 offset:16
	ds_load_b128 v[14:17], v191
	s_wait_dscnt 0x2
	v_mul_f64_e32 v[18:19], v[8:9], v[2:3]
	v_mul_f64_e32 v[24:25], v[6:7], v[2:3]
	s_wait_dscnt 0x0
	v_mul_f64_e32 v[26:27], v[12:13], v[16:17]
	v_mul_f64_e32 v[28:29], v[10:11], v[16:17]
	s_delay_alu instid0(VALU_DEP_4) | instskip(NEXT) | instid1(VALU_DEP_4)
	v_fma_f64 v[30:31], v[6:7], v[0:1], -v[18:19]
	v_fmac_f64_e32 v[24:25], v[8:9], v[0:1]
	ds_load_b128 v[0:3], v191 offset:528
	ds_load_b128 v[6:9], v179 offset:32
	;; [unrolled: 1-line block ×4, first 2 shown]
	v_fma_f64 v[10:11], v[10:11], v[14:15], -v[26:27]
	v_fmac_f64_e32 v[28:29], v[12:13], v[14:15]
	s_wait_dscnt 0x0
	s_barrier_signal -1
	s_barrier_wait -1
	v_mul_f64_e32 v[32:33], v[8:9], v[2:3]
	v_mul_f64_e32 v[2:3], v[6:7], v[2:3]
	v_add_f64_e32 v[12:13], 0, v[30:31]
	v_add_f64_e32 v[14:15], 0, v[24:25]
	v_mul_f64_e32 v[24:25], v[18:19], v[22:23]
	v_mul_f64_e32 v[22:23], v[16:17], v[22:23]
	v_fma_f64 v[6:7], v[6:7], v[0:1], -v[32:33]
	v_fmac_f64_e32 v[2:3], v[8:9], v[0:1]
	v_add_f64_e32 v[0:1], v[12:13], v[10:11]
	v_add_f64_e32 v[8:9], v[14:15], v[28:29]
	v_fma_f64 v[10:11], v[16:17], v[20:21], -v[24:25]
	v_fmac_f64_e32 v[22:23], v[18:19], v[20:21]
	s_delay_alu instid0(VALU_DEP_4) | instskip(NEXT) | instid1(VALU_DEP_4)
	v_add_f64_e32 v[0:1], v[0:1], v[6:7]
	v_add_f64_e32 v[2:3], v[8:9], v[2:3]
	s_delay_alu instid0(VALU_DEP_2) | instskip(NEXT) | instid1(VALU_DEP_2)
	v_add_f64_e32 v[6:7], v[0:1], v[10:11]
	v_add_f64_e32 v[8:9], v[2:3], v[22:23]
	v_mov_b64_e32 v[0:1], 0
	v_mov_b64_e32 v[2:3], 0
	ds_store_b128 v180, v[6:9]
	s_wait_dscnt 0x0
	s_barrier_signal -1
	s_barrier_wait -1
	s_and_saveexec_b32 s36, s15
	s_cbranch_execz .LBB60_52
; %bb.51:                               ;   in Loop: Header=BB60_4 Depth=1
	ds_load_b128 v[0:3], v177
	ds_load_b128 v[6:9], v177 offset:16
	s_wait_dscnt 0x0
	v_add_f64_e32 v[10:11], v[6:7], v[0:1]
	v_add_f64_e32 v[12:13], v[8:9], v[2:3]
	ds_load_b128 v[0:3], v177 offset:32
	ds_load_b128 v[6:9], v177 offset:48
	s_wait_dscnt 0x1
	v_add_f64_e32 v[0:1], v[10:11], v[0:1]
	v_add_f64_e32 v[2:3], v[12:13], v[2:3]
	s_wait_dscnt 0x0
	s_delay_alu instid0(VALU_DEP_2) | instskip(NEXT) | instid1(VALU_DEP_2)
	v_add_f64_e32 v[10:11], v[0:1], v[6:7]
	v_add_f64_e32 v[12:13], v[2:3], v[8:9]
	ds_load_b128 v[0:3], v177 offset:64
	ds_load_b128 v[6:9], v177 offset:80
	s_wait_dscnt 0x1
	v_add_f64_e32 v[0:1], v[10:11], v[0:1]
	v_add_f64_e32 v[2:3], v[12:13], v[2:3]
	s_wait_dscnt 0x0
	s_delay_alu instid0(VALU_DEP_2) | instskip(NEXT) | instid1(VALU_DEP_2)
	;; [unrolled: 9-line block ×3, first 2 shown]
	v_add_f64_e32 v[0:1], v[0:1], v[6:7]
	v_add_f64_e32 v[2:3], v[2:3], v[8:9]
.LBB60_52:                              ;   in Loop: Header=BB60_4 Depth=1
	s_or_b32 exec_lo, exec_lo, s36
	v_lshl_add_u64 v[4:5], s[54:55], 4, v[4:5]
	s_and_not1_b32 vcc_lo, exec_lo, s78
	s_mov_b32 s36, -1
	s_barrier_signal -1
	s_delay_alu instid0(VALU_DEP_1)
	v_add_nc_u64_e32 v[8:9], 0x200, v[4:5]
	s_barrier_wait -1
	s_cbranch_vccnz .LBB60_54
; %bb.53:                               ;   in Loop: Header=BB60_4 Depth=1
	flat_load_b128 v[10:13], v[8:9]
	v_add_nc_u64_e32 v[6:7], s[44:45], v[4:5]
	s_mov_b32 s36, 0
	s_wait_loadcnt_dscnt 0x0
	ds_store_2addr_b64 v169, v[10:11], v[12:13] offset1:1
	flat_load_b128 v[10:13], v[6:7] offset:512
	s_wait_xcnt 0x0
	v_add_nc_u64_e32 v[6:7], s[44:45], v[6:7]
	s_wait_loadcnt_dscnt 0x0
	ds_store_2addr_b64 v170, v[10:11], v[12:13] offset1:1
	flat_load_b128 v[10:13], v[6:7] offset:512
	s_wait_xcnt 0x0
	v_add_nc_u64_e32 v[6:7], s[44:45], v[6:7]
	s_wait_loadcnt_dscnt 0x0
	ds_store_2addr_b64 v171, v[10:11], v[12:13] offset1:1
	flat_load_b128 v[10:13], v[6:7] offset:512
	s_wait_loadcnt_dscnt 0x0
	ds_store_2addr_b64 v172, v[10:11], v[12:13] offset1:1
.LBB60_54:                              ;   in Loop: Header=BB60_4 Depth=1
	s_and_not1_b32 vcc_lo, exec_lo, s36
	s_cbranch_vccnz .LBB60_66
; %bb.55:                               ;   in Loop: Header=BB60_4 Depth=1
	s_wait_xcnt 0x0
	s_and_saveexec_b32 s36, s17
	s_delay_alu instid0(SALU_CYCLE_1)
	s_xor_b32 s36, exec_lo, s36
; %bb.56:                               ;   in Loop: Header=BB60_4 Depth=1
	v_dual_mov_b32 v10, v151 :: v_dual_mov_b32 v11, v151
	v_dual_mov_b32 v12, v151 :: v_dual_mov_b32 v13, v151
	ds_store_b128 v169, v[10:13]
; %bb.57:                               ;   in Loop: Header=BB60_4 Depth=1
	s_or_saveexec_b32 s36, s36
	v_lshl_add_u64 v[4:5], v[158:159], 4, v[4:5]
	s_delay_alu instid0(VALU_DEP_1) | instskip(NEXT) | instid1(VALU_DEP_1)
	v_lshl_add_u64 v[4:5], s[42:43], 4, v[4:5]
	v_add_nc_u64_e32 v[4:5], -16, v[4:5]
	s_delay_alu instid0(VALU_DEP_1)
	v_dual_cndmask_b32 v5, v5, v9, s16 :: v_dual_cndmask_b32 v4, v4, v8, s16
	s_xor_b32 exec_lo, exec_lo, s36
	s_cbranch_execnz .LBB60_125
; %bb.58:                               ;   in Loop: Header=BB60_4 Depth=1
	s_or_b32 exec_lo, exec_lo, s36
	s_and_saveexec_b32 s36, s18
	s_delay_alu instid0(SALU_CYCLE_1)
	s_xor_b32 s36, exec_lo, s36
	s_cbranch_execnz .LBB60_126
.LBB60_59:                              ;   in Loop: Header=BB60_4 Depth=1
	s_and_not1_saveexec_b32 s36, s36
	s_cbranch_execnz .LBB60_127
.LBB60_60:                              ;   in Loop: Header=BB60_4 Depth=1
	s_or_b32 exec_lo, exec_lo, s36
	s_and_saveexec_b32 s36, s19
	s_delay_alu instid0(SALU_CYCLE_1)
	s_xor_b32 s36, exec_lo, s36
	s_cbranch_execnz .LBB60_128
.LBB60_61:                              ;   in Loop: Header=BB60_4 Depth=1
	s_and_not1_saveexec_b32 s36, s36
	s_cbranch_execnz .LBB60_129
.LBB60_62:                              ;   in Loop: Header=BB60_4 Depth=1
	s_or_b32 exec_lo, exec_lo, s36
	s_and_saveexec_b32 s36, s20
	s_delay_alu instid0(SALU_CYCLE_1)
	s_xor_b32 s36, exec_lo, s36
	s_cbranch_execnz .LBB60_130
.LBB60_63:                              ;   in Loop: Header=BB60_4 Depth=1
	s_and_not1_saveexec_b32 s36, s36
	s_cbranch_execz .LBB60_65
.LBB60_64:                              ;   in Loop: Header=BB60_4 Depth=1
	v_add_nc_u64_e32 v[6:7], s[52:53], v[4:5]
	flat_load_b128 v[10:13], v[6:7]
	s_wait_loadcnt_dscnt 0x0
	ds_store_2addr_b64 v172, v[10:11], v[12:13] offset1:1
.LBB60_65:                              ;   in Loop: Header=BB60_4 Depth=1
	s_wait_xcnt 0x0
	s_or_b32 exec_lo, exec_lo, s36
	v_add_nc_u64_e32 v[4:5], v[4:5], v[150:151]
	s_delay_alu instid0(VALU_DEP_1) | instskip(NEXT) | instid1(VALU_DEP_1)
	v_lshl_add_u64 v[4:5], s[62:63], 4, v[4:5]
	v_add_nc_u64_e32 v[4:5], 0x210, v[4:5]
	s_delay_alu instid0(VALU_DEP_1)
	v_dual_cndmask_b32 v9, v5, v9, s16 :: v_dual_cndmask_b32 v8, v4, v8, s16
.LBB60_66:                              ;   in Loop: Header=BB60_4 Depth=1
	s_mov_b32 s36, 0
	s_wait_dscnt 0x0
	s_barrier_signal -1
	s_barrier_wait -1
	s_wait_xcnt 0x0
	s_and_saveexec_b32 s74, s7
	s_delay_alu instid0(SALU_CYCLE_1)
	s_xor_b32 s74, exec_lo, s74
; %bb.67:                               ;   in Loop: Header=BB60_4 Depth=1
	s_and_b32 s36, s8, exec_lo
; %bb.68:                               ;   in Loop: Header=BB60_4 Depth=1
	s_or_saveexec_b32 s74, s74
	v_mov_b64_e32 v[6:7], 0
	v_mov_b32_e32 v10, v173
	s_xor_b32 exec_lo, exec_lo, s74
	s_cbranch_execz .LBB60_70
; %bb.69:                               ;   in Loop: Header=BB60_4 Depth=1
	ds_load_b128 v[4:7], v190
	v_mov_b32_e32 v10, v174
	s_or_b32 s36, s36, exec_lo
	s_wait_dscnt 0x0
	v_xor_b32_e32 v7, 0x80000000, v7
	ds_store_b64 v174, v[4:5]
.LBB60_70:                              ;   in Loop: Header=BB60_4 Depth=1
	s_or_b32 exec_lo, exec_lo, s74
	s_and_saveexec_b32 s74, s36
; %bb.71:                               ;   in Loop: Header=BB60_4 Depth=1
	ds_store_b64 v10, v[6:7] offset:8
; %bb.72:                               ;   in Loop: Header=BB60_4 Depth=1
	s_or_b32 exec_lo, exec_lo, s74
	s_mov_b32 s36, 0
	s_and_saveexec_b32 s74, s9
	s_delay_alu instid0(SALU_CYCLE_1)
	s_xor_b32 s74, exec_lo, s74
; %bb.73:                               ;   in Loop: Header=BB60_4 Depth=1
	s_and_b32 s36, s10, exec_lo
; %bb.74:                               ;   in Loop: Header=BB60_4 Depth=1
	s_or_saveexec_b32 s74, s74
	v_mov_b64_e32 v[6:7], 0
	v_mov_b32_e32 v10, v173
	s_xor_b32 exec_lo, exec_lo, s74
	s_cbranch_execz .LBB60_76
; %bb.75:                               ;   in Loop: Header=BB60_4 Depth=1
	ds_load_b128 v[4:7], v191
	v_mov_b32_e32 v10, v175
	s_or_b32 s36, s36, exec_lo
	s_wait_dscnt 0x0
	v_xor_b32_e32 v7, 0x80000000, v7
	ds_store_b64 v175, v[4:5]
.LBB60_76:                              ;   in Loop: Header=BB60_4 Depth=1
	s_or_b32 exec_lo, exec_lo, s74
	s_and_saveexec_b32 s74, s36
; %bb.77:                               ;   in Loop: Header=BB60_4 Depth=1
	ds_store_b64 v10, v[6:7] offset:8
; %bb.78:                               ;   in Loop: Header=BB60_4 Depth=1
	s_or_b32 exec_lo, exec_lo, s74
	s_mov_b32 s36, 0
	s_and_saveexec_b32 s74, s11
	s_delay_alu instid0(SALU_CYCLE_1)
	s_xor_b32 s74, exec_lo, s74
; %bb.79:                               ;   in Loop: Header=BB60_4 Depth=1
	s_and_b32 s36, s12, exec_lo
; %bb.80:                               ;   in Loop: Header=BB60_4 Depth=1
	s_or_saveexec_b32 s74, s74
	v_mov_b64_e32 v[6:7], 0
	v_mov_b32_e32 v10, v173
	s_xor_b32 exec_lo, exec_lo, s74
	s_cbranch_execz .LBB60_82
; %bb.81:                               ;   in Loop: Header=BB60_4 Depth=1
	ds_load_b128 v[4:7], v191 offset:528
	v_mov_b32_e32 v10, v176
	s_or_b32 s36, s36, exec_lo
	s_wait_dscnt 0x0
	v_xor_b32_e32 v7, 0x80000000, v7
	ds_store_b64 v176, v[4:5]
.LBB60_82:                              ;   in Loop: Header=BB60_4 Depth=1
	s_or_b32 exec_lo, exec_lo, s74
	s_and_saveexec_b32 s74, s36
; %bb.83:                               ;   in Loop: Header=BB60_4 Depth=1
	ds_store_b64 v10, v[6:7] offset:8
; %bb.84:                               ;   in Loop: Header=BB60_4 Depth=1
	s_or_b32 exec_lo, exec_lo, s74
	s_mov_b32 s36, 0
	s_and_saveexec_b32 s74, s13
	s_delay_alu instid0(SALU_CYCLE_1)
	s_xor_b32 s74, exec_lo, s74
; %bb.85:                               ;   in Loop: Header=BB60_4 Depth=1
	s_and_b32 s36, s14, exec_lo
; %bb.86:                               ;   in Loop: Header=BB60_4 Depth=1
	s_or_saveexec_b32 s74, s74
	v_mov_b64_e32 v[6:7], 0
	v_mov_b32_e32 v10, v173
	s_xor_b32 exec_lo, exec_lo, s74
	s_cbranch_execz .LBB60_88
; %bb.87:                               ;   in Loop: Header=BB60_4 Depth=1
	ds_load_b128 v[4:7], v191 offset:1056
	v_mov_b32_e32 v10, v178
	s_or_b32 s36, s36, exec_lo
	s_wait_dscnt 0x0
	v_xor_b32_e32 v7, 0x80000000, v7
	ds_store_b64 v178, v[4:5]
.LBB60_88:                              ;   in Loop: Header=BB60_4 Depth=1
	s_or_b32 exec_lo, exec_lo, s74
	s_and_saveexec_b32 s74, s36
; %bb.89:                               ;   in Loop: Header=BB60_4 Depth=1
	ds_store_b64 v10, v[6:7] offset:8
; %bb.90:                               ;   in Loop: Header=BB60_4 Depth=1
	s_or_b32 exec_lo, exec_lo, s74
	s_wait_dscnt 0x0
	s_barrier_signal -1
	s_barrier_wait -1
	ds_load_b128 v[4:7], v190
	ds_load_b128 v[10:13], v179 offset:512
	ds_load_b128 v[14:17], v179 offset:528
	ds_load_b128 v[18:21], v191
	s_wait_dscnt 0x2
	v_mul_f64_e32 v[22:23], v[12:13], v[6:7]
	v_mul_f64_e32 v[28:29], v[10:11], v[6:7]
	s_wait_dscnt 0x0
	v_mul_f64_e32 v[30:31], v[16:17], v[20:21]
	v_mul_f64_e32 v[32:33], v[14:15], v[20:21]
	s_delay_alu instid0(VALU_DEP_4) | instskip(NEXT) | instid1(VALU_DEP_4)
	v_fma_f64 v[34:35], v[10:11], v[4:5], -v[22:23]
	v_fmac_f64_e32 v[28:29], v[12:13], v[4:5]
	ds_load_b128 v[4:7], v191 offset:528
	ds_load_b128 v[10:13], v179 offset:544
	;; [unrolled: 1-line block ×4, first 2 shown]
	v_fma_f64 v[14:15], v[14:15], v[18:19], -v[30:31]
	v_fmac_f64_e32 v[32:33], v[16:17], v[18:19]
	s_wait_dscnt 0x0
	s_barrier_signal -1
	s_barrier_wait -1
	v_mul_f64_e32 v[38:39], v[12:13], v[6:7]
	v_mul_f64_e32 v[6:7], v[10:11], v[6:7]
	v_add_f64_e32 v[16:17], 0, v[34:35]
	v_add_f64_e32 v[18:19], 0, v[28:29]
	v_mul_f64_e32 v[28:29], v[22:23], v[26:27]
	v_mul_f64_e32 v[26:27], v[20:21], v[26:27]
	v_fma_f64 v[10:11], v[10:11], v[4:5], -v[38:39]
	v_fmac_f64_e32 v[6:7], v[12:13], v[4:5]
	v_add_f64_e32 v[4:5], v[16:17], v[14:15]
	v_add_f64_e32 v[12:13], v[18:19], v[32:33]
	v_fma_f64 v[14:15], v[20:21], v[24:25], -v[28:29]
	v_fmac_f64_e32 v[26:27], v[22:23], v[24:25]
	s_delay_alu instid0(VALU_DEP_4) | instskip(NEXT) | instid1(VALU_DEP_4)
	v_add_f64_e32 v[4:5], v[4:5], v[10:11]
	v_add_f64_e32 v[6:7], v[12:13], v[6:7]
	s_delay_alu instid0(VALU_DEP_2) | instskip(NEXT) | instid1(VALU_DEP_2)
	v_add_f64_e32 v[4:5], v[4:5], v[14:15]
	v_add_f64_e32 v[6:7], v[6:7], v[26:27]
	ds_store_b128 v180, v[4:7]
	s_wait_dscnt 0x0
	s_barrier_signal -1
	s_barrier_wait -1
	s_and_saveexec_b32 s36, s21
	s_cbranch_execz .LBB60_92
; %bb.91:                               ;   in Loop: Header=BB60_4 Depth=1
	ds_load_b128 v[0:3], v177
	ds_load_b128 v[4:7], v177 offset:16
	s_wait_dscnt 0x0
	v_add_f64_e32 v[10:11], v[4:5], v[0:1]
	v_add_f64_e32 v[12:13], v[6:7], v[2:3]
	ds_load_b128 v[0:3], v177 offset:32
	ds_load_b128 v[4:7], v177 offset:48
	s_wait_dscnt 0x1
	v_add_f64_e32 v[0:1], v[10:11], v[0:1]
	v_add_f64_e32 v[2:3], v[12:13], v[2:3]
	s_wait_dscnt 0x0
	s_delay_alu instid0(VALU_DEP_2) | instskip(NEXT) | instid1(VALU_DEP_2)
	v_add_f64_e32 v[10:11], v[0:1], v[4:5]
	v_add_f64_e32 v[12:13], v[2:3], v[6:7]
	ds_load_b128 v[0:3], v177 offset:64
	ds_load_b128 v[4:7], v177 offset:80
	s_wait_dscnt 0x1
	v_add_f64_e32 v[0:1], v[10:11], v[0:1]
	v_add_f64_e32 v[2:3], v[12:13], v[2:3]
	s_wait_dscnt 0x0
	s_delay_alu instid0(VALU_DEP_2) | instskip(NEXT) | instid1(VALU_DEP_2)
	;; [unrolled: 9-line block ×3, first 2 shown]
	v_add_f64_e32 v[0:1], v[0:1], v[4:5]
	v_add_f64_e32 v[2:3], v[2:3], v[6:7]
.LBB60_92:                              ;   in Loop: Header=BB60_4 Depth=1
	s_or_b32 exec_lo, exec_lo, s36
	v_lshl_add_u64 v[38:39], s[56:57], 4, v[8:9]
	s_and_not1_b32 vcc_lo, exec_lo, s78
	s_mov_b32 s36, -1
	s_barrier_signal -1
	s_barrier_wait -1
	s_cbranch_vccnz .LBB60_94
; %bb.93:                               ;   in Loop: Header=BB60_4 Depth=1
	flat_load_b128 v[4:7], v[38:39]
	v_add_nc_u64_e32 v[8:9], s[44:45], v[38:39]
	s_mov_b32 s36, 0
	s_wait_loadcnt_dscnt 0x0
	ds_store_2addr_b64 v169, v[4:5], v[6:7] offset1:1
	flat_load_b128 v[4:7], v[8:9]
	s_wait_xcnt 0x0
	v_add_nc_u64_e32 v[8:9], s[44:45], v[8:9]
	s_wait_loadcnt_dscnt 0x0
	ds_store_2addr_b64 v170, v[4:5], v[6:7] offset1:1
	flat_load_b128 v[4:7], v[8:9]
	s_wait_xcnt 0x0
	v_add_nc_u64_e32 v[8:9], s[44:45], v[8:9]
	s_wait_loadcnt_dscnt 0x0
	ds_store_2addr_b64 v171, v[4:5], v[6:7] offset1:1
	flat_load_b128 v[4:7], v[8:9]
	s_wait_loadcnt_dscnt 0x0
	ds_store_2addr_b64 v172, v[4:5], v[6:7] offset1:1
.LBB60_94:                              ;   in Loop: Header=BB60_4 Depth=1
	s_and_not1_b32 vcc_lo, exec_lo, s36
	s_cbranch_vccnz .LBB60_106
; %bb.95:                               ;   in Loop: Header=BB60_4 Depth=1
	s_wait_xcnt 0x0
	s_and_saveexec_b32 s36, s3
	s_delay_alu instid0(SALU_CYCLE_1)
	s_xor_b32 s36, exec_lo, s36
; %bb.96:                               ;   in Loop: Header=BB60_4 Depth=1
	v_dual_mov_b32 v4, v151 :: v_dual_mov_b32 v5, v151
	v_dual_mov_b32 v6, v151 :: v_dual_mov_b32 v7, v151
	ds_store_b128 v169, v[4:7]
; %bb.97:                               ;   in Loop: Header=BB60_4 Depth=1
	s_or_saveexec_b32 s36, s36
	v_lshl_add_u64 v[4:5], v[158:159], 4, v[38:39]
	s_delay_alu instid0(VALU_DEP_1) | instskip(NEXT) | instid1(VALU_DEP_1)
	v_lshl_add_u64 v[4:5], s[42:43], 4, v[4:5]
	v_add_nc_u64_e32 v[4:5], s[68:69], v[4:5]
	s_delay_alu instid0(VALU_DEP_1)
	v_dual_cndmask_b32 v5, v5, v39, s16 :: v_dual_cndmask_b32 v4, v4, v38, s16
	s_xor_b32 exec_lo, exec_lo, s36
	s_cbranch_execnz .LBB60_131
; %bb.98:                               ;   in Loop: Header=BB60_4 Depth=1
	s_or_b32 exec_lo, exec_lo, s36
	s_and_saveexec_b32 s36, s4
	s_delay_alu instid0(SALU_CYCLE_1)
	s_xor_b32 s36, exec_lo, s36
	s_cbranch_execnz .LBB60_132
.LBB60_99:                              ;   in Loop: Header=BB60_4 Depth=1
	s_and_not1_saveexec_b32 s36, s36
	s_cbranch_execnz .LBB60_133
.LBB60_100:                             ;   in Loop: Header=BB60_4 Depth=1
	s_or_b32 exec_lo, exec_lo, s36
	s_and_saveexec_b32 s36, s5
	s_delay_alu instid0(SALU_CYCLE_1)
	s_xor_b32 s36, exec_lo, s36
	s_cbranch_execnz .LBB60_134
.LBB60_101:                             ;   in Loop: Header=BB60_4 Depth=1
	s_and_not1_saveexec_b32 s36, s36
	s_cbranch_execnz .LBB60_135
.LBB60_102:                             ;   in Loop: Header=BB60_4 Depth=1
	s_or_b32 exec_lo, exec_lo, s36
	s_and_saveexec_b32 s36, s6
	s_delay_alu instid0(SALU_CYCLE_1)
	s_xor_b32 s36, exec_lo, s36
	s_cbranch_execnz .LBB60_136
.LBB60_103:                             ;   in Loop: Header=BB60_4 Depth=1
	s_and_not1_saveexec_b32 s36, s36
	s_cbranch_execz .LBB60_105
.LBB60_104:                             ;   in Loop: Header=BB60_4 Depth=1
	v_add_nc_u64_e32 v[6:7], s[52:53], v[4:5]
	flat_load_b128 v[6:9], v[6:7]
	s_wait_loadcnt_dscnt 0x0
	ds_store_2addr_b64 v172, v[6:7], v[8:9] offset1:1
.LBB60_105:                             ;   in Loop: Header=BB60_4 Depth=1
	s_wait_xcnt 0x0
	s_or_b32 exec_lo, exec_lo, s36
	v_add_nc_u64_e32 v[4:5], v[4:5], v[150:151]
	s_delay_alu instid0(VALU_DEP_1) | instskip(NEXT) | instid1(VALU_DEP_1)
	v_lshl_add_u64 v[4:5], s[62:63], 4, v[4:5]
	v_add_nc_u64_e32 v[4:5], 0x210, v[4:5]
	s_delay_alu instid0(VALU_DEP_1)
	v_dual_cndmask_b32 v39, v5, v39, s16 :: v_dual_cndmask_b32 v38, v4, v38, s16
.LBB60_106:                             ;   in Loop: Header=BB60_4 Depth=1
	s_wait_dscnt 0x0
	s_barrier_signal -1
	s_barrier_wait -1
	ds_load_b128 v[4:7], v192
	s_wait_xcnt 0x0
	ds_load_b128 v[8:11], v169
	ds_load_b128 v[12:15], v170
	ds_load_b128 v[16:19], v189 offset:384
	ds_load_b128 v[20:23], v189 offset:128
	;; [unrolled: 1-line block ×3, first 2 shown]
	s_wait_dscnt 0x4
	v_mul_f64_e32 v[28:29], v[6:7], v[10:11]
	v_mul_f64_e32 v[30:31], v[4:5], v[10:11]
	s_wait_dscnt 0x1
	v_mul_f64_e32 v[32:33], v[22:23], v[14:15]
	v_mul_f64_e32 v[14:15], v[20:21], v[14:15]
	s_delay_alu instid0(VALU_DEP_4) | instskip(NEXT) | instid1(VALU_DEP_4)
	v_fma_f64 v[28:29], v[4:5], v[8:9], -v[28:29]
	v_fmac_f64_e32 v[30:31], v[6:7], v[8:9]
	ds_load_b128 v[4:7], v171
	ds_load_b128 v[8:11], v172
	v_fma_f64 v[20:21], v[20:21], v[12:13], -v[32:33]
	v_fmac_f64_e32 v[14:15], v[22:23], v[12:13]
	s_wait_dscnt 0x1
	v_mul_f64_e32 v[34:35], v[26:27], v[6:7]
	v_mul_f64_e32 v[6:7], v[24:25], v[6:7]
	v_add_f64_e32 v[12:13], 0, v[28:29]
	v_add_f64_e32 v[22:23], 0, v[30:31]
	s_wait_dscnt 0x0
	v_mul_f64_e32 v[28:29], v[18:19], v[10:11]
	v_mul_f64_e32 v[10:11], v[16:17], v[10:11]
	v_fma_f64 v[24:25], v[24:25], v[4:5], -v[34:35]
	v_fmac_f64_e32 v[6:7], v[26:27], v[4:5]
	v_add_f64_e32 v[4:5], v[12:13], v[20:21]
	v_add_f64_e32 v[12:13], v[22:23], v[14:15]
	v_fma_f64 v[14:15], v[16:17], v[8:9], -v[28:29]
	v_fmac_f64_e32 v[10:11], v[18:19], v[8:9]
	s_delay_alu instid0(VALU_DEP_4) | instskip(NEXT) | instid1(VALU_DEP_4)
	v_add_f64_e32 v[4:5], v[4:5], v[24:25]
	v_add_f64_e32 v[6:7], v[12:13], v[6:7]
	s_delay_alu instid0(VALU_DEP_2) | instskip(NEXT) | instid1(VALU_DEP_2)
	v_add_f64_e32 v[40:41], v[4:5], v[14:15]
	v_add_f64_e32 v[42:43], v[6:7], v[10:11]
	ds_load_b128 v[28:31], v181
	ds_load_b128 v[20:23], v181 offset:16
	ds_load_b128 v[8:11], v181 offset:32
	;; [unrolled: 1-line block ×7, first 2 shown]
	s_wait_dscnt 0x0
	s_barrier_signal -1
	s_barrier_wait -1
	ds_store_b128 v180, v[40:43]
	s_wait_dscnt 0x0
	s_barrier_signal -1
	s_barrier_wait -1
	s_and_saveexec_b32 s36, s21
	s_cbranch_execz .LBB60_108
; %bb.107:                              ;   in Loop: Header=BB60_4 Depth=1
	ds_load_b128 v[40:43], v177
	ds_load_b128 v[44:47], v177 offset:16
	s_wait_dscnt 0x1
	v_add_f64_e32 v[0:1], v[0:1], v[40:41]
	v_add_f64_e32 v[2:3], v[2:3], v[42:43]
	s_wait_dscnt 0x0
	s_delay_alu instid0(VALU_DEP_2) | instskip(NEXT) | instid1(VALU_DEP_2)
	v_add_f64_e32 v[44:45], v[0:1], v[44:45]
	v_add_f64_e32 v[46:47], v[2:3], v[46:47]
	ds_load_b128 v[0:3], v177 offset:32
	ds_load_b128 v[40:43], v177 offset:48
	s_wait_dscnt 0x1
	v_add_f64_e32 v[0:1], v[44:45], v[0:1]
	v_add_f64_e32 v[2:3], v[46:47], v[2:3]
	s_wait_dscnt 0x0
	s_delay_alu instid0(VALU_DEP_2) | instskip(NEXT) | instid1(VALU_DEP_2)
	v_add_f64_e32 v[44:45], v[0:1], v[40:41]
	v_add_f64_e32 v[46:47], v[2:3], v[42:43]
	ds_load_b128 v[0:3], v177 offset:64
	;; [unrolled: 9-line block ×3, first 2 shown]
	ds_load_b128 v[40:43], v177 offset:112
	s_wait_dscnt 0x1
	v_add_f64_e32 v[0:1], v[44:45], v[0:1]
	v_add_f64_e32 v[2:3], v[46:47], v[2:3]
	s_wait_dscnt 0x0
	s_delay_alu instid0(VALU_DEP_2) | instskip(NEXT) | instid1(VALU_DEP_2)
	v_add_f64_e32 v[0:1], v[0:1], v[40:41]
	v_add_f64_e32 v[2:3], v[2:3], v[42:43]
.LBB60_108:                             ;   in Loop: Header=BB60_4 Depth=1
	s_or_b32 exec_lo, exec_lo, s36
	v_mul_f64_e32 v[40:41], v[30:31], v[34:35]
	v_mul_f64_e32 v[30:31], v[30:31], v[32:33]
	;; [unrolled: 1-line block ×4, first 2 shown]
	s_barrier_signal -1
	s_barrier_wait -1
	s_delay_alu instid0(VALU_DEP_4) | instskip(NEXT) | instid1(VALU_DEP_4)
	v_fmac_f64_e32 v[40:41], v[28:29], v[32:33]
	v_fma_f64 v[28:29], v[28:29], v[34:35], -v[30:31]
	v_mul_f64_e32 v[30:31], v[10:11], v[18:19]
	v_mul_f64_e32 v[10:11], v[10:11], v[16:17]
	v_fmac_f64_e32 v[42:43], v[20:21], v[24:25]
	v_fma_f64 v[20:21], v[20:21], v[26:27], -v[22:23]
	v_mul_f64_e32 v[26:27], v[6:7], v[14:15]
	v_mul_f64_e32 v[6:7], v[6:7], v[12:13]
	v_add_f64_e32 v[22:23], 0, v[40:41]
	v_add_f64_e32 v[24:25], 0, v[28:29]
	v_fmac_f64_e32 v[30:31], v[8:9], v[16:17]
	v_fma_f64 v[8:9], v[8:9], v[18:19], -v[10:11]
	v_fmac_f64_e32 v[26:27], v[4:5], v[12:13]
	v_fma_f64 v[6:7], v[4:5], v[14:15], -v[6:7]
	v_add_f64_e32 v[10:11], v[22:23], v[42:43]
	v_add_f64_e32 v[16:17], v[24:25], v[20:21]
	s_delay_alu instid0(VALU_DEP_2) | instskip(NEXT) | instid1(VALU_DEP_2)
	v_add_f64_e32 v[4:5], v[10:11], v[30:31]
	v_add_f64_e32 v[8:9], v[16:17], v[8:9]
	s_delay_alu instid0(VALU_DEP_2) | instskip(NEXT) | instid1(VALU_DEP_2)
	v_add_f64_e32 v[4:5], v[4:5], v[26:27]
	v_add_f64_e32 v[6:7], v[8:9], v[6:7]
	ds_store_b128 v180, v[4:7]
	s_wait_dscnt 0x0
	s_barrier_signal -1
	s_barrier_wait -1
	s_and_saveexec_b32 s36, s15
	s_cbranch_execz .LBB60_110
; %bb.109:                              ;   in Loop: Header=BB60_4 Depth=1
	ds_load_b128 v[4:7], v177
	ds_load_b128 v[8:11], v177 offset:16
	s_wait_dscnt 0x1
	v_add_f64_e32 v[0:1], v[0:1], v[4:5]
	v_add_f64_e32 v[2:3], v[2:3], v[6:7]
	s_wait_dscnt 0x0
	s_delay_alu instid0(VALU_DEP_2) | instskip(NEXT) | instid1(VALU_DEP_2)
	v_add_f64_e32 v[8:9], v[0:1], v[8:9]
	v_add_f64_e32 v[10:11], v[2:3], v[10:11]
	ds_load_b128 v[0:3], v177 offset:32
	ds_load_b128 v[4:7], v177 offset:48
	s_wait_dscnt 0x1
	v_add_f64_e32 v[0:1], v[8:9], v[0:1]
	v_add_f64_e32 v[2:3], v[10:11], v[2:3]
	s_wait_dscnt 0x0
	s_delay_alu instid0(VALU_DEP_2) | instskip(NEXT) | instid1(VALU_DEP_2)
	v_add_f64_e32 v[8:9], v[0:1], v[4:5]
	v_add_f64_e32 v[10:11], v[2:3], v[6:7]
	ds_load_b128 v[0:3], v177 offset:64
	;; [unrolled: 9-line block ×3, first 2 shown]
	ds_load_b128 v[4:7], v177 offset:112
	s_wait_dscnt 0x1
	v_add_f64_e32 v[0:1], v[8:9], v[0:1]
	v_add_f64_e32 v[2:3], v[10:11], v[2:3]
	s_wait_dscnt 0x0
	s_delay_alu instid0(VALU_DEP_2) | instskip(NEXT) | instid1(VALU_DEP_2)
	v_add_f64_e32 v[0:1], v[0:1], v[4:5]
	v_add_f64_e32 v[2:3], v[2:3], v[6:7]
.LBB60_110:                             ;   in Loop: Header=BB60_4 Depth=1
	s_or_b32 exec_lo, exec_lo, s36
	s_mul_u64 s[74:75], s[40:41], s[34:35]
	s_and_not1_b32 vcc_lo, exec_lo, s79
	s_lshl_b64 s[74:75], s[74:75], 4
	s_delay_alu instid0(SALU_CYCLE_1)
	s_add_nc_u64 s[74:75], s[50:51], s[74:75]
	s_barrier_signal -1
	s_barrier_wait -1
	s_cbranch_vccnz .LBB60_117
; %bb.111:                              ;   in Loop: Header=BB60_4 Depth=1
	v_lshl_add_u64 v[4:5], s[60:61], 4, v[38:39]
	v_dual_mov_b32 v7, v151 :: v_dual_lshlrev_b32 v6, 4, v148
	v_lshl_add_u64 v[164:165], s[58:59], 4, v[36:37]
	s_mov_b32 s36, 0
	s_delay_alu instid0(VALU_DEP_3) | instskip(SKIP_1) | instid1(VALU_DEP_1)
	v_lshl_add_u64 v[4:5], v[160:161], 4, v[4:5]
	s_mov_b32 s35, s33
	v_lshl_add_u64 v[4:5], v[162:163], 4, v[4:5]
	s_delay_alu instid0(VALU_DEP_1) | instskip(SKIP_1) | instid1(VALU_DEP_1)
	v_add_nc_u64_e32 v[6:7], v[4:5], v[6:7]
	v_lshl_add_u64 v[4:5], s[42:43], 4, v[4:5]
	v_add_nc_u64_e32 v[4:5], s[68:69], v[4:5]
	s_delay_alu instid0(VALU_DEP_3) | instskip(NEXT) | instid1(VALU_DEP_1)
	v_add_nc_u64_e32 v[6:7], s[70:71], v[6:7]
	v_dual_cndmask_b32 v5, v7, v5, s1 :: v_dual_cndmask_b32 v4, v6, v4, s1
	s_branch .LBB60_113
.LBB60_112:                             ;   in Loop: Header=BB60_113 Depth=2
	s_wait_xcnt 0x0
	s_or_b32 exec_lo, exec_lo, s81
	v_mul_f64_e32 v[84:85], v[18:19], v[38:39]
	v_mul_f64_e32 v[38:39], v[16:17], v[38:39]
	;; [unrolled: 1-line block ×4, first 2 shown]
	s_add_co_i32 s35, s35, -1
	s_add_co_i32 s36, s36, 64
	s_cmp_eq_u32 s35, 0
	s_wait_storecnt 0x0
	s_barrier_signal -1
	s_barrier_wait -1
	s_delay_alu instid0(VALU_DEP_4) | instskip(NEXT) | instid1(VALU_DEP_4)
	v_fma_f64 v[16:17], v[16:17], v[36:37], -v[84:85]
	v_fmac_f64_e32 v[38:39], v[18:19], v[36:37]
	v_mul_f64_e32 v[18:19], v[10:11], v[46:47]
	v_mul_f64_e32 v[36:37], v[8:9], v[46:47]
	v_fma_f64 v[12:13], v[12:13], v[48:49], -v[86:87]
	v_fmac_f64_e32 v[50:51], v[14:15], v[48:49]
	v_mul_f64_e32 v[14:15], v[6:7], v[30:31]
	v_add_f64_e32 v[0:1], v[0:1], v[16:17]
	v_add_f64_e32 v[2:3], v[2:3], v[38:39]
	v_mul_f64_e32 v[16:17], v[4:5], v[30:31]
	v_fma_f64 v[8:9], v[8:9], v[44:45], -v[18:19]
	v_fmac_f64_e32 v[36:37], v[10:11], v[44:45]
	v_mul_f64_e32 v[10:11], v[42:43], v[74:75]
	v_fma_f64 v[4:5], v[4:5], v[28:29], -v[14:15]
	v_mul_f64_e32 v[14:15], v[24:25], v[78:79]
	v_add_f64_e32 v[0:1], v[0:1], v[12:13]
	v_add_f64_e32 v[2:3], v[2:3], v[50:51]
	v_mul_f64_e32 v[12:13], v[40:41], v[74:75]
	v_fmac_f64_e32 v[16:17], v[6:7], v[28:29]
	v_mul_f64_e32 v[6:7], v[34:35], v[82:83]
	v_fma_f64 v[10:11], v[40:41], v[72:73], -v[10:11]
	v_fmac_f64_e32 v[14:15], v[26:27], v[76:77]
	v_add_f64_e32 v[0:1], v[0:1], v[8:9]
	v_add_f64_e32 v[2:3], v[2:3], v[36:37]
	v_mul_f64_e32 v[8:9], v[32:33], v[82:83]
	v_fmac_f64_e32 v[12:13], v[42:43], v[72:73]
	v_fma_f64 v[6:7], v[32:33], v[80:81], -v[6:7]
	v_add_f64_e32 v[0:1], v[0:1], v[4:5]
	v_add_f64_e32 v[2:3], v[2:3], v[16:17]
	v_mul_f64_e32 v[4:5], v[26:27], v[78:79]
	v_fmac_f64_e32 v[8:9], v[34:35], v[80:81]
	s_delay_alu instid0(VALU_DEP_4) | instskip(NEXT) | instid1(VALU_DEP_4)
	v_add_f64_e32 v[0:1], v[0:1], v[10:11]
	v_add_f64_e32 v[2:3], v[2:3], v[12:13]
	v_mul_f64_e32 v[10:11], v[22:23], v[70:71]
	v_mul_f64_e32 v[12:13], v[20:21], v[70:71]
	v_fma_f64 v[4:5], v[24:25], v[76:77], -v[4:5]
	v_add_f64_e32 v[0:1], v[0:1], v[6:7]
	v_add_f64_e32 v[2:3], v[2:3], v[8:9]
	v_mul_f64_e32 v[6:7], v[66:67], v[122:123]
	v_mul_f64_e32 v[8:9], v[64:65], v[122:123]
	v_fma_f64 v[10:11], v[20:21], v[68:69], -v[10:11]
	v_fmac_f64_e32 v[12:13], v[22:23], v[68:69]
	v_add_f64_e32 v[0:1], v[0:1], v[4:5]
	v_add_f64_e32 v[2:3], v[2:3], v[14:15]
	v_mul_f64_e32 v[4:5], v[62:63], v[130:131]
	v_mul_f64_e32 v[14:15], v[60:61], v[130:131]
	v_fma_f64 v[6:7], v[64:65], v[120:121], -v[6:7]
	v_fmac_f64_e32 v[8:9], v[66:67], v[120:121]
	;; [unrolled: 6-line block ×8, first 2 shown]
	v_add_f64_e32 v[0:1], v[0:1], v[10:11]
	v_add_f64_e32 v[2:3], v[2:3], v[12:13]
	v_fma_f64 v[4:5], v[96:97], v[136:137], -v[4:5]
	v_fmac_f64_e32 v[14:15], v[98:99], v[136:137]
	s_delay_alu instid0(VALU_DEP_4) | instskip(NEXT) | instid1(VALU_DEP_4)
	v_add_f64_e32 v[0:1], v[0:1], v[6:7]
	v_add_f64_e32 v[2:3], v[2:3], v[8:9]
	s_delay_alu instid0(VALU_DEP_2) | instskip(NEXT) | instid1(VALU_DEP_2)
	v_add_f64_e32 v[0:1], v[0:1], v[4:5]
	v_add_f64_e32 v[2:3], v[2:3], v[14:15]
	v_add_nc_u64_e32 v[4:5], s[66:67], v[166:167]
	s_cbranch_scc1 .LBB60_117
.LBB60_113:                             ;   Parent Loop BB60_4 Depth=1
                                        ; =>  This Inner Loop Header: Depth=2
	s_and_saveexec_b32 s81, s0
	s_cbranch_execz .LBB60_115
; %bb.114:                              ;   in Loop: Header=BB60_113 Depth=2
	s_mul_u64 s[82:83], s[38:39], s[36:37]
	s_delay_alu instid0(SALU_CYCLE_1)
	v_lshl_add_u64 v[6:7], s[82:83], 4, v[164:165]
	flat_load_b128 v[6:9], v[6:7]
	s_wait_loadcnt_dscnt 0x0
	ds_store_2addr_b64 v182, v[6:7], v[8:9] offset1:1
.LBB60_115:                             ;   in Loop: Header=BB60_113 Depth=2
	s_wait_xcnt 0x0
	s_or_b32 exec_lo, exec_lo, s81
	s_delay_alu instid0(VALU_DEP_1) | instskip(SKIP_3) | instid1(VALU_DEP_1)
	v_add_nc_u64_e32 v[6:7], s[64:65], v[4:5]
	s_wait_dscnt 0x0
	s_barrier_signal -1
	s_barrier_wait -1
	v_add_nc_u64_e32 v[8:9], s[64:65], v[6:7]
	s_delay_alu instid0(VALU_DEP_1)
	v_add_nc_u64_e32 v[28:29], s[64:65], v[8:9]
	s_clause 0x3
	flat_load_b128 v[16:19], v[4:5]
	flat_load_b128 v[12:15], v[6:7]
	;; [unrolled: 1-line block ×4, first 2 shown]
	ds_load_b128 v[20:23], v168
	ds_load_b128 v[36:39], v183
	s_wait_loadcnt_dscnt 0x301
	v_mul_f64_e32 v[24:25], v[18:19], v[22:23]
	v_mul_f64_e32 v[26:27], v[18:19], v[20:21]
	s_wait_loadcnt 0x2
	v_mul_f64_e32 v[32:33], v[14:15], v[22:23]
	v_mul_f64_e32 v[30:31], v[14:15], v[20:21]
	s_wait_loadcnt 0x1
	;; [unrolled: 3-line block ×3, first 2 shown]
	v_mul_f64_e32 v[52:53], v[6:7], v[22:23]
	v_mul_f64_e32 v[44:45], v[6:7], v[20:21]
	v_fmac_f64_e32 v[24:25], v[16:17], v[20:21]
	v_fma_f64 v[26:27], v[16:17], v[22:23], -v[26:27]
	v_fmac_f64_e32 v[32:33], v[12:13], v[20:21]
	v_fma_f64 v[34:35], v[12:13], v[22:23], -v[30:31]
	;; [unrolled: 2-line block ×4, first 2 shown]
	v_add_nc_u64_e32 v[20:21], s[66:67], v[28:29]
	ds_load_b128 v[48:51], v183 offset:16
	ds_load_b128 v[44:47], v183 offset:32
	s_wait_xcnt 0x0
	ds_load_b128 v[28:31], v183 offset:48
	ds_store_b128 v184, v[24:27]
	ds_store_b128 v184, v[32:35] offset:1072
	ds_store_b128 v184, v[40:43] offset:2144
	;; [unrolled: 1-line block ×3, first 2 shown]
	v_add_nc_u64_e32 v[22:23], s[64:65], v[20:21]
	s_wait_dscnt 0x0
	s_barrier_signal -1
	s_barrier_wait -1
	ds_load_b128 v[116:119], v185
	ds_load_b128 v[104:107], v185 offset:16
	ds_load_b128 v[92:95], v185 offset:32
	;; [unrolled: 1-line block ×3, first 2 shown]
	s_wait_dscnt 0x0
	v_add_nc_u64_e32 v[56:57], s[64:65], v[22:23]
	s_barrier_signal -1
	s_barrier_wait -1
	s_delay_alu instid0(VALU_DEP_1)
	v_add_nc_u64_e32 v[68:69], s[64:65], v[56:57]
	s_clause 0x3
	flat_load_b128 v[40:43], v[20:21]
	flat_load_b128 v[32:35], v[22:23]
	;; [unrolled: 1-line block ×4, first 2 shown]
	ds_load_b128 v[52:55], v168
	ds_load_b128 v[72:75], v183 offset:256
	s_wait_loadcnt_dscnt 0x301
	v_mul_f64_e32 v[58:59], v[42:43], v[52:53]
	s_wait_xcnt 0x1
	v_mul_f64_e32 v[56:57], v[42:43], v[54:55]
	s_wait_loadcnt 0x2
	v_mul_f64_e32 v[62:63], v[34:35], v[52:53]
	v_mul_f64_e32 v[60:61], v[34:35], v[54:55]
	s_wait_loadcnt 0x1
	v_mul_f64_e32 v[66:67], v[26:27], v[52:53]
	;; [unrolled: 3-line block ×3, first 2 shown]
	v_mul_f64_e32 v[88:89], v[22:23], v[54:55]
	v_fma_f64 v[58:59], v[40:41], v[54:55], -v[58:59]
	v_fmac_f64_e32 v[56:57], v[40:41], v[52:53]
	v_fma_f64 v[62:63], v[32:33], v[54:55], -v[62:63]
	v_fmac_f64_e32 v[60:61], v[32:33], v[52:53]
	v_fma_f64 v[66:67], v[24:25], v[54:55], -v[66:67]
	v_fmac_f64_e32 v[64:65], v[24:25], v[52:53]
	v_fma_f64 v[90:91], v[20:21], v[54:55], -v[70:71]
	v_fmac_f64_e32 v[88:89], v[20:21], v[52:53]
	v_add_nc_u64_e32 v[52:53], s[66:67], v[68:69]
	ds_load_b128 v[80:83], v183 offset:272
	ds_load_b128 v[76:79], v183 offset:288
	s_wait_xcnt 0x0
	ds_load_b128 v[68:71], v183 offset:304
	ds_store_b128 v184, v[56:59]
	ds_store_b128 v184, v[60:63] offset:1072
	ds_store_b128 v184, v[64:67] offset:2144
	;; [unrolled: 1-line block ×3, first 2 shown]
	v_add_nc_u64_e32 v[54:55], s[64:65], v[52:53]
	s_wait_dscnt 0x0
	s_barrier_signal -1
	s_barrier_wait -1
	ds_load_b128 v[194:197], v185
	ds_load_b128 v[198:201], v185 offset:16
	ds_load_b128 v[202:205], v185 offset:32
	;; [unrolled: 1-line block ×3, first 2 shown]
	s_wait_dscnt 0x0
	v_add_nc_u64_e32 v[96:97], s[64:65], v[54:55]
	s_barrier_signal -1
	s_barrier_wait -1
	s_delay_alu instid0(VALU_DEP_1)
	v_add_nc_u64_e32 v[112:113], s[64:65], v[96:97]
	s_clause 0x2
	flat_load_b128 v[64:67], v[52:53]
	flat_load_b128 v[60:63], v[54:55]
	;; [unrolled: 1-line block ×4, first 2 shown]
	ds_load_b128 v[88:91], v168
	ds_load_b128 v[120:123], v183 offset:512
	v_add_f64_e32 v[194:195], 0, v[194:195]
	v_add_f64_e32 v[196:197], 0, v[196:197]
	s_delay_alu instid0(VALU_DEP_2) | instskip(NEXT) | instid1(VALU_DEP_2)
	v_add_f64_e32 v[194:195], v[194:195], v[198:199]
	v_add_f64_e32 v[196:197], v[196:197], v[200:201]
	s_delay_alu instid0(VALU_DEP_2) | instskip(NEXT) | instid1(VALU_DEP_2)
	v_add_f64_e32 v[194:195], v[194:195], v[202:203]
	v_add_f64_e32 v[196:197], v[196:197], v[204:205]
	s_wait_loadcnt_dscnt 0x301
	v_mul_f64_e32 v[98:99], v[66:67], v[88:89]
	s_wait_xcnt 0x1
	v_mul_f64_e32 v[96:97], v[66:67], v[90:91]
	s_wait_loadcnt 0x2
	v_mul_f64_e32 v[102:103], v[62:63], v[88:89]
	v_mul_f64_e32 v[100:101], v[62:63], v[90:91]
	s_wait_loadcnt 0x1
	v_mul_f64_e32 v[110:111], v[58:59], v[88:89]
	;; [unrolled: 3-line block ×3, first 2 shown]
	v_mul_f64_e32 v[132:133], v[54:55], v[90:91]
	v_fma_f64 v[98:99], v[64:65], v[90:91], -v[98:99]
	v_fmac_f64_e32 v[96:97], v[64:65], v[88:89]
	v_fma_f64 v[102:103], v[60:61], v[90:91], -v[102:103]
	v_fmac_f64_e32 v[100:101], v[60:61], v[88:89]
	;; [unrolled: 2-line block ×4, first 2 shown]
	v_add_nc_u64_e32 v[88:89], s[66:67], v[112:113]
	ds_load_b128 v[128:131], v183 offset:528
	ds_load_b128 v[124:127], v183 offset:544
	s_wait_xcnt 0x0
	ds_load_b128 v[112:115], v183 offset:560
	ds_store_b128 v184, v[96:99]
	ds_store_b128 v184, v[100:103] offset:1072
	ds_store_b128 v184, v[108:111] offset:2144
	ds_store_b128 v184, v[132:135] offset:3216
	v_add_nc_u64_e32 v[90:91], s[64:65], v[88:89]
	s_wait_dscnt 0x0
	s_barrier_signal -1
	s_barrier_wait -1
	ds_load_b128 v[210:213], v185
	ds_load_b128 v[214:217], v185 offset:16
	ds_load_b128 v[218:221], v185 offset:32
	;; [unrolled: 1-line block ×3, first 2 shown]
	s_wait_dscnt 0x0
	v_add_nc_u64_e32 v[136:137], s[64:65], v[90:91]
	s_barrier_signal -1
	s_barrier_wait -1
	s_delay_alu instid0(VALU_DEP_1)
	v_add_nc_u64_e32 v[166:167], s[64:65], v[136:137]
	flat_load_b128 v[108:111], v[88:89]
	flat_load_b128 v[100:103], v[90:91]
	;; [unrolled: 1-line block ×4, first 2 shown]
	s_wait_xcnt 0x1
	ds_load_b128 v[136:139], v168
	ds_load_b128 v[132:135], v183 offset:768
	v_add_f64_e32 v[210:211], 0, v[210:211]
	v_add_f64_e32 v[212:213], 0, v[212:213]
	s_delay_alu instid0(VALU_DEP_2) | instskip(NEXT) | instid1(VALU_DEP_2)
	v_add_f64_e32 v[198:199], v[210:211], v[214:215]
	v_add_f64_e32 v[200:201], v[212:213], v[216:217]
	s_delay_alu instid0(VALU_DEP_2) | instskip(NEXT) | instid1(VALU_DEP_2)
	v_add_f64_e32 v[198:199], v[198:199], v[218:219]
	v_add_f64_e32 v[200:201], v[200:201], v[220:221]
	s_wait_loadcnt_dscnt 0x301
	v_mul_f64_e32 v[140:141], v[110:111], v[136:137]
	v_mul_f64_e32 v[226:227], v[110:111], v[138:139]
	s_wait_loadcnt 0x2
	v_mul_f64_e32 v[142:143], v[102:103], v[136:137]
	v_mul_f64_e32 v[230:231], v[102:103], v[138:139]
	s_wait_loadcnt 0x1
	;; [unrolled: 3-line block ×3, first 2 shown]
	v_mul_f64_e32 v[146:147], v[98:99], v[136:137]
	v_mul_f64_e32 v[238:239], v[98:99], v[138:139]
	v_fma_f64 v[228:229], v[108:109], v[138:139], -v[140:141]
	v_fmac_f64_e32 v[226:227], v[108:109], v[136:137]
	v_fma_f64 v[232:233], v[100:101], v[138:139], -v[142:143]
	v_fmac_f64_e32 v[230:231], v[100:101], v[136:137]
	;; [unrolled: 2-line block ×4, first 2 shown]
	ds_load_b128 v[144:147], v183 offset:784
	ds_load_b128 v[140:143], v183 offset:800
	;; [unrolled: 1-line block ×3, first 2 shown]
	ds_store_b128 v184, v[226:229]
	ds_store_b128 v184, v[230:233] offset:1072
	ds_store_b128 v184, v[234:237] offset:2144
	;; [unrolled: 1-line block ×3, first 2 shown]
	s_wait_dscnt 0x0
	s_barrier_signal -1
	s_barrier_wait -1
	ds_load_b128 v[226:229], v185
	v_add_f64_e32 v[230:231], 0, v[116:117]
	v_add_f64_e32 v[232:233], 0, v[118:119]
	ds_load_b128 v[116:119], v185 offset:16
	s_wait_dscnt 0x1
	v_add_f64_e32 v[226:227], 0, v[226:227]
	v_add_f64_e32 v[228:229], 0, v[228:229]
	;; [unrolled: 1-line block ×4, first 2 shown]
	ds_load_b128 v[104:107], v185 offset:32
	s_wait_dscnt 0x1
	v_add_f64_e32 v[116:117], v[226:227], v[116:117]
	v_add_f64_e32 v[118:119], v[228:229], v[118:119]
	;; [unrolled: 1-line block ×4, first 2 shown]
	ds_load_b128 v[92:95], v185 offset:48
	s_wait_dscnt 0x0
	s_barrier_signal -1
	s_barrier_wait -1
	v_add_f64_e32 v[202:203], v[116:117], v[104:105]
	v_add_f64_e32 v[204:205], v[118:119], v[106:107]
	;; [unrolled: 1-line block ×10, first 2 shown]
	ds_store_b128 v193, v[84:87]
	ds_store_b128 v193, v[104:107] offset:256
	ds_store_b128 v193, v[116:119] offset:512
	ds_store_b128 v193, v[92:95] offset:768
	s_wait_dscnt 0x0
	s_barrier_signal -1
	s_barrier_wait -1
	s_wait_xcnt 0x0
	s_and_saveexec_b32 s81, s22
	s_cbranch_execz .LBB60_112
; %bb.116:                              ;   in Loop: Header=BB60_113 Depth=2
	ds_load_b128 v[84:87], v186
	ds_load_b128 v[92:95], v186 offset:16
	s_wait_dscnt 0x0
	v_add_f64_e32 v[104:105], v[92:93], v[84:85]
	v_add_f64_e32 v[106:107], v[94:95], v[86:87]
	ds_load_b128 v[84:87], v186 offset:32
	ds_load_b128 v[92:95], v186 offset:48
	s_wait_dscnt 0x1
	v_add_f64_e32 v[84:85], v[104:105], v[84:85]
	v_add_f64_e32 v[86:87], v[106:107], v[86:87]
	s_wait_dscnt 0x0
	s_delay_alu instid0(VALU_DEP_2) | instskip(NEXT) | instid1(VALU_DEP_2)
	v_add_f64_e32 v[104:105], v[84:85], v[92:93]
	v_add_f64_e32 v[106:107], v[86:87], v[94:95]
	ds_load_b128 v[84:87], v186 offset:64
	ds_load_b128 v[92:95], v186 offset:80
	s_wait_dscnt 0x1
	v_add_f64_e32 v[84:85], v[104:105], v[84:85]
	v_add_f64_e32 v[86:87], v[106:107], v[86:87]
	s_wait_dscnt 0x0
	s_delay_alu instid0(VALU_DEP_2) | instskip(NEXT) | instid1(VALU_DEP_2)
	;; [unrolled: 9-line block ×6, first 2 shown]
	v_add_f64_e32 v[104:105], v[84:85], v[92:93]
	v_add_f64_e32 v[106:107], v[86:87], v[94:95]
	ds_load_b128 v[84:87], v186 offset:224
	ds_load_b128 v[92:95], v187
	s_wait_dscnt 0x1
	v_add_f64_e32 v[84:85], v[104:105], v[84:85]
	v_add_f64_e32 v[86:87], v[106:107], v[86:87]
	s_wait_dscnt 0x0
	s_delay_alu instid0(VALU_DEP_2) | instskip(NEXT) | instid1(VALU_DEP_2)
	v_add_f64_e32 v[84:85], v[84:85], v[92:93]
	v_dual_add_f64 v[86:87], v[86:87], v[94:95] :: v_dual_add_nc_u32 v92, s36, v148
	global_store_b128 v92, v[84:87], s[74:75] scale_offset
	s_branch .LBB60_112
.LBB60_117:                             ;   in Loop: Header=BB60_4 Depth=1
	ds_store_b128 v188, v[0:3]
	s_wait_dscnt 0x0
	s_barrier_signal -1
	s_barrier_wait -1
	s_and_saveexec_b32 s35, s80
	s_cbranch_execz .LBB60_2
; %bb.118:                              ;   in Loop: Header=BB60_4 Depth=1
	ds_load_b128 v[0:3], v149 offset:1072
	ds_load_b128 v[4:7], v149
	s_wait_dscnt 0x0
	v_add_f64_e32 v[8:9], v[0:1], v[4:5]
	v_add_f64_e32 v[10:11], v[2:3], v[6:7]
	ds_load_b128 v[0:3], v149 offset:2144
	ds_load_b128 v[4:7], v149 offset:3216
	s_wait_dscnt 0x1
	v_add_f64_e32 v[0:1], v[8:9], v[0:1]
	v_add_f64_e32 v[2:3], v[10:11], v[2:3]
	s_wait_dscnt 0x0
	s_delay_alu instid0(VALU_DEP_2) | instskip(NEXT) | instid1(VALU_DEP_2)
	v_add_f64_e32 v[0:1], v[0:1], v[4:5]
	v_add_f64_e32 v[2:3], v[2:3], v[6:7]
	v_lshl_add_u64 v[4:5], v[154:155], 4, s[74:75]
	global_store_b128 v[4:5], v[0:3], off
	s_branch .LBB60_2
.LBB60_119:                             ;   in Loop: Header=BB60_4 Depth=1
	flat_load_b128 v[6:9], v[0:1]
	s_wait_loadcnt_dscnt 0x0
	ds_store_2addr_b64 v169, v[6:7], v[8:9] offset1:1
	s_wait_xcnt 0x0
	s_or_b32 exec_lo, exec_lo, s35
	s_and_saveexec_b32 s35, s4
	s_delay_alu instid0(SALU_CYCLE_1)
	s_xor_b32 s35, exec_lo, s35
	s_cbranch_execz .LBB60_19
.LBB60_120:                             ;   in Loop: Header=BB60_4 Depth=1
	v_dual_mov_b32 v6, v151 :: v_dual_mov_b32 v7, v151
	v_dual_mov_b32 v8, v151 :: v_dual_mov_b32 v9, v151
	ds_store_b128 v170, v[6:9]
	s_and_not1_saveexec_b32 s35, s35
	s_cbranch_execz .LBB60_20
.LBB60_121:                             ;   in Loop: Header=BB60_4 Depth=1
	v_add_nc_u64_e32 v[2:3], s[44:45], v[0:1]
	flat_load_b128 v[6:9], v[2:3]
	s_wait_loadcnt_dscnt 0x0
	ds_store_2addr_b64 v170, v[6:7], v[8:9] offset1:1
	s_wait_xcnt 0x0
	s_or_b32 exec_lo, exec_lo, s35
	s_and_saveexec_b32 s35, s5
	s_delay_alu instid0(SALU_CYCLE_1)
	s_xor_b32 s35, exec_lo, s35
	s_cbranch_execz .LBB60_21
.LBB60_122:                             ;   in Loop: Header=BB60_4 Depth=1
	v_dual_mov_b32 v6, v151 :: v_dual_mov_b32 v7, v151
	v_dual_mov_b32 v8, v151 :: v_dual_mov_b32 v9, v151
	ds_store_b128 v171, v[6:9]
	s_and_not1_saveexec_b32 s35, s35
	s_cbranch_execz .LBB60_22
.LBB60_123:                             ;   in Loop: Header=BB60_4 Depth=1
	v_add_nc_u64_e32 v[2:3], s[46:47], v[0:1]
	flat_load_b128 v[6:9], v[2:3]
	s_wait_loadcnt_dscnt 0x0
	ds_store_2addr_b64 v171, v[6:7], v[8:9] offset1:1
	s_wait_xcnt 0x0
	s_or_b32 exec_lo, exec_lo, s35
	s_and_saveexec_b32 s35, s6
	s_delay_alu instid0(SALU_CYCLE_1)
	s_xor_b32 s35, exec_lo, s35
	s_cbranch_execz .LBB60_23
.LBB60_124:                             ;   in Loop: Header=BB60_4 Depth=1
	v_dual_mov_b32 v6, v151 :: v_dual_mov_b32 v7, v151
	v_dual_mov_b32 v8, v151 :: v_dual_mov_b32 v9, v151
	ds_store_b128 v172, v[6:9]
	s_and_not1_saveexec_b32 s35, s35
	s_cbranch_execnz .LBB60_24
	s_branch .LBB60_25
.LBB60_125:                             ;   in Loop: Header=BB60_4 Depth=1
	flat_load_b128 v[10:13], v[4:5]
	s_wait_loadcnt_dscnt 0x0
	ds_store_2addr_b64 v169, v[10:11], v[12:13] offset1:1
	s_wait_xcnt 0x0
	s_or_b32 exec_lo, exec_lo, s36
	s_and_saveexec_b32 s36, s18
	s_delay_alu instid0(SALU_CYCLE_1)
	s_xor_b32 s36, exec_lo, s36
	s_cbranch_execz .LBB60_59
.LBB60_126:                             ;   in Loop: Header=BB60_4 Depth=1
	v_dual_mov_b32 v10, v151 :: v_dual_mov_b32 v11, v151
	v_dual_mov_b32 v12, v151 :: v_dual_mov_b32 v13, v151
	ds_store_b128 v170, v[10:13]
	s_and_not1_saveexec_b32 s36, s36
	s_cbranch_execz .LBB60_60
.LBB60_127:                             ;   in Loop: Header=BB60_4 Depth=1
	v_add_nc_u64_e32 v[6:7], s[44:45], v[4:5]
	flat_load_b128 v[10:13], v[6:7]
	s_wait_loadcnt_dscnt 0x0
	ds_store_2addr_b64 v170, v[10:11], v[12:13] offset1:1
	s_wait_xcnt 0x0
	s_or_b32 exec_lo, exec_lo, s36
	s_and_saveexec_b32 s36, s19
	s_delay_alu instid0(SALU_CYCLE_1)
	s_xor_b32 s36, exec_lo, s36
	s_cbranch_execz .LBB60_61
.LBB60_128:                             ;   in Loop: Header=BB60_4 Depth=1
	v_dual_mov_b32 v10, v151 :: v_dual_mov_b32 v11, v151
	v_dual_mov_b32 v12, v151 :: v_dual_mov_b32 v13, v151
	ds_store_b128 v171, v[10:13]
	s_and_not1_saveexec_b32 s36, s36
	s_cbranch_execz .LBB60_62
.LBB60_129:                             ;   in Loop: Header=BB60_4 Depth=1
	v_add_nc_u64_e32 v[6:7], s[46:47], v[4:5]
	flat_load_b128 v[10:13], v[6:7]
	s_wait_loadcnt_dscnt 0x0
	ds_store_2addr_b64 v171, v[10:11], v[12:13] offset1:1
	s_wait_xcnt 0x0
	s_or_b32 exec_lo, exec_lo, s36
	s_and_saveexec_b32 s36, s20
	s_delay_alu instid0(SALU_CYCLE_1)
	s_xor_b32 s36, exec_lo, s36
	s_cbranch_execz .LBB60_63
.LBB60_130:                             ;   in Loop: Header=BB60_4 Depth=1
	v_dual_mov_b32 v10, v151 :: v_dual_mov_b32 v11, v151
	v_dual_mov_b32 v12, v151 :: v_dual_mov_b32 v13, v151
	ds_store_b128 v172, v[10:13]
	s_and_not1_saveexec_b32 s36, s36
	s_cbranch_execnz .LBB60_64
	s_branch .LBB60_65
.LBB60_131:                             ;   in Loop: Header=BB60_4 Depth=1
	flat_load_b128 v[6:9], v[4:5]
	s_wait_loadcnt_dscnt 0x0
	ds_store_2addr_b64 v169, v[6:7], v[8:9] offset1:1
	s_wait_xcnt 0x0
	s_or_b32 exec_lo, exec_lo, s36
	s_and_saveexec_b32 s36, s4
	s_delay_alu instid0(SALU_CYCLE_1)
	s_xor_b32 s36, exec_lo, s36
	s_cbranch_execz .LBB60_99
.LBB60_132:                             ;   in Loop: Header=BB60_4 Depth=1
	v_dual_mov_b32 v6, v151 :: v_dual_mov_b32 v7, v151
	v_dual_mov_b32 v8, v151 :: v_dual_mov_b32 v9, v151
	ds_store_b128 v170, v[6:9]
	s_and_not1_saveexec_b32 s36, s36
	s_cbranch_execz .LBB60_100
.LBB60_133:                             ;   in Loop: Header=BB60_4 Depth=1
	v_add_nc_u64_e32 v[6:7], s[44:45], v[4:5]
	flat_load_b128 v[6:9], v[6:7]
	s_wait_loadcnt_dscnt 0x0
	ds_store_2addr_b64 v170, v[6:7], v[8:9] offset1:1
	s_wait_xcnt 0x0
	s_or_b32 exec_lo, exec_lo, s36
	s_and_saveexec_b32 s36, s5
	s_delay_alu instid0(SALU_CYCLE_1)
	s_xor_b32 s36, exec_lo, s36
	s_cbranch_execz .LBB60_101
.LBB60_134:                             ;   in Loop: Header=BB60_4 Depth=1
	v_dual_mov_b32 v6, v151 :: v_dual_mov_b32 v7, v151
	v_dual_mov_b32 v8, v151 :: v_dual_mov_b32 v9, v151
	ds_store_b128 v171, v[6:9]
	s_and_not1_saveexec_b32 s36, s36
	s_cbranch_execz .LBB60_102
.LBB60_135:                             ;   in Loop: Header=BB60_4 Depth=1
	v_add_nc_u64_e32 v[6:7], s[46:47], v[4:5]
	flat_load_b128 v[6:9], v[6:7]
	s_wait_loadcnt_dscnt 0x0
	ds_store_2addr_b64 v171, v[6:7], v[8:9] offset1:1
	s_wait_xcnt 0x0
	s_or_b32 exec_lo, exec_lo, s36
	s_and_saveexec_b32 s36, s6
	s_delay_alu instid0(SALU_CYCLE_1)
	s_xor_b32 s36, exec_lo, s36
	s_cbranch_execz .LBB60_103
.LBB60_136:                             ;   in Loop: Header=BB60_4 Depth=1
	v_dual_mov_b32 v6, v151 :: v_dual_mov_b32 v7, v151
	v_dual_mov_b32 v8, v151 :: v_dual_mov_b32 v9, v151
	ds_store_b128 v172, v[6:9]
	s_and_not1_saveexec_b32 s36, s36
	s_cbranch_execnz .LBB60_104
	s_branch .LBB60_105
.LBB60_137:
	s_sendmsg sendmsg(MSG_DEALLOC_VGPRS)
	s_endpgm
	.section	.rodata,"a",@progbits
	.p2align	6, 0x0
	.amdhsa_kernel _ZL26rocblas_hemvn_kernel_lowerILb1ELi64ELi4ELi33ELi32ELi16El19rocblas_complex_numIdEPKPKS1_PS1_EviT6_lT7_lT5_lS8_lS9_lS7_lT8_i
		.amdhsa_group_segment_fixed_size 19200
		.amdhsa_private_segment_fixed_size 0
		.amdhsa_kernarg_size 392
		.amdhsa_user_sgpr_count 2
		.amdhsa_user_sgpr_dispatch_ptr 0
		.amdhsa_user_sgpr_queue_ptr 0
		.amdhsa_user_sgpr_kernarg_segment_ptr 1
		.amdhsa_user_sgpr_dispatch_id 0
		.amdhsa_user_sgpr_kernarg_preload_length 0
		.amdhsa_user_sgpr_kernarg_preload_offset 0
		.amdhsa_user_sgpr_private_segment_size 0
		.amdhsa_wavefront_size32 1
		.amdhsa_uses_dynamic_stack 0
		.amdhsa_enable_private_segment 0
		.amdhsa_system_sgpr_workgroup_id_x 1
		.amdhsa_system_sgpr_workgroup_id_y 0
		.amdhsa_system_sgpr_workgroup_id_z 1
		.amdhsa_system_sgpr_workgroup_info 0
		.amdhsa_system_vgpr_workitem_id 1
		.amdhsa_next_free_vgpr 242
		.amdhsa_next_free_sgpr 84
		.amdhsa_named_barrier_count 0
		.amdhsa_reserve_vcc 1
		.amdhsa_float_round_mode_32 0
		.amdhsa_float_round_mode_16_64 0
		.amdhsa_float_denorm_mode_32 3
		.amdhsa_float_denorm_mode_16_64 3
		.amdhsa_fp16_overflow 0
		.amdhsa_memory_ordered 1
		.amdhsa_forward_progress 1
		.amdhsa_inst_pref_size 66
		.amdhsa_round_robin_scheduling 0
		.amdhsa_exception_fp_ieee_invalid_op 0
		.amdhsa_exception_fp_denorm_src 0
		.amdhsa_exception_fp_ieee_div_zero 0
		.amdhsa_exception_fp_ieee_overflow 0
		.amdhsa_exception_fp_ieee_underflow 0
		.amdhsa_exception_fp_ieee_inexact 0
		.amdhsa_exception_int_div_zero 0
	.end_amdhsa_kernel
	.section	.text._ZL26rocblas_hemvn_kernel_lowerILb1ELi64ELi4ELi33ELi32ELi16El19rocblas_complex_numIdEPKPKS1_PS1_EviT6_lT7_lT5_lS8_lS9_lS7_lT8_i,"axG",@progbits,_ZL26rocblas_hemvn_kernel_lowerILb1ELi64ELi4ELi33ELi32ELi16El19rocblas_complex_numIdEPKPKS1_PS1_EviT6_lT7_lT5_lS8_lS9_lS7_lT8_i,comdat
.Lfunc_end60:
	.size	_ZL26rocblas_hemvn_kernel_lowerILb1ELi64ELi4ELi33ELi32ELi16El19rocblas_complex_numIdEPKPKS1_PS1_EviT6_lT7_lT5_lS8_lS9_lS7_lT8_i, .Lfunc_end60-_ZL26rocblas_hemvn_kernel_lowerILb1ELi64ELi4ELi33ELi32ELi16El19rocblas_complex_numIdEPKPKS1_PS1_EviT6_lT7_lT5_lS8_lS9_lS7_lT8_i
                                        ; -- End function
	.set _ZL26rocblas_hemvn_kernel_lowerILb1ELi64ELi4ELi33ELi32ELi16El19rocblas_complex_numIdEPKPKS1_PS1_EviT6_lT7_lT5_lS8_lS9_lS7_lT8_i.num_vgpr, 242
	.set _ZL26rocblas_hemvn_kernel_lowerILb1ELi64ELi4ELi33ELi32ELi16El19rocblas_complex_numIdEPKPKS1_PS1_EviT6_lT7_lT5_lS8_lS9_lS7_lT8_i.num_agpr, 0
	.set _ZL26rocblas_hemvn_kernel_lowerILb1ELi64ELi4ELi33ELi32ELi16El19rocblas_complex_numIdEPKPKS1_PS1_EviT6_lT7_lT5_lS8_lS9_lS7_lT8_i.numbered_sgpr, 84
	.set _ZL26rocblas_hemvn_kernel_lowerILb1ELi64ELi4ELi33ELi32ELi16El19rocblas_complex_numIdEPKPKS1_PS1_EviT6_lT7_lT5_lS8_lS9_lS7_lT8_i.num_named_barrier, 0
	.set _ZL26rocblas_hemvn_kernel_lowerILb1ELi64ELi4ELi33ELi32ELi16El19rocblas_complex_numIdEPKPKS1_PS1_EviT6_lT7_lT5_lS8_lS9_lS7_lT8_i.private_seg_size, 0
	.set _ZL26rocblas_hemvn_kernel_lowerILb1ELi64ELi4ELi33ELi32ELi16El19rocblas_complex_numIdEPKPKS1_PS1_EviT6_lT7_lT5_lS8_lS9_lS7_lT8_i.uses_vcc, 1
	.set _ZL26rocblas_hemvn_kernel_lowerILb1ELi64ELi4ELi33ELi32ELi16El19rocblas_complex_numIdEPKPKS1_PS1_EviT6_lT7_lT5_lS8_lS9_lS7_lT8_i.uses_flat_scratch, 1
	.set _ZL26rocblas_hemvn_kernel_lowerILb1ELi64ELi4ELi33ELi32ELi16El19rocblas_complex_numIdEPKPKS1_PS1_EviT6_lT7_lT5_lS8_lS9_lS7_lT8_i.has_dyn_sized_stack, 0
	.set _ZL26rocblas_hemvn_kernel_lowerILb1ELi64ELi4ELi33ELi32ELi16El19rocblas_complex_numIdEPKPKS1_PS1_EviT6_lT7_lT5_lS8_lS9_lS7_lT8_i.has_recursion, 0
	.set _ZL26rocblas_hemvn_kernel_lowerILb1ELi64ELi4ELi33ELi32ELi16El19rocblas_complex_numIdEPKPKS1_PS1_EviT6_lT7_lT5_lS8_lS9_lS7_lT8_i.has_indirect_call, 0
	.section	.AMDGPU.csdata,"",@progbits
; Kernel info:
; codeLenInByte = 8436
; TotalNumSgprs: 86
; NumVgprs: 242
; ScratchSize: 0
; MemoryBound: 0
; FloatMode: 240
; IeeeMode: 1
; LDSByteSize: 19200 bytes/workgroup (compile time only)
; SGPRBlocks: 0
; VGPRBlocks: 15
; NumSGPRsForWavesPerEU: 86
; NumVGPRsForWavesPerEU: 242
; NamedBarCnt: 0
; Occupancy: 4
; WaveLimiterHint : 1
; COMPUTE_PGM_RSRC2:SCRATCH_EN: 0
; COMPUTE_PGM_RSRC2:USER_SGPR: 2
; COMPUTE_PGM_RSRC2:TRAP_HANDLER: 0
; COMPUTE_PGM_RSRC2:TGID_X_EN: 1
; COMPUTE_PGM_RSRC2:TGID_Y_EN: 0
; COMPUTE_PGM_RSRC2:TGID_Z_EN: 1
; COMPUTE_PGM_RSRC2:TIDIG_COMP_CNT: 1
	.section	.text._ZL36rocblas_hemvn_kernel_lower_block_sumILi64El19rocblas_complex_numIdEPKPS1_S1_EviT1_lS5_lT2_lT0_lPT3_i,"axG",@progbits,_ZL36rocblas_hemvn_kernel_lower_block_sumILi64El19rocblas_complex_numIdEPKPS1_S1_EviT1_lS5_lT2_lT0_lPT3_i,comdat
	.globl	_ZL36rocblas_hemvn_kernel_lower_block_sumILi64El19rocblas_complex_numIdEPKPS1_S1_EviT1_lS5_lT2_lT0_lPT3_i ; -- Begin function _ZL36rocblas_hemvn_kernel_lower_block_sumILi64El19rocblas_complex_numIdEPKPS1_S1_EviT1_lS5_lT2_lT0_lPT3_i
	.p2align	8
	.type	_ZL36rocblas_hemvn_kernel_lower_block_sumILi64El19rocblas_complex_numIdEPKPS1_S1_EviT1_lS5_lT2_lT0_lPT3_i,@function
_ZL36rocblas_hemvn_kernel_lower_block_sumILi64El19rocblas_complex_numIdEPKPS1_S1_EviT1_lS5_lT2_lT0_lPT3_i: ; @_ZL36rocblas_hemvn_kernel_lower_block_sumILi64El19rocblas_complex_numIdEPKPS1_S1_EviT1_lS5_lT2_lT0_lPT3_i
; %bb.0:
	s_load_b32 s24, s[0:1], 0x60
	s_bfe_u32 s2, ttmp6, 0x40014
	s_lshr_b32 s3, ttmp7, 16
	s_add_co_i32 s2, s2, 1
	s_bfe_u32 s4, ttmp6, 0x40008
	s_mul_i32 s2, s3, s2
	s_getreg_b32 s16, hwreg(HW_REG_IB_STS2, 6, 4)
	s_add_co_i32 s4, s4, s2
	s_cmp_eq_u32 s16, 0
	s_cselect_b32 s2, s3, s4
	s_mov_b32 s3, 0
	s_wait_kmcnt 0x0
	s_cmp_ge_u32 s2, s24
	s_cbranch_scc1 .LBB61_24
; %bb.1:
	s_clause 0x3
	s_load_b128 s[4:7], s[0:1], 0x8
	s_load_b128 s[8:11], s[0:1], 0x20
	s_load_b32 s18, s[0:1], 0x0
	s_load_b128 s[12:15], s[0:1], 0x40
	s_bfe_u32 s20, ttmp6, 0x4000c
	s_and_b32 s21, ttmp6, 15
	s_add_co_i32 s20, s20, 1
	s_wait_kmcnt 0x0
	v_cmp_neq_f64_e64 s23, s[8:9], 0
	v_cmp_neq_f64_e64 s17, s[4:5], 0
	;; [unrolled: 1-line block ×3, first 2 shown]
	s_or_b32 s22, s17, s19
	s_mul_i32 s17, ttmp9, s20
	s_xor_b32 s25, s22, -1
	s_add_co_i32 s21, s21, s17
	s_cmp_eq_u32 s16, 0
	v_cmp_neq_f64_e64 s20, s[8:9], 1.0
	s_cselect_b32 s26, ttmp9, s21
	v_cmp_neq_f64_e64 s21, s[10:11], 0
	v_lshl_or_b32 v0, s26, 6, v0
	s_load_b64 s[16:17], s[0:1], 0x58
	s_ashr_i32 s19, s18, 31
	s_lshl_b64 s[12:13], s[12:13], 4
	s_delay_alu instid0(VALU_DEP_1) | instskip(NEXT) | instid1(VALU_DEP_1)
	v_mad_u32 v2, s18, s26, v0
	v_dual_ashrrev_i32 v1, 31, v0 :: v_dual_ashrrev_i32 v3, 31, v2
	s_delay_alu instid0(VALU_DEP_1) | instskip(SKIP_2) | instid1(VALU_DEP_2)
	v_mul_u64_e32 v[4:5], s[14:15], v[0:1]
	s_load_b64 s[14:15], s[0:1], 0x38
	s_wait_kmcnt 0x0
	v_lshl_add_u64 v[2:3], v[2:3], 4, s[16:17]
	s_add_nc_u64 s[16:17], s[0:1], 0x68
	v_cmp_gt_i32_e64 s0, s18, v0
	s_lshl_b64 s[18:19], s[18:19], 4
	v_add_nc_u64_e32 v[6:7], 8, v[2:3]
	s_or_b32 s1, s22, s20
	s_or_b32 s20, s23, s21
	;; [unrolled: 1-line block ×3, first 2 shown]
	v_cndmask_b32_e64 v10, 0, 1, s20
	s_xor_b32 s27, s20, -1
	s_branch .LBB61_4
.LBB61_2:                               ;   in Loop: Header=BB61_4 Depth=1
	s_wait_xcnt 0x0
	s_or_b32 exec_lo, exec_lo, s22
.LBB61_3:                               ;   in Loop: Header=BB61_4 Depth=1
	s_add_co_i32 s2, s2, 0x10000
	s_delay_alu instid0(SALU_CYCLE_1)
	s_cmp_lt_u32 s2, s24
	s_cbranch_scc0 .LBB61_24
.LBB61_4:                               ; =>This Loop Header: Depth=1
                                        ;     Child Loop BB61_15 Depth 2
	s_and_not1_b32 vcc_lo, exec_lo, s1
	s_cbranch_vccnz .LBB61_3
; %bb.5:                                ;   in Loop: Header=BB61_4 Depth=1
	s_lshl_b64 s[20:21], s[2:3], 3
	s_and_not1_b32 vcc_lo, exec_lo, s25
	s_add_nc_u64 s[20:21], s[14:15], s[20:21]
	s_load_b64 s[20:21], s[20:21], 0x0
	s_wait_kmcnt 0x0
	s_wait_xcnt 0x0
	s_add_nc_u64 s[20:21], s[20:21], s[12:13]
	s_cbranch_vccnz .LBB61_10
; %bb.6:                                ;   in Loop: Header=BB61_4 Depth=1
	s_mov_b32 s22, 0
	s_mov_b32 s28, 0
                                        ; implicit-def: $vgpr2_vgpr3
	s_and_saveexec_b32 s23, s0
	s_cbranch_execz .LBB61_11
; %bb.7:                                ;   in Loop: Header=BB61_4 Depth=1
	v_mov_b64_e32 v[2:3], 0
	v_cmp_ne_u32_e32 vcc_lo, 1, v10
	v_mov_b64_e32 v[0:1], 0
	s_cbranch_vccnz .LBB61_9
; %bb.8:                                ;   in Loop: Header=BB61_4 Depth=1
	v_lshl_add_u64 v[0:1], v[4:5], 4, s[20:21]
	flat_load_b128 v[12:15], v[0:1]
	s_wait_loadcnt_dscnt 0x0
	s_wait_xcnt 0x0
	v_mul_f64_e32 v[0:1], s[10:11], v[14:15]
	v_mul_f64_e32 v[2:3], s[8:9], v[14:15]
	s_delay_alu instid0(VALU_DEP_2) | instskip(NEXT) | instid1(VALU_DEP_2)
	v_fma_f64 v[0:1], s[8:9], v[12:13], -v[0:1]
	v_fmac_f64_e32 v[2:3], s[10:11], v[12:13]
.LBB61_9:                               ;   in Loop: Header=BB61_4 Depth=1
	s_mov_b32 s28, exec_lo
	s_or_b32 exec_lo, exec_lo, s23
	s_delay_alu instid0(SALU_CYCLE_1)
	s_and_b32 vcc_lo, exec_lo, s22
	s_cbranch_vccnz .LBB61_12
	s_branch .LBB61_22
.LBB61_10:                              ;   in Loop: Header=BB61_4 Depth=1
	s_mov_b32 s28, 0
                                        ; implicit-def: $vgpr2_vgpr3
	s_cbranch_execnz .LBB61_12
	s_branch .LBB61_22
.LBB61_11:                              ;   in Loop: Header=BB61_4 Depth=1
	s_or_b32 exec_lo, exec_lo, s23
	s_delay_alu instid0(SALU_CYCLE_1)
	s_and_b32 vcc_lo, exec_lo, s22
	s_cbranch_vccz .LBB61_22
.LBB61_12:                              ;   in Loop: Header=BB61_4 Depth=1
                                        ; implicit-def: $vgpr2_vgpr3
	s_and_saveexec_b32 s29, s0
	s_cbranch_execz .LBB61_21
; %bb.13:                               ;   in Loop: Header=BB61_4 Depth=1
	s_load_b32 s22, s[16:17], 0x0
	v_mov_b64_e32 v[0:1], 0
	v_mov_b64_e32 v[8:9], 0
	s_wait_kmcnt 0x0
	s_cmp_ge_i32 s26, s22
	s_cbranch_scc1 .LBB61_16
; %bb.14:                               ;   in Loop: Header=BB61_4 Depth=1
	s_mov_b32 s23, s3
	v_mov_b64_e32 v[0:1], 0
	s_mul_u64 s[30:31], s[18:19], s[22:23]
	v_mov_b64_e32 v[8:9], 0
	v_mad_nc_u64_u32 v[2:3], s30, s2, v[6:7]
	s_mov_b32 s23, s26
	s_delay_alu instid0(VALU_DEP_1)
	v_mad_u32 v3, s31, s2, v3
.LBB61_15:                              ;   Parent Loop BB61_4 Depth=1
                                        ; =>  This Inner Loop Header: Depth=2
	global_load_b128 v[12:15], v[2:3], off offset:-8
	s_wait_xcnt 0x0
	v_add_nc_u64_e32 v[2:3], s[18:19], v[2:3]
	s_add_co_i32 s23, s23, 1
	s_delay_alu instid0(SALU_CYCLE_1)
	s_cmp_ge_i32 s23, s22
	s_wait_loadcnt 0x0
	v_add_f64_e32 v[8:9], v[8:9], v[12:13]
	v_add_f64_e32 v[0:1], v[0:1], v[14:15]
	s_cbranch_scc0 .LBB61_15
.LBB61_16:                              ;   in Loop: Header=BB61_4 Depth=1
	s_delay_alu instid0(VALU_DEP_1) | instskip(SKIP_3) | instid1(VALU_DEP_2)
	v_mul_f64_e32 v[12:13], s[6:7], v[0:1]
	v_mul_f64_e32 v[2:3], s[4:5], v[0:1]
	s_and_b32 vcc_lo, exec_lo, s27
	s_mov_b32 s22, -1
	v_fma_f64 v[0:1], s[4:5], v[8:9], -v[12:13]
	s_delay_alu instid0(VALU_DEP_2)
	v_fmac_f64_e32 v[2:3], s[6:7], v[8:9]
	s_cbranch_vccz .LBB61_18
; %bb.17:                               ;   in Loop: Header=BB61_4 Depth=1
	s_mov_b32 s22, 0
.LBB61_18:                              ;   in Loop: Header=BB61_4 Depth=1
	s_delay_alu instid0(SALU_CYCLE_1)
	s_and_not1_b32 vcc_lo, exec_lo, s22
	s_cbranch_vccnz .LBB61_20
; %bb.19:                               ;   in Loop: Header=BB61_4 Depth=1
	v_lshl_add_u64 v[8:9], v[4:5], 4, s[20:21]
	flat_load_b128 v[12:15], v[8:9]
	s_wait_loadcnt_dscnt 0x0
	s_wait_xcnt 0x0
	v_mul_f64_e32 v[8:9], s[10:11], v[14:15]
	v_mul_f64_e32 v[14:15], s[8:9], v[14:15]
	s_delay_alu instid0(VALU_DEP_2) | instskip(NEXT) | instid1(VALU_DEP_2)
	v_fma_f64 v[8:9], s[8:9], v[12:13], -v[8:9]
	v_fmac_f64_e32 v[14:15], s[10:11], v[12:13]
	s_delay_alu instid0(VALU_DEP_2) | instskip(NEXT) | instid1(VALU_DEP_2)
	v_add_f64_e32 v[0:1], v[0:1], v[8:9]
	v_add_f64_e32 v[2:3], v[2:3], v[14:15]
.LBB61_20:                              ;   in Loop: Header=BB61_4 Depth=1
	s_or_b32 s28, s28, exec_lo
.LBB61_21:                              ;   in Loop: Header=BB61_4 Depth=1
	s_or_b32 exec_lo, exec_lo, s29
.LBB61_22:                              ;   in Loop: Header=BB61_4 Depth=1
	s_and_saveexec_b32 s22, s28
	s_cbranch_execz .LBB61_2
; %bb.23:                               ;   in Loop: Header=BB61_4 Depth=1
	v_lshl_add_u64 v[8:9], v[4:5], 4, s[20:21]
	flat_store_b128 v[8:9], v[0:3]
	s_branch .LBB61_2
.LBB61_24:
	s_endpgm
	.section	.rodata,"a",@progbits
	.p2align	6, 0x0
	.amdhsa_kernel _ZL36rocblas_hemvn_kernel_lower_block_sumILi64El19rocblas_complex_numIdEPKPS1_S1_EviT1_lS5_lT2_lT0_lPT3_i
		.amdhsa_group_segment_fixed_size 0
		.amdhsa_private_segment_fixed_size 0
		.amdhsa_kernarg_size 360
		.amdhsa_user_sgpr_count 2
		.amdhsa_user_sgpr_dispatch_ptr 0
		.amdhsa_user_sgpr_queue_ptr 0
		.amdhsa_user_sgpr_kernarg_segment_ptr 1
		.amdhsa_user_sgpr_dispatch_id 0
		.amdhsa_user_sgpr_kernarg_preload_length 0
		.amdhsa_user_sgpr_kernarg_preload_offset 0
		.amdhsa_user_sgpr_private_segment_size 0
		.amdhsa_wavefront_size32 1
		.amdhsa_uses_dynamic_stack 0
		.amdhsa_enable_private_segment 0
		.amdhsa_system_sgpr_workgroup_id_x 1
		.amdhsa_system_sgpr_workgroup_id_y 0
		.amdhsa_system_sgpr_workgroup_id_z 1
		.amdhsa_system_sgpr_workgroup_info 0
		.amdhsa_system_vgpr_workitem_id 0
		.amdhsa_next_free_vgpr 16
		.amdhsa_next_free_sgpr 32
		.amdhsa_named_barrier_count 0
		.amdhsa_reserve_vcc 1
		.amdhsa_float_round_mode_32 0
		.amdhsa_float_round_mode_16_64 0
		.amdhsa_float_denorm_mode_32 3
		.amdhsa_float_denorm_mode_16_64 3
		.amdhsa_fp16_overflow 0
		.amdhsa_memory_ordered 1
		.amdhsa_forward_progress 1
		.amdhsa_inst_pref_size 7
		.amdhsa_round_robin_scheduling 0
		.amdhsa_exception_fp_ieee_invalid_op 0
		.amdhsa_exception_fp_denorm_src 0
		.amdhsa_exception_fp_ieee_div_zero 0
		.amdhsa_exception_fp_ieee_overflow 0
		.amdhsa_exception_fp_ieee_underflow 0
		.amdhsa_exception_fp_ieee_inexact 0
		.amdhsa_exception_int_div_zero 0
	.end_amdhsa_kernel
	.section	.text._ZL36rocblas_hemvn_kernel_lower_block_sumILi64El19rocblas_complex_numIdEPKPS1_S1_EviT1_lS5_lT2_lT0_lPT3_i,"axG",@progbits,_ZL36rocblas_hemvn_kernel_lower_block_sumILi64El19rocblas_complex_numIdEPKPS1_S1_EviT1_lS5_lT2_lT0_lPT3_i,comdat
.Lfunc_end61:
	.size	_ZL36rocblas_hemvn_kernel_lower_block_sumILi64El19rocblas_complex_numIdEPKPS1_S1_EviT1_lS5_lT2_lT0_lPT3_i, .Lfunc_end61-_ZL36rocblas_hemvn_kernel_lower_block_sumILi64El19rocblas_complex_numIdEPKPS1_S1_EviT1_lS5_lT2_lT0_lPT3_i
                                        ; -- End function
	.set _ZL36rocblas_hemvn_kernel_lower_block_sumILi64El19rocblas_complex_numIdEPKPS1_S1_EviT1_lS5_lT2_lT0_lPT3_i.num_vgpr, 16
	.set _ZL36rocblas_hemvn_kernel_lower_block_sumILi64El19rocblas_complex_numIdEPKPS1_S1_EviT1_lS5_lT2_lT0_lPT3_i.num_agpr, 0
	.set _ZL36rocblas_hemvn_kernel_lower_block_sumILi64El19rocblas_complex_numIdEPKPS1_S1_EviT1_lS5_lT2_lT0_lPT3_i.numbered_sgpr, 32
	.set _ZL36rocblas_hemvn_kernel_lower_block_sumILi64El19rocblas_complex_numIdEPKPS1_S1_EviT1_lS5_lT2_lT0_lPT3_i.num_named_barrier, 0
	.set _ZL36rocblas_hemvn_kernel_lower_block_sumILi64El19rocblas_complex_numIdEPKPS1_S1_EviT1_lS5_lT2_lT0_lPT3_i.private_seg_size, 0
	.set _ZL36rocblas_hemvn_kernel_lower_block_sumILi64El19rocblas_complex_numIdEPKPS1_S1_EviT1_lS5_lT2_lT0_lPT3_i.uses_vcc, 1
	.set _ZL36rocblas_hemvn_kernel_lower_block_sumILi64El19rocblas_complex_numIdEPKPS1_S1_EviT1_lS5_lT2_lT0_lPT3_i.uses_flat_scratch, 0
	.set _ZL36rocblas_hemvn_kernel_lower_block_sumILi64El19rocblas_complex_numIdEPKPS1_S1_EviT1_lS5_lT2_lT0_lPT3_i.has_dyn_sized_stack, 0
	.set _ZL36rocblas_hemvn_kernel_lower_block_sumILi64El19rocblas_complex_numIdEPKPS1_S1_EviT1_lS5_lT2_lT0_lPT3_i.has_recursion, 0
	.set _ZL36rocblas_hemvn_kernel_lower_block_sumILi64El19rocblas_complex_numIdEPKPS1_S1_EviT1_lS5_lT2_lT0_lPT3_i.has_indirect_call, 0
	.section	.AMDGPU.csdata,"",@progbits
; Kernel info:
; codeLenInByte = 812
; TotalNumSgprs: 34
; NumVgprs: 16
; ScratchSize: 0
; MemoryBound: 0
; FloatMode: 240
; IeeeMode: 1
; LDSByteSize: 0 bytes/workgroup (compile time only)
; SGPRBlocks: 0
; VGPRBlocks: 0
; NumSGPRsForWavesPerEU: 34
; NumVGPRsForWavesPerEU: 16
; NamedBarCnt: 0
; Occupancy: 16
; WaveLimiterHint : 1
; COMPUTE_PGM_RSRC2:SCRATCH_EN: 0
; COMPUTE_PGM_RSRC2:USER_SGPR: 2
; COMPUTE_PGM_RSRC2:TRAP_HANDLER: 0
; COMPUTE_PGM_RSRC2:TGID_X_EN: 1
; COMPUTE_PGM_RSRC2:TGID_Y_EN: 0
; COMPUTE_PGM_RSRC2:TGID_Z_EN: 1
; COMPUTE_PGM_RSRC2:TIDIG_COMP_CNT: 0
	.section	.text._ZL26rocblas_hemvn_kernel_lowerILb1ELi64ELi4ELi33ELi32ELi16Ei19rocblas_complex_numIdEPKPKS1_PS1_EviT6_lT7_lT5_lS8_lS9_lS7_lT8_i,"axG",@progbits,_ZL26rocblas_hemvn_kernel_lowerILb1ELi64ELi4ELi33ELi32ELi16Ei19rocblas_complex_numIdEPKPKS1_PS1_EviT6_lT7_lT5_lS8_lS9_lS7_lT8_i,comdat
	.globl	_ZL26rocblas_hemvn_kernel_lowerILb1ELi64ELi4ELi33ELi32ELi16Ei19rocblas_complex_numIdEPKPKS1_PS1_EviT6_lT7_lT5_lS8_lS9_lS7_lT8_i ; -- Begin function _ZL26rocblas_hemvn_kernel_lowerILb1ELi64ELi4ELi33ELi32ELi16Ei19rocblas_complex_numIdEPKPKS1_PS1_EviT6_lT7_lT5_lS8_lS9_lS7_lT8_i
	.p2align	8
	.type	_ZL26rocblas_hemvn_kernel_lowerILb1ELi64ELi4ELi33ELi32ELi16Ei19rocblas_complex_numIdEPKPKS1_PS1_EviT6_lT7_lT5_lS8_lS9_lS7_lT8_i,@function
_ZL26rocblas_hemvn_kernel_lowerILb1ELi64ELi4ELi33ELi32ELi16Ei19rocblas_complex_numIdEPKPKS1_PS1_EviT6_lT7_lT5_lS8_lS9_lS7_lT8_i: ; @_ZL26rocblas_hemvn_kernel_lowerILb1ELi64ELi4ELi33ELi32ELi16Ei19rocblas_complex_numIdEPKPKS1_PS1_EviT6_lT7_lT5_lS8_lS9_lS7_lT8_i
; %bb.0:
	s_clause 0x1
	s_load_b64 s[2:3], s[0:1], 0x94
	s_load_b32 s23, s[0:1], 0x80
	s_bfe_u32 s4, ttmp6, 0x40014
	s_lshr_b32 s5, ttmp7, 16
	s_add_co_i32 s4, s4, 1
	s_bfe_u32 s6, ttmp6, 0x40008
	s_mul_i32 s4, s5, s4
	s_getreg_b32 s8, hwreg(HW_REG_IB_STS2, 6, 4)
	s_add_co_i32 s6, s6, s4
	s_mov_b32 s35, 0
	s_wait_kmcnt 0x0
	s_lshr_b32 s4, s2, 16
	s_and_b32 s2, s2, 0xffff
	s_and_b32 s3, s3, 0xffff
	s_mul_i32 s2, s4, s2
	s_cmp_eq_u32 s8, 0
	s_mul_i32 s2, s2, s3
	s_cselect_b32 s34, s5, s6
	s_cmp_lg_u32 s2, 0x100
	s_cselect_b32 s2, -1, 0
	s_cmp_ge_u32 s34, s23
	s_cselect_b32 s3, -1, 0
	s_delay_alu instid0(SALU_CYCLE_1) | instskip(NEXT) | instid1(SALU_CYCLE_1)
	s_or_b32 s2, s2, s3
	s_and_b32 vcc_lo, exec_lo, s2
	s_cbranch_vccnz .LBB62_137
; %bb.1:
	s_clause 0x7
	s_load_b128 s[4:7], s[0:1], 0x8
	s_load_b128 s[12:15], s[0:1], 0x60
	s_load_b32 s10, s[0:1], 0x0
	s_load_b64 s[2:3], s[0:1], 0x78
	s_load_b128 s[24:27], s[0:1], 0x20
	s_load_b32 s64, s[0:1], 0x30
	s_load_b128 s[28:31], s[0:1], 0x40
	s_load_b32 s22, s[0:1], 0x50
	s_add_nc_u64 s[16:17], s[0:1], 0x88
	v_bfe_u32 v1, v0, 10, 10
	v_and_b32_e32 v148, 0x3ff, v0
	s_wait_xcnt 0x0
	s_bfe_u32 s0, ttmp6, 0x4000c
	v_and_b32_e32 v150, 31, v0
	s_add_co_i32 s0, s0, 1
	v_lshlrev_b32_e32 v2, 6, v1
	s_and_b32 s1, ttmp6, 15
	s_mul_i32 s11, ttmp9, s0
	v_lshlrev_b32_e32 v170, 4, v148
	s_add_co_i32 s1, s1, s11
	v_dual_add_nc_u32 v3, v2, v148 :: v_dual_lshlrev_b32 v4, 4, v150
	v_mul_u32_u24_e32 v14, 33, v150
	v_add_nc_u32_e32 v185, 0x4300, v2
	s_wait_kmcnt 0x0
	v_cmp_eq_f64_e64 s9, s[4:5], 0
	v_cmp_eq_f64_e64 s6, s[6:7], 0
	v_cmp_neq_f64_e64 s7, s[12:13], 1.0
	v_cmp_neq_f64_e64 s12, s[14:15], 0
	s_load_b32 s4, s[16:17], 0x0
	s_ashr_i32 s11, s10, 31
	s_ashr_i32 s65, s64, 31
	v_lshrrev_b32_e32 v5, 5, v3
	s_cmp_eq_u32 s8, 0
	s_mov_b32 s5, s35
	s_cselect_b32 s33, ttmp9, s1
	s_lshr_b32 s1, s11, 26
	v_mad_u32 v152, s64, v5, v150
	s_add_co_i32 s1, s10, s1
	s_lshl_b32 s70, s33, 6
	s_and_not1_b32 s1, s1, 63
	v_dual_mov_b32 v151, 0 :: v_dual_add_nc_u32 v154, s70, v148
	s_sub_co_i32 s1, s10, s1
	v_dual_add_nc_u32 v8, 24, v5 :: v_dual_lshlrev_b32 v9, 2, v5
	v_lshl_or_b32 v10, v150, 9, v4
	v_lshlrev_b32_e32 v11, 6, v5
	v_mul_lo_u32 v156, s22, v154
	s_wait_kmcnt 0x0
	s_mul_u64 s[36:37], s[4:5], s[10:11]
	s_add_co_i32 s5, s4, -1
	s_mul_i32 s4, s10, s33
	v_dual_ashrrev_i32 v153, 31, v152 :: v_dual_add_nc_u32 v6, 8, v5
	v_dual_add_nc_u32 v177, v10, v11 :: v_dual_bitop2_b32 v12, 1, v9 bitop3:0x54
	v_dual_lshlrev_b32 v180, 4, v14 :: v_dual_bitop2_b32 v10, 2, v9 bitop3:0x54
	s_and_b32 s76, s9, s6
	s_delay_alu instid0(VALU_DEP_4)
	v_dual_ashrrev_i32 v157, 31, v156 :: v_dual_add_nc_u32 v7, 16, v5
	s_or_b32 s77, s7, s12
	s_cmp_eq_u32 s33, s5
	v_cmp_ge_u32_e64 s11, v10, v150
	s_cselect_b32 s40, s1, 0
	v_cmp_eq_u32_e64 s12, v10, v150
	s_cmp_eq_u32 s40, 0
	v_lshlrev_b32_e32 v10, 4, v5
	s_cselect_b32 s78, -1, 0
	s_cmp_lg_u32 s40, 0
	v_cmp_ge_u32_e64 s7, v9, v150
	s_cselect_b32 s1, -1, 0
	s_ashr_i32 s5, s4, 31
	s_sub_co_i32 s20, s40, 32
	s_lshl_b64 s[4:5], s[4:5], 4
	v_cmp_le_i32_e64 s18, s20, v6
	s_add_nc_u64 s[44:45], s[2:3], s[4:5]
	v_cmp_le_i32_e64 s4, s40, v6
	v_mul_lo_u32 v6, v1, s64
	v_cmp_eq_u32_e64 s8, v9, v150
	v_dual_add_nc_u32 v183, v180, v10 :: v_dual_bitop2_b32 v9, 3, v9 bitop3:0x54
	v_mad_u32_u24 v172, 0x210, v5, v4
	v_cmp_le_i32_e64 s3, s40, v5
	v_cmp_le_i32_e64 s5, s40, v7
	v_mul_u32_u24_e32 v13, 0x840, v5
	v_cmp_le_i32_e64 s17, s20, v5
	v_cmp_le_i32_e64 s19, s20, v7
	v_cmp_eq_u32_e64 s21, 1, v5
	v_mul_i32_i24_e32 v7, 0xffffffd0, v5
	v_mad_u32_u24 v184, v5, 48, v183
	v_lshrrev_b32_e32 v5, 4, v3
	v_lshl_add_u32 v160, v6, 2, v148
	v_cmp_le_i32_e32 vcc_lo, s40, v148
	v_cmp_le_i32_e64 s6, s40, v8
	v_cmp_le_i32_e64 s20, s20, v8
	v_and_b32_e32 v6, 15, v0
	v_dual_ashrrev_i32 v161, 31, v160 :: v_dual_lshlrev_b32 v8, 6, v5
	v_dual_ashrrev_i32 v155, 31, v154 :: v_dual_bitop2_b32 v0, 48, v0 bitop3:0x40
	v_dual_mov_b32 v149, v151 :: v_dual_add_nc_u32 v174, 0x2100, v172
	s_mul_i32 s38, s64, s70
	s_lshl_b32 s42, s64, 3
	s_and_b32 s1, s1, vcc_lo
	s_lshl_b32 s46, s64, 4
	s_mul_i32 s48, s64, 24
	v_cmp_ge_u32_e64 s9, v12, v150
	v_cmp_eq_u32_e64 s10, v12, v150
	v_mul_u32_u24_e32 v12, 0x210, v12
	v_cmp_ge_u32_e64 s13, v9, v150
	v_cmp_eq_u32_e64 s14, v9, v150
	v_dual_add_nc_u32 v181, 48, v177 :: v_dual_bitop2_b32 v9, 32, v150 bitop3:0x54
	v_add_nc_u32_e32 v182, 0x4700, v11
	s_lshl_b32 s50, s64, 5
	s_mul_i32 s54, s22, s70
	v_dual_lshlrev_b32 v0, 4, v0 :: v_dual_add_nc_u32 v192, v4, v13
	v_or_b32_e32 v2, 0xf0, v170
	v_mad_u32_u24 v187, 0x430, v6, v8
	v_mul_i32_i24_e32 v5, 0xffffffd0, v5
	s_ashr_i32 s71, s70, 31
	s_ashr_i32 s39, s38, 31
	s_ashr_i32 s43, s42, 31
	s_ashr_i32 s47, s46, 31
	s_ashr_i32 s49, s48, 31
	s_ashr_i32 s41, s40, 31
	s_ashr_i32 s51, s50, 31
	s_xor_b32 s58, s1, -1
	s_ashr_i32 s55, s54, 31
	v_cmp_eq_u32_e64 s0, 0, v1
	v_sub_nc_u64_e32 v[158:159], 0, v[150:151]
	s_cmp_gt_i32 s33, 0
	v_sub_nc_u64_e32 v[162:163], 0, v[152:153]
	v_sub_nc_u64_e32 v[164:165], 0, v[148:149]
	v_add_nc_u32_e32 v171, 0x4700, v170
	v_add_nc_u32_e32 v173, 0x1080, v172
	;; [unrolled: 1-line block ×3, first 2 shown]
	v_cmp_gt_i32_e64 s2, s40, v150
	v_mad_u32_u24 v176, 0x210, v150, v4
	v_dual_add_nc_u32 v178, 16, v177 :: v_dual_add_nc_u32 v179, 32, v177
	v_cmp_gt_u32_e64 s15, 32, v3
	v_cmp_gt_i32_e64 s16, s40, v9
	s_cselect_b32 s79, -1, 0
	s_lshl_b32 s80, s22, 6
	v_add_nc_u32_e32 v149, 0x4300, v170
	v_mad_u32_u24 v186, 0x10c0, v1, v170
	v_cmp_gt_u32_e64 s22, 64, v3
	v_mad_u32_u24 v188, 0x430, v6, v0
	v_mad_u32_u24 v189, 0x430, v6, v2
	;; [unrolled: 1-line block ×3, first 2 shown]
	v_add_nc_u32_e32 v191, 0x4700, v10
	v_dual_add_nc_u32 v193, v4, v12 :: v_dual_add_nc_u32 v194, v182, v7
	v_dual_add_nc_u32 v195, v187, v5 :: v_dual_lshlrev_b32 v150, 4, v150
	s_sub_nc_u64 s[52:53], 0, s[50:51]
	s_sub_nc_u64 s[54:55], 0, s[54:55]
	;; [unrolled: 1-line block ×3, first 2 shown]
	s_and_b32 s81, s0, s58
	s_lshl_b64 s[58:59], s[64:65], 7
	s_sub_nc_u64 s[60:61], 0, s[40:41]
	s_lshl_b64 s[62:63], s[64:65], 4
	s_mul_u64 s[64:65], s[64:65], 0xd0
	s_mov_b64 s[66:67], 0xfffffffffffffdf0
	s_mov_b64 s[68:69], 0xfffffffffffffe00
	s_lshl_b64 s[30:31], s[30:31], 4
	s_lshl_b64 s[26:27], s[26:27], 4
	;; [unrolled: 1-line block ×3, first 2 shown]
	s_branch .LBB62_4
.LBB62_2:                               ;   in Loop: Header=BB62_4 Depth=1
	s_wait_xcnt 0x0
	s_or_b32 exec_lo, exec_lo, s74
.LBB62_3:                               ;   in Loop: Header=BB62_4 Depth=1
	s_add_co_i32 s34, s34, 0x10000
	s_delay_alu instid0(SALU_CYCLE_1)
	s_cmp_lt_u32 s34, s23
	s_cbranch_scc0 .LBB62_137
.LBB62_4:                               ; =>This Loop Header: Depth=1
                                        ;     Child Loop BB62_113 Depth 2
	s_and_not1_b32 vcc_lo, exec_lo, s76
	s_mov_b32 s72, -1
	s_cbranch_vccz .LBB62_6
; %bb.5:                                ;   in Loop: Header=BB62_4 Depth=1
	s_and_not1_b32 vcc_lo, exec_lo, s72
	s_cbranch_vccnz .LBB62_3
	s_branch .LBB62_7
.LBB62_6:                               ;   in Loop: Header=BB62_4 Depth=1
	s_and_b32 vcc_lo, exec_lo, s77
	s_cbranch_execnz .LBB62_3
.LBB62_7:                               ;   in Loop: Header=BB62_4 Depth=1
	v_mov_b32_e32 v0, s34
	s_clause 0x1
	global_load_b64 v[2:3], v0, s[28:29] scale_offset
	global_load_b64 v[0:1], v0, s[24:25] scale_offset
	s_wait_loadcnt 0x1
	v_add_nc_u64_e32 v[2:3], s[30:31], v[2:3]
	s_delay_alu instid0(VALU_DEP_1)
	v_lshl_add_u64 v[36:37], v[156:157], 4, v[2:3]
	s_wait_xcnt 0x0
	s_and_saveexec_b32 s72, s0
	s_cbranch_execz .LBB62_12
; %bb.8:                                ;   in Loop: Header=BB62_4 Depth=1
	s_and_saveexec_b32 s73, s1
	s_delay_alu instid0(SALU_CYCLE_1)
	s_xor_b32 s73, exec_lo, s73
; %bb.9:                                ;   in Loop: Header=BB62_4 Depth=1
	v_dual_mov_b32 v2, v151 :: v_dual_mov_b32 v3, v151
	v_dual_mov_b32 v4, v151 :: v_dual_mov_b32 v5, v151
	ds_store_b128 v171, v[2:5]
; %bb.10:                               ;   in Loop: Header=BB62_4 Depth=1
	s_and_not1_saveexec_b32 s73, s73
	s_cbranch_execz .LBB62_12
; %bb.11:                               ;   in Loop: Header=BB62_4 Depth=1
	flat_load_b128 v[2:5], v[36:37]
	s_wait_loadcnt_dscnt 0x0
	ds_store_2addr_b64 v171, v[2:3], v[4:5] offset1:1
.LBB62_12:                              ;   in Loop: Header=BB62_4 Depth=1
	s_wait_xcnt 0x0
	s_or_b32 exec_lo, exec_lo, s72
	s_wait_loadcnt 0x0
	v_add_nc_u64_e32 v[0:1], s[26:27], v[0:1]
	s_and_not1_b32 vcc_lo, exec_lo, s78
	s_mov_b32 s72, -1
	s_delay_alu instid0(VALU_DEP_1) | instskip(NEXT) | instid1(VALU_DEP_1)
	v_add_nc_u64_e32 v[0:1], s[70:71], v[0:1]
	v_lshl_add_u64 v[0:1], v[152:153], 4, v[0:1]
	s_delay_alu instid0(VALU_DEP_1)
	v_lshl_add_u64 v[4:5], s[38:39], 4, v[0:1]
	s_cbranch_vccnz .LBB62_14
; %bb.13:                               ;   in Loop: Header=BB62_4 Depth=1
	flat_load_b128 v[0:3], v[4:5]
	v_lshl_add_u64 v[6:7], s[42:43], 4, v[4:5]
	s_mov_b32 s72, 0
	s_wait_loadcnt_dscnt 0x0
	ds_store_2addr_b64 v172, v[0:1], v[2:3] offset1:1
	flat_load_b128 v[0:3], v[6:7]
	s_wait_xcnt 0x0
	v_add_nc_u64_e32 v[6:7], s[58:59], v[6:7]
	s_wait_loadcnt_dscnt 0x0
	ds_store_2addr_b64 v173, v[0:1], v[2:3] offset1:1
	flat_load_b128 v[0:3], v[6:7]
	s_wait_xcnt 0x0
	v_add_nc_u64_e32 v[6:7], s[58:59], v[6:7]
	s_wait_loadcnt_dscnt 0x0
	ds_store_2addr_b64 v174, v[0:1], v[2:3] offset1:1
	flat_load_b128 v[0:3], v[6:7]
	s_wait_loadcnt_dscnt 0x0
	ds_store_2addr_b64 v175, v[0:1], v[2:3] offset1:1
.LBB62_14:                              ;   in Loop: Header=BB62_4 Depth=1
	s_and_not1_b32 vcc_lo, exec_lo, s72
	s_cbranch_vccnz .LBB62_26
; %bb.15:                               ;   in Loop: Header=BB62_4 Depth=1
	s_wait_xcnt 0x0
	s_and_saveexec_b32 s72, s3
	s_delay_alu instid0(SALU_CYCLE_1)
	s_xor_b32 s72, exec_lo, s72
; %bb.16:                               ;   in Loop: Header=BB62_4 Depth=1
	v_dual_mov_b32 v0, v151 :: v_dual_mov_b32 v1, v151
	v_dual_mov_b32 v2, v151 :: v_dual_mov_b32 v3, v151
	ds_store_b128 v172, v[0:3]
; %bb.17:                               ;   in Loop: Header=BB62_4 Depth=1
	s_or_saveexec_b32 s72, s72
	v_lshl_add_u64 v[0:1], v[158:159], 4, v[4:5]
	s_delay_alu instid0(VALU_DEP_1) | instskip(NEXT) | instid1(VALU_DEP_1)
	v_lshl_add_u64 v[0:1], s[40:41], 4, v[0:1]
	v_add_nc_u64_e32 v[0:1], -16, v[0:1]
	s_delay_alu instid0(VALU_DEP_1)
	v_dual_cndmask_b32 v1, v1, v5, s2 :: v_dual_cndmask_b32 v0, v0, v4, s2
	s_xor_b32 exec_lo, exec_lo, s72
	s_cbranch_execnz .LBB62_119
; %bb.18:                               ;   in Loop: Header=BB62_4 Depth=1
	s_or_b32 exec_lo, exec_lo, s72
	s_and_saveexec_b32 s72, s4
	s_delay_alu instid0(SALU_CYCLE_1)
	s_xor_b32 s72, exec_lo, s72
	s_cbranch_execnz .LBB62_120
.LBB62_19:                              ;   in Loop: Header=BB62_4 Depth=1
	s_and_not1_saveexec_b32 s72, s72
	s_cbranch_execnz .LBB62_121
.LBB62_20:                              ;   in Loop: Header=BB62_4 Depth=1
	s_or_b32 exec_lo, exec_lo, s72
	s_and_saveexec_b32 s72, s5
	s_delay_alu instid0(SALU_CYCLE_1)
	s_xor_b32 s72, exec_lo, s72
	s_cbranch_execnz .LBB62_122
.LBB62_21:                              ;   in Loop: Header=BB62_4 Depth=1
	s_and_not1_saveexec_b32 s72, s72
	s_cbranch_execnz .LBB62_123
.LBB62_22:                              ;   in Loop: Header=BB62_4 Depth=1
	s_or_b32 exec_lo, exec_lo, s72
	s_and_saveexec_b32 s72, s6
	s_delay_alu instid0(SALU_CYCLE_1)
	s_xor_b32 s72, exec_lo, s72
	s_cbranch_execnz .LBB62_124
.LBB62_23:                              ;   in Loop: Header=BB62_4 Depth=1
	s_and_not1_saveexec_b32 s72, s72
	s_cbranch_execz .LBB62_25
.LBB62_24:                              ;   in Loop: Header=BB62_4 Depth=1
	v_lshl_add_u64 v[2:3], s[48:49], 4, v[0:1]
	flat_load_b128 v[6:9], v[2:3]
	s_wait_loadcnt_dscnt 0x0
	ds_store_2addr_b64 v175, v[6:7], v[8:9] offset1:1
.LBB62_25:                              ;   in Loop: Header=BB62_4 Depth=1
	s_wait_xcnt 0x0
	s_or_b32 exec_lo, exec_lo, s72
	v_add_nc_u64_e32 v[0:1], v[0:1], v[150:151]
	s_delay_alu instid0(VALU_DEP_1) | instskip(NEXT) | instid1(VALU_DEP_1)
	v_lshl_add_u64 v[0:1], s[60:61], 4, v[0:1]
	v_add_nc_u64_e32 v[0:1], 16, v[0:1]
	s_delay_alu instid0(VALU_DEP_1)
	v_dual_cndmask_b32 v5, v1, v5, s2 :: v_dual_cndmask_b32 v4, v0, v4, s2
.LBB62_26:                              ;   in Loop: Header=BB62_4 Depth=1
	s_mov_b32 s72, 0
	s_wait_dscnt 0x0
	s_barrier_signal -1
	s_barrier_wait -1
	s_wait_xcnt 0x0
	s_and_saveexec_b32 s73, s7
	s_delay_alu instid0(SALU_CYCLE_1)
	s_xor_b32 s73, exec_lo, s73
; %bb.27:                               ;   in Loop: Header=BB62_4 Depth=1
	s_and_b32 s72, s8, exec_lo
; %bb.28:                               ;   in Loop: Header=BB62_4 Depth=1
	s_or_saveexec_b32 s73, s73
	v_mov_b64_e32 v[2:3], 0
	v_mov_b32_e32 v6, v176
	s_xor_b32 exec_lo, exec_lo, s73
	s_cbranch_execz .LBB62_30
; %bb.29:                               ;   in Loop: Header=BB62_4 Depth=1
	ds_load_b128 v[0:3], v192
	v_mov_b32_e32 v6, v177
	s_or_b32 s72, s72, exec_lo
	s_wait_dscnt 0x0
	v_xor_b32_e32 v3, 0x80000000, v3
	ds_store_b64 v177, v[0:1]
.LBB62_30:                              ;   in Loop: Header=BB62_4 Depth=1
	s_or_b32 exec_lo, exec_lo, s73
	s_and_saveexec_b32 s73, s72
; %bb.31:                               ;   in Loop: Header=BB62_4 Depth=1
	ds_store_b64 v6, v[2:3] offset:8
; %bb.32:                               ;   in Loop: Header=BB62_4 Depth=1
	s_or_b32 exec_lo, exec_lo, s73
	s_mov_b32 s72, 0
	s_and_saveexec_b32 s73, s9
	s_delay_alu instid0(SALU_CYCLE_1)
	s_xor_b32 s73, exec_lo, s73
; %bb.33:                               ;   in Loop: Header=BB62_4 Depth=1
	s_and_b32 s72, s10, exec_lo
; %bb.34:                               ;   in Loop: Header=BB62_4 Depth=1
	s_or_saveexec_b32 s73, s73
	v_mov_b64_e32 v[2:3], 0
	v_mov_b32_e32 v6, v176
	s_xor_b32 exec_lo, exec_lo, s73
	s_cbranch_execz .LBB62_36
; %bb.35:                               ;   in Loop: Header=BB62_4 Depth=1
	ds_load_b128 v[0:3], v193
	v_mov_b32_e32 v6, v178
	s_or_b32 s72, s72, exec_lo
	s_wait_dscnt 0x0
	v_xor_b32_e32 v3, 0x80000000, v3
	ds_store_b64 v178, v[0:1]
.LBB62_36:                              ;   in Loop: Header=BB62_4 Depth=1
	s_or_b32 exec_lo, exec_lo, s73
	s_and_saveexec_b32 s73, s72
; %bb.37:                               ;   in Loop: Header=BB62_4 Depth=1
	ds_store_b64 v6, v[2:3] offset:8
; %bb.38:                               ;   in Loop: Header=BB62_4 Depth=1
	s_or_b32 exec_lo, exec_lo, s73
	s_mov_b32 s72, 0
	s_and_saveexec_b32 s73, s11
	s_delay_alu instid0(SALU_CYCLE_1)
	s_xor_b32 s73, exec_lo, s73
; %bb.39:                               ;   in Loop: Header=BB62_4 Depth=1
	s_and_b32 s72, s12, exec_lo
; %bb.40:                               ;   in Loop: Header=BB62_4 Depth=1
	s_or_saveexec_b32 s73, s73
	v_mov_b64_e32 v[2:3], 0
	v_mov_b32_e32 v6, v176
	s_xor_b32 exec_lo, exec_lo, s73
	s_cbranch_execz .LBB62_42
; %bb.41:                               ;   in Loop: Header=BB62_4 Depth=1
	ds_load_b128 v[0:3], v193 offset:528
	v_mov_b32_e32 v6, v179
	s_or_b32 s72, s72, exec_lo
	s_wait_dscnt 0x0
	v_xor_b32_e32 v3, 0x80000000, v3
	ds_store_b64 v179, v[0:1]
.LBB62_42:                              ;   in Loop: Header=BB62_4 Depth=1
	s_or_b32 exec_lo, exec_lo, s73
	s_and_saveexec_b32 s73, s72
; %bb.43:                               ;   in Loop: Header=BB62_4 Depth=1
	ds_store_b64 v6, v[2:3] offset:8
; %bb.44:                               ;   in Loop: Header=BB62_4 Depth=1
	s_or_b32 exec_lo, exec_lo, s73
	s_mov_b32 s72, 0
	s_and_saveexec_b32 s73, s13
	s_delay_alu instid0(SALU_CYCLE_1)
	s_xor_b32 s73, exec_lo, s73
; %bb.45:                               ;   in Loop: Header=BB62_4 Depth=1
	s_and_b32 s72, s14, exec_lo
; %bb.46:                               ;   in Loop: Header=BB62_4 Depth=1
	s_or_saveexec_b32 s73, s73
	v_mov_b64_e32 v[2:3], 0
	v_mov_b32_e32 v6, v176
	s_xor_b32 exec_lo, exec_lo, s73
	s_cbranch_execz .LBB62_48
; %bb.47:                               ;   in Loop: Header=BB62_4 Depth=1
	ds_load_b128 v[0:3], v193 offset:1056
	v_mov_b32_e32 v6, v181
	s_or_b32 s72, s72, exec_lo
	s_wait_dscnt 0x0
	v_xor_b32_e32 v3, 0x80000000, v3
	ds_store_b64 v181, v[0:1]
.LBB62_48:                              ;   in Loop: Header=BB62_4 Depth=1
	s_or_b32 exec_lo, exec_lo, s73
	s_and_saveexec_b32 s73, s72
; %bb.49:                               ;   in Loop: Header=BB62_4 Depth=1
	ds_store_b64 v6, v[2:3] offset:8
; %bb.50:                               ;   in Loop: Header=BB62_4 Depth=1
	s_or_b32 exec_lo, exec_lo, s73
	s_wait_dscnt 0x0
	s_barrier_signal -1
	s_barrier_wait -1
	ds_load_b128 v[0:3], v192
	ds_load_b128 v[6:9], v182
	ds_load_b128 v[10:13], v182 offset:16
	ds_load_b128 v[14:17], v193
	s_wait_dscnt 0x2
	v_mul_f64_e32 v[18:19], v[8:9], v[2:3]
	v_mul_f64_e32 v[24:25], v[6:7], v[2:3]
	s_wait_dscnt 0x0
	v_mul_f64_e32 v[26:27], v[12:13], v[16:17]
	v_mul_f64_e32 v[28:29], v[10:11], v[16:17]
	s_delay_alu instid0(VALU_DEP_4) | instskip(NEXT) | instid1(VALU_DEP_4)
	v_fma_f64 v[30:31], v[6:7], v[0:1], -v[18:19]
	v_fmac_f64_e32 v[24:25], v[8:9], v[0:1]
	ds_load_b128 v[0:3], v193 offset:528
	ds_load_b128 v[6:9], v182 offset:32
	;; [unrolled: 1-line block ×4, first 2 shown]
	v_fma_f64 v[10:11], v[10:11], v[14:15], -v[26:27]
	v_fmac_f64_e32 v[28:29], v[12:13], v[14:15]
	s_wait_dscnt 0x0
	s_barrier_signal -1
	s_barrier_wait -1
	v_mul_f64_e32 v[32:33], v[8:9], v[2:3]
	v_mul_f64_e32 v[2:3], v[6:7], v[2:3]
	v_add_f64_e32 v[12:13], 0, v[30:31]
	v_add_f64_e32 v[14:15], 0, v[24:25]
	v_mul_f64_e32 v[24:25], v[18:19], v[22:23]
	v_mul_f64_e32 v[22:23], v[16:17], v[22:23]
	v_fma_f64 v[6:7], v[6:7], v[0:1], -v[32:33]
	v_fmac_f64_e32 v[2:3], v[8:9], v[0:1]
	v_add_f64_e32 v[0:1], v[12:13], v[10:11]
	v_add_f64_e32 v[8:9], v[14:15], v[28:29]
	v_fma_f64 v[10:11], v[16:17], v[20:21], -v[24:25]
	v_fmac_f64_e32 v[22:23], v[18:19], v[20:21]
	s_delay_alu instid0(VALU_DEP_4) | instskip(NEXT) | instid1(VALU_DEP_4)
	v_add_f64_e32 v[0:1], v[0:1], v[6:7]
	v_add_f64_e32 v[2:3], v[8:9], v[2:3]
	s_delay_alu instid0(VALU_DEP_2) | instskip(NEXT) | instid1(VALU_DEP_2)
	v_add_f64_e32 v[6:7], v[0:1], v[10:11]
	v_add_f64_e32 v[8:9], v[2:3], v[22:23]
	v_mov_b64_e32 v[0:1], 0
	v_mov_b64_e32 v[2:3], 0
	ds_store_b128 v183, v[6:9]
	s_wait_dscnt 0x0
	s_barrier_signal -1
	s_barrier_wait -1
	s_and_saveexec_b32 s72, s15
	s_cbranch_execz .LBB62_52
; %bb.51:                               ;   in Loop: Header=BB62_4 Depth=1
	ds_load_b128 v[0:3], v180
	ds_load_b128 v[6:9], v180 offset:16
	s_wait_dscnt 0x0
	v_add_f64_e32 v[10:11], v[6:7], v[0:1]
	v_add_f64_e32 v[12:13], v[8:9], v[2:3]
	ds_load_b128 v[0:3], v180 offset:32
	ds_load_b128 v[6:9], v180 offset:48
	s_wait_dscnt 0x1
	v_add_f64_e32 v[0:1], v[10:11], v[0:1]
	v_add_f64_e32 v[2:3], v[12:13], v[2:3]
	s_wait_dscnt 0x0
	s_delay_alu instid0(VALU_DEP_2) | instskip(NEXT) | instid1(VALU_DEP_2)
	v_add_f64_e32 v[10:11], v[0:1], v[6:7]
	v_add_f64_e32 v[12:13], v[2:3], v[8:9]
	ds_load_b128 v[0:3], v180 offset:64
	ds_load_b128 v[6:9], v180 offset:80
	s_wait_dscnt 0x1
	v_add_f64_e32 v[0:1], v[10:11], v[0:1]
	v_add_f64_e32 v[2:3], v[12:13], v[2:3]
	s_wait_dscnt 0x0
	s_delay_alu instid0(VALU_DEP_2) | instskip(NEXT) | instid1(VALU_DEP_2)
	;; [unrolled: 9-line block ×3, first 2 shown]
	v_add_f64_e32 v[0:1], v[0:1], v[6:7]
	v_add_f64_e32 v[2:3], v[2:3], v[8:9]
.LBB62_52:                              ;   in Loop: Header=BB62_4 Depth=1
	s_or_b32 exec_lo, exec_lo, s72
	v_lshl_add_u64 v[4:5], s[50:51], 4, v[4:5]
	s_and_not1_b32 vcc_lo, exec_lo, s78
	s_mov_b32 s72, -1
	s_barrier_signal -1
	s_delay_alu instid0(VALU_DEP_1)
	v_add_nc_u64_e32 v[8:9], 0x200, v[4:5]
	s_barrier_wait -1
	s_cbranch_vccnz .LBB62_54
; %bb.53:                               ;   in Loop: Header=BB62_4 Depth=1
	flat_load_b128 v[10:13], v[8:9]
	v_lshl_add_u64 v[6:7], s[42:43], 4, v[4:5]
	s_mov_b32 s72, 0
	s_wait_loadcnt_dscnt 0x0
	ds_store_2addr_b64 v172, v[10:11], v[12:13] offset1:1
	flat_load_b128 v[10:13], v[6:7] offset:512
	s_wait_xcnt 0x0
	v_add_nc_u64_e32 v[6:7], s[58:59], v[6:7]
	s_wait_loadcnt_dscnt 0x0
	ds_store_2addr_b64 v173, v[10:11], v[12:13] offset1:1
	flat_load_b128 v[10:13], v[6:7] offset:512
	s_wait_xcnt 0x0
	v_add_nc_u64_e32 v[6:7], s[58:59], v[6:7]
	s_wait_loadcnt_dscnt 0x0
	ds_store_2addr_b64 v174, v[10:11], v[12:13] offset1:1
	flat_load_b128 v[10:13], v[6:7] offset:512
	s_wait_loadcnt_dscnt 0x0
	ds_store_2addr_b64 v175, v[10:11], v[12:13] offset1:1
.LBB62_54:                              ;   in Loop: Header=BB62_4 Depth=1
	s_and_not1_b32 vcc_lo, exec_lo, s72
	s_cbranch_vccnz .LBB62_66
; %bb.55:                               ;   in Loop: Header=BB62_4 Depth=1
	s_wait_xcnt 0x0
	s_and_saveexec_b32 s72, s17
	s_delay_alu instid0(SALU_CYCLE_1)
	s_xor_b32 s72, exec_lo, s72
; %bb.56:                               ;   in Loop: Header=BB62_4 Depth=1
	v_dual_mov_b32 v10, v151 :: v_dual_mov_b32 v11, v151
	v_dual_mov_b32 v12, v151 :: v_dual_mov_b32 v13, v151
	ds_store_b128 v172, v[10:13]
; %bb.57:                               ;   in Loop: Header=BB62_4 Depth=1
	s_or_saveexec_b32 s72, s72
	v_lshl_add_u64 v[4:5], v[158:159], 4, v[4:5]
	s_delay_alu instid0(VALU_DEP_1) | instskip(NEXT) | instid1(VALU_DEP_1)
	v_lshl_add_u64 v[4:5], s[40:41], 4, v[4:5]
	v_add_nc_u64_e32 v[4:5], -16, v[4:5]
	s_delay_alu instid0(VALU_DEP_1)
	v_dual_cndmask_b32 v5, v5, v9, s16 :: v_dual_cndmask_b32 v4, v4, v8, s16
	s_xor_b32 exec_lo, exec_lo, s72
	s_cbranch_execnz .LBB62_125
; %bb.58:                               ;   in Loop: Header=BB62_4 Depth=1
	s_or_b32 exec_lo, exec_lo, s72
	s_and_saveexec_b32 s72, s18
	s_delay_alu instid0(SALU_CYCLE_1)
	s_xor_b32 s72, exec_lo, s72
	s_cbranch_execnz .LBB62_126
.LBB62_59:                              ;   in Loop: Header=BB62_4 Depth=1
	s_and_not1_saveexec_b32 s72, s72
	s_cbranch_execnz .LBB62_127
.LBB62_60:                              ;   in Loop: Header=BB62_4 Depth=1
	s_or_b32 exec_lo, exec_lo, s72
	s_and_saveexec_b32 s72, s19
	s_delay_alu instid0(SALU_CYCLE_1)
	s_xor_b32 s72, exec_lo, s72
	s_cbranch_execnz .LBB62_128
.LBB62_61:                              ;   in Loop: Header=BB62_4 Depth=1
	s_and_not1_saveexec_b32 s72, s72
	s_cbranch_execnz .LBB62_129
.LBB62_62:                              ;   in Loop: Header=BB62_4 Depth=1
	s_or_b32 exec_lo, exec_lo, s72
	s_and_saveexec_b32 s72, s20
	s_delay_alu instid0(SALU_CYCLE_1)
	s_xor_b32 s72, exec_lo, s72
	s_cbranch_execnz .LBB62_130
.LBB62_63:                              ;   in Loop: Header=BB62_4 Depth=1
	s_and_not1_saveexec_b32 s72, s72
	s_cbranch_execz .LBB62_65
.LBB62_64:                              ;   in Loop: Header=BB62_4 Depth=1
	v_lshl_add_u64 v[6:7], s[48:49], 4, v[4:5]
	flat_load_b128 v[10:13], v[6:7]
	s_wait_loadcnt_dscnt 0x0
	ds_store_2addr_b64 v175, v[10:11], v[12:13] offset1:1
.LBB62_65:                              ;   in Loop: Header=BB62_4 Depth=1
	s_wait_xcnt 0x0
	s_or_b32 exec_lo, exec_lo, s72
	v_add_nc_u64_e32 v[4:5], v[4:5], v[150:151]
	s_delay_alu instid0(VALU_DEP_1) | instskip(NEXT) | instid1(VALU_DEP_1)
	v_lshl_add_u64 v[4:5], s[60:61], 4, v[4:5]
	v_add_nc_u64_e32 v[4:5], 0x210, v[4:5]
	s_delay_alu instid0(VALU_DEP_1)
	v_dual_cndmask_b32 v9, v5, v9, s16 :: v_dual_cndmask_b32 v8, v4, v8, s16
.LBB62_66:                              ;   in Loop: Header=BB62_4 Depth=1
	s_mov_b32 s72, 0
	s_wait_dscnt 0x0
	s_barrier_signal -1
	s_barrier_wait -1
	s_wait_xcnt 0x0
	s_and_saveexec_b32 s73, s7
	s_delay_alu instid0(SALU_CYCLE_1)
	s_xor_b32 s73, exec_lo, s73
; %bb.67:                               ;   in Loop: Header=BB62_4 Depth=1
	s_and_b32 s72, s8, exec_lo
; %bb.68:                               ;   in Loop: Header=BB62_4 Depth=1
	s_or_saveexec_b32 s73, s73
	v_mov_b64_e32 v[6:7], 0
	v_mov_b32_e32 v10, v176
	s_xor_b32 exec_lo, exec_lo, s73
	s_cbranch_execz .LBB62_70
; %bb.69:                               ;   in Loop: Header=BB62_4 Depth=1
	ds_load_b128 v[4:7], v192
	v_mov_b32_e32 v10, v177
	s_or_b32 s72, s72, exec_lo
	s_wait_dscnt 0x0
	v_xor_b32_e32 v7, 0x80000000, v7
	ds_store_b64 v177, v[4:5]
.LBB62_70:                              ;   in Loop: Header=BB62_4 Depth=1
	s_or_b32 exec_lo, exec_lo, s73
	s_and_saveexec_b32 s73, s72
; %bb.71:                               ;   in Loop: Header=BB62_4 Depth=1
	ds_store_b64 v10, v[6:7] offset:8
; %bb.72:                               ;   in Loop: Header=BB62_4 Depth=1
	s_or_b32 exec_lo, exec_lo, s73
	s_mov_b32 s72, 0
	s_and_saveexec_b32 s73, s9
	s_delay_alu instid0(SALU_CYCLE_1)
	s_xor_b32 s73, exec_lo, s73
; %bb.73:                               ;   in Loop: Header=BB62_4 Depth=1
	s_and_b32 s72, s10, exec_lo
; %bb.74:                               ;   in Loop: Header=BB62_4 Depth=1
	s_or_saveexec_b32 s73, s73
	v_mov_b64_e32 v[6:7], 0
	v_mov_b32_e32 v10, v176
	s_xor_b32 exec_lo, exec_lo, s73
	s_cbranch_execz .LBB62_76
; %bb.75:                               ;   in Loop: Header=BB62_4 Depth=1
	ds_load_b128 v[4:7], v193
	v_mov_b32_e32 v10, v178
	s_or_b32 s72, s72, exec_lo
	s_wait_dscnt 0x0
	v_xor_b32_e32 v7, 0x80000000, v7
	ds_store_b64 v178, v[4:5]
.LBB62_76:                              ;   in Loop: Header=BB62_4 Depth=1
	s_or_b32 exec_lo, exec_lo, s73
	s_and_saveexec_b32 s73, s72
; %bb.77:                               ;   in Loop: Header=BB62_4 Depth=1
	ds_store_b64 v10, v[6:7] offset:8
; %bb.78:                               ;   in Loop: Header=BB62_4 Depth=1
	s_or_b32 exec_lo, exec_lo, s73
	s_mov_b32 s72, 0
	s_and_saveexec_b32 s73, s11
	s_delay_alu instid0(SALU_CYCLE_1)
	s_xor_b32 s73, exec_lo, s73
; %bb.79:                               ;   in Loop: Header=BB62_4 Depth=1
	s_and_b32 s72, s12, exec_lo
; %bb.80:                               ;   in Loop: Header=BB62_4 Depth=1
	s_or_saveexec_b32 s73, s73
	v_mov_b64_e32 v[6:7], 0
	v_mov_b32_e32 v10, v176
	s_xor_b32 exec_lo, exec_lo, s73
	s_cbranch_execz .LBB62_82
; %bb.81:                               ;   in Loop: Header=BB62_4 Depth=1
	ds_load_b128 v[4:7], v193 offset:528
	v_mov_b32_e32 v10, v179
	s_or_b32 s72, s72, exec_lo
	s_wait_dscnt 0x0
	v_xor_b32_e32 v7, 0x80000000, v7
	ds_store_b64 v179, v[4:5]
.LBB62_82:                              ;   in Loop: Header=BB62_4 Depth=1
	s_or_b32 exec_lo, exec_lo, s73
	s_and_saveexec_b32 s73, s72
; %bb.83:                               ;   in Loop: Header=BB62_4 Depth=1
	ds_store_b64 v10, v[6:7] offset:8
; %bb.84:                               ;   in Loop: Header=BB62_4 Depth=1
	s_or_b32 exec_lo, exec_lo, s73
	s_mov_b32 s72, 0
	s_and_saveexec_b32 s73, s13
	s_delay_alu instid0(SALU_CYCLE_1)
	s_xor_b32 s73, exec_lo, s73
; %bb.85:                               ;   in Loop: Header=BB62_4 Depth=1
	s_and_b32 s72, s14, exec_lo
; %bb.86:                               ;   in Loop: Header=BB62_4 Depth=1
	s_or_saveexec_b32 s73, s73
	v_mov_b64_e32 v[6:7], 0
	v_mov_b32_e32 v10, v176
	s_xor_b32 exec_lo, exec_lo, s73
	s_cbranch_execz .LBB62_88
; %bb.87:                               ;   in Loop: Header=BB62_4 Depth=1
	ds_load_b128 v[4:7], v193 offset:1056
	v_mov_b32_e32 v10, v181
	s_or_b32 s72, s72, exec_lo
	s_wait_dscnt 0x0
	v_xor_b32_e32 v7, 0x80000000, v7
	ds_store_b64 v181, v[4:5]
.LBB62_88:                              ;   in Loop: Header=BB62_4 Depth=1
	s_or_b32 exec_lo, exec_lo, s73
	s_and_saveexec_b32 s73, s72
; %bb.89:                               ;   in Loop: Header=BB62_4 Depth=1
	ds_store_b64 v10, v[6:7] offset:8
; %bb.90:                               ;   in Loop: Header=BB62_4 Depth=1
	s_or_b32 exec_lo, exec_lo, s73
	s_wait_dscnt 0x0
	s_barrier_signal -1
	s_barrier_wait -1
	ds_load_b128 v[4:7], v192
	ds_load_b128 v[10:13], v182 offset:512
	ds_load_b128 v[14:17], v182 offset:528
	ds_load_b128 v[18:21], v193
	s_wait_dscnt 0x2
	v_mul_f64_e32 v[22:23], v[12:13], v[6:7]
	v_mul_f64_e32 v[28:29], v[10:11], v[6:7]
	s_wait_dscnt 0x0
	v_mul_f64_e32 v[30:31], v[16:17], v[20:21]
	v_mul_f64_e32 v[32:33], v[14:15], v[20:21]
	s_delay_alu instid0(VALU_DEP_4) | instskip(NEXT) | instid1(VALU_DEP_4)
	v_fma_f64 v[34:35], v[10:11], v[4:5], -v[22:23]
	v_fmac_f64_e32 v[28:29], v[12:13], v[4:5]
	ds_load_b128 v[4:7], v193 offset:528
	ds_load_b128 v[10:13], v182 offset:544
	;; [unrolled: 1-line block ×4, first 2 shown]
	v_fma_f64 v[14:15], v[14:15], v[18:19], -v[30:31]
	v_fmac_f64_e32 v[32:33], v[16:17], v[18:19]
	s_wait_dscnt 0x0
	s_barrier_signal -1
	s_barrier_wait -1
	v_mul_f64_e32 v[38:39], v[12:13], v[6:7]
	v_mul_f64_e32 v[6:7], v[10:11], v[6:7]
	v_add_f64_e32 v[16:17], 0, v[34:35]
	v_add_f64_e32 v[18:19], 0, v[28:29]
	v_mul_f64_e32 v[28:29], v[22:23], v[26:27]
	v_mul_f64_e32 v[26:27], v[20:21], v[26:27]
	v_fma_f64 v[10:11], v[10:11], v[4:5], -v[38:39]
	v_fmac_f64_e32 v[6:7], v[12:13], v[4:5]
	v_add_f64_e32 v[4:5], v[16:17], v[14:15]
	v_add_f64_e32 v[12:13], v[18:19], v[32:33]
	v_fma_f64 v[14:15], v[20:21], v[24:25], -v[28:29]
	v_fmac_f64_e32 v[26:27], v[22:23], v[24:25]
	s_delay_alu instid0(VALU_DEP_4) | instskip(NEXT) | instid1(VALU_DEP_4)
	v_add_f64_e32 v[4:5], v[4:5], v[10:11]
	v_add_f64_e32 v[6:7], v[12:13], v[6:7]
	s_delay_alu instid0(VALU_DEP_2) | instskip(NEXT) | instid1(VALU_DEP_2)
	v_add_f64_e32 v[4:5], v[4:5], v[14:15]
	v_add_f64_e32 v[6:7], v[6:7], v[26:27]
	ds_store_b128 v183, v[4:7]
	s_wait_dscnt 0x0
	s_barrier_signal -1
	s_barrier_wait -1
	s_and_saveexec_b32 s72, s21
	s_cbranch_execz .LBB62_92
; %bb.91:                               ;   in Loop: Header=BB62_4 Depth=1
	ds_load_b128 v[0:3], v180
	ds_load_b128 v[4:7], v180 offset:16
	s_wait_dscnt 0x0
	v_add_f64_e32 v[10:11], v[4:5], v[0:1]
	v_add_f64_e32 v[12:13], v[6:7], v[2:3]
	ds_load_b128 v[0:3], v180 offset:32
	ds_load_b128 v[4:7], v180 offset:48
	s_wait_dscnt 0x1
	v_add_f64_e32 v[0:1], v[10:11], v[0:1]
	v_add_f64_e32 v[2:3], v[12:13], v[2:3]
	s_wait_dscnt 0x0
	s_delay_alu instid0(VALU_DEP_2) | instskip(NEXT) | instid1(VALU_DEP_2)
	v_add_f64_e32 v[10:11], v[0:1], v[4:5]
	v_add_f64_e32 v[12:13], v[2:3], v[6:7]
	ds_load_b128 v[0:3], v180 offset:64
	ds_load_b128 v[4:7], v180 offset:80
	s_wait_dscnt 0x1
	v_add_f64_e32 v[0:1], v[10:11], v[0:1]
	v_add_f64_e32 v[2:3], v[12:13], v[2:3]
	s_wait_dscnt 0x0
	s_delay_alu instid0(VALU_DEP_2) | instskip(NEXT) | instid1(VALU_DEP_2)
	;; [unrolled: 9-line block ×3, first 2 shown]
	v_add_f64_e32 v[0:1], v[0:1], v[4:5]
	v_add_f64_e32 v[2:3], v[2:3], v[6:7]
.LBB62_92:                              ;   in Loop: Header=BB62_4 Depth=1
	s_or_b32 exec_lo, exec_lo, s72
	v_lshl_add_u64 v[38:39], s[52:53], 4, v[8:9]
	s_and_not1_b32 vcc_lo, exec_lo, s78
	s_mov_b32 s72, -1
	s_barrier_signal -1
	s_barrier_wait -1
	s_cbranch_vccnz .LBB62_94
; %bb.93:                               ;   in Loop: Header=BB62_4 Depth=1
	flat_load_b128 v[4:7], v[38:39]
	v_lshl_add_u64 v[8:9], s[42:43], 4, v[38:39]
	s_mov_b32 s72, 0
	s_wait_loadcnt_dscnt 0x0
	ds_store_2addr_b64 v172, v[4:5], v[6:7] offset1:1
	flat_load_b128 v[4:7], v[8:9]
	s_wait_xcnt 0x0
	v_add_nc_u64_e32 v[8:9], s[58:59], v[8:9]
	s_wait_loadcnt_dscnt 0x0
	ds_store_2addr_b64 v173, v[4:5], v[6:7] offset1:1
	flat_load_b128 v[4:7], v[8:9]
	s_wait_xcnt 0x0
	v_add_nc_u64_e32 v[8:9], s[58:59], v[8:9]
	s_wait_loadcnt_dscnt 0x0
	ds_store_2addr_b64 v174, v[4:5], v[6:7] offset1:1
	flat_load_b128 v[4:7], v[8:9]
	s_wait_loadcnt_dscnt 0x0
	ds_store_2addr_b64 v175, v[4:5], v[6:7] offset1:1
.LBB62_94:                              ;   in Loop: Header=BB62_4 Depth=1
	s_and_not1_b32 vcc_lo, exec_lo, s72
	s_cbranch_vccnz .LBB62_106
; %bb.95:                               ;   in Loop: Header=BB62_4 Depth=1
	s_wait_xcnt 0x0
	s_and_saveexec_b32 s72, s3
	s_delay_alu instid0(SALU_CYCLE_1)
	s_xor_b32 s72, exec_lo, s72
; %bb.96:                               ;   in Loop: Header=BB62_4 Depth=1
	v_dual_mov_b32 v4, v151 :: v_dual_mov_b32 v5, v151
	v_dual_mov_b32 v6, v151 :: v_dual_mov_b32 v7, v151
	ds_store_b128 v172, v[4:7]
; %bb.97:                               ;   in Loop: Header=BB62_4 Depth=1
	s_or_saveexec_b32 s72, s72
	v_lshl_add_u64 v[4:5], v[158:159], 4, v[38:39]
	s_delay_alu instid0(VALU_DEP_1) | instskip(NEXT) | instid1(VALU_DEP_1)
	v_lshl_add_u64 v[4:5], s[40:41], 4, v[4:5]
	v_add_nc_u64_e32 v[4:5], s[66:67], v[4:5]
	s_delay_alu instid0(VALU_DEP_1)
	v_dual_cndmask_b32 v5, v5, v39, s16 :: v_dual_cndmask_b32 v4, v4, v38, s16
	s_xor_b32 exec_lo, exec_lo, s72
	s_cbranch_execnz .LBB62_131
; %bb.98:                               ;   in Loop: Header=BB62_4 Depth=1
	s_or_b32 exec_lo, exec_lo, s72
	s_and_saveexec_b32 s72, s4
	s_delay_alu instid0(SALU_CYCLE_1)
	s_xor_b32 s72, exec_lo, s72
	s_cbranch_execnz .LBB62_132
.LBB62_99:                              ;   in Loop: Header=BB62_4 Depth=1
	s_and_not1_saveexec_b32 s72, s72
	s_cbranch_execnz .LBB62_133
.LBB62_100:                             ;   in Loop: Header=BB62_4 Depth=1
	s_or_b32 exec_lo, exec_lo, s72
	s_and_saveexec_b32 s72, s5
	s_delay_alu instid0(SALU_CYCLE_1)
	s_xor_b32 s72, exec_lo, s72
	s_cbranch_execnz .LBB62_134
.LBB62_101:                             ;   in Loop: Header=BB62_4 Depth=1
	s_and_not1_saveexec_b32 s72, s72
	s_cbranch_execnz .LBB62_135
.LBB62_102:                             ;   in Loop: Header=BB62_4 Depth=1
	s_or_b32 exec_lo, exec_lo, s72
	s_and_saveexec_b32 s72, s6
	s_delay_alu instid0(SALU_CYCLE_1)
	s_xor_b32 s72, exec_lo, s72
	s_cbranch_execnz .LBB62_136
.LBB62_103:                             ;   in Loop: Header=BB62_4 Depth=1
	s_and_not1_saveexec_b32 s72, s72
	s_cbranch_execz .LBB62_105
.LBB62_104:                             ;   in Loop: Header=BB62_4 Depth=1
	v_lshl_add_u64 v[6:7], s[48:49], 4, v[4:5]
	flat_load_b128 v[6:9], v[6:7]
	s_wait_loadcnt_dscnt 0x0
	ds_store_2addr_b64 v175, v[6:7], v[8:9] offset1:1
.LBB62_105:                             ;   in Loop: Header=BB62_4 Depth=1
	s_wait_xcnt 0x0
	s_or_b32 exec_lo, exec_lo, s72
	v_add_nc_u64_e32 v[4:5], v[4:5], v[150:151]
	s_delay_alu instid0(VALU_DEP_1) | instskip(NEXT) | instid1(VALU_DEP_1)
	v_lshl_add_u64 v[4:5], s[60:61], 4, v[4:5]
	v_add_nc_u64_e32 v[4:5], 0x210, v[4:5]
	s_delay_alu instid0(VALU_DEP_1)
	v_dual_cndmask_b32 v39, v5, v39, s16 :: v_dual_cndmask_b32 v38, v4, v38, s16
.LBB62_106:                             ;   in Loop: Header=BB62_4 Depth=1
	s_wait_dscnt 0x0
	s_barrier_signal -1
	s_barrier_wait -1
	ds_load_b128 v[4:7], v194
	s_wait_xcnt 0x0
	ds_load_b128 v[8:11], v172
	ds_load_b128 v[12:15], v173
	ds_load_b128 v[16:19], v191 offset:384
	ds_load_b128 v[20:23], v191 offset:128
	;; [unrolled: 1-line block ×3, first 2 shown]
	s_wait_dscnt 0x4
	v_mul_f64_e32 v[28:29], v[6:7], v[10:11]
	v_mul_f64_e32 v[30:31], v[4:5], v[10:11]
	s_wait_dscnt 0x1
	v_mul_f64_e32 v[32:33], v[22:23], v[14:15]
	v_mul_f64_e32 v[14:15], v[20:21], v[14:15]
	s_delay_alu instid0(VALU_DEP_4) | instskip(NEXT) | instid1(VALU_DEP_4)
	v_fma_f64 v[28:29], v[4:5], v[8:9], -v[28:29]
	v_fmac_f64_e32 v[30:31], v[6:7], v[8:9]
	ds_load_b128 v[4:7], v174
	ds_load_b128 v[8:11], v175
	v_fma_f64 v[20:21], v[20:21], v[12:13], -v[32:33]
	v_fmac_f64_e32 v[14:15], v[22:23], v[12:13]
	s_wait_dscnt 0x1
	v_mul_f64_e32 v[34:35], v[26:27], v[6:7]
	v_mul_f64_e32 v[6:7], v[24:25], v[6:7]
	v_add_f64_e32 v[12:13], 0, v[28:29]
	v_add_f64_e32 v[22:23], 0, v[30:31]
	s_wait_dscnt 0x0
	v_mul_f64_e32 v[28:29], v[18:19], v[10:11]
	v_mul_f64_e32 v[10:11], v[16:17], v[10:11]
	v_fma_f64 v[24:25], v[24:25], v[4:5], -v[34:35]
	v_fmac_f64_e32 v[6:7], v[26:27], v[4:5]
	v_add_f64_e32 v[4:5], v[12:13], v[20:21]
	v_add_f64_e32 v[12:13], v[22:23], v[14:15]
	v_fma_f64 v[14:15], v[16:17], v[8:9], -v[28:29]
	v_fmac_f64_e32 v[10:11], v[18:19], v[8:9]
	s_delay_alu instid0(VALU_DEP_4) | instskip(NEXT) | instid1(VALU_DEP_4)
	v_add_f64_e32 v[4:5], v[4:5], v[24:25]
	v_add_f64_e32 v[6:7], v[12:13], v[6:7]
	s_delay_alu instid0(VALU_DEP_2) | instskip(NEXT) | instid1(VALU_DEP_2)
	v_add_f64_e32 v[40:41], v[4:5], v[14:15]
	v_add_f64_e32 v[42:43], v[6:7], v[10:11]
	ds_load_b128 v[28:31], v184
	ds_load_b128 v[20:23], v184 offset:16
	ds_load_b128 v[8:11], v184 offset:32
	ds_load_b128 v[4:7], v184 offset:48
	ds_load_b128 v[32:35], v182 offset:512
	ds_load_b128 v[24:27], v182 offset:528
	ds_load_b128 v[16:19], v182 offset:544
	ds_load_b128 v[12:15], v182 offset:560
	s_wait_dscnt 0x0
	s_barrier_signal -1
	s_barrier_wait -1
	ds_store_b128 v183, v[40:43]
	s_wait_dscnt 0x0
	s_barrier_signal -1
	s_barrier_wait -1
	s_and_saveexec_b32 s72, s21
	s_cbranch_execz .LBB62_108
; %bb.107:                              ;   in Loop: Header=BB62_4 Depth=1
	ds_load_b128 v[40:43], v180
	ds_load_b128 v[44:47], v180 offset:16
	s_wait_dscnt 0x1
	v_add_f64_e32 v[0:1], v[0:1], v[40:41]
	v_add_f64_e32 v[2:3], v[2:3], v[42:43]
	s_wait_dscnt 0x0
	s_delay_alu instid0(VALU_DEP_2) | instskip(NEXT) | instid1(VALU_DEP_2)
	v_add_f64_e32 v[44:45], v[0:1], v[44:45]
	v_add_f64_e32 v[46:47], v[2:3], v[46:47]
	ds_load_b128 v[0:3], v180 offset:32
	ds_load_b128 v[40:43], v180 offset:48
	s_wait_dscnt 0x1
	v_add_f64_e32 v[0:1], v[44:45], v[0:1]
	v_add_f64_e32 v[2:3], v[46:47], v[2:3]
	s_wait_dscnt 0x0
	s_delay_alu instid0(VALU_DEP_2) | instskip(NEXT) | instid1(VALU_DEP_2)
	v_add_f64_e32 v[44:45], v[0:1], v[40:41]
	v_add_f64_e32 v[46:47], v[2:3], v[42:43]
	ds_load_b128 v[0:3], v180 offset:64
	;; [unrolled: 9-line block ×3, first 2 shown]
	ds_load_b128 v[40:43], v180 offset:112
	s_wait_dscnt 0x1
	v_add_f64_e32 v[0:1], v[44:45], v[0:1]
	v_add_f64_e32 v[2:3], v[46:47], v[2:3]
	s_wait_dscnt 0x0
	s_delay_alu instid0(VALU_DEP_2) | instskip(NEXT) | instid1(VALU_DEP_2)
	v_add_f64_e32 v[0:1], v[0:1], v[40:41]
	v_add_f64_e32 v[2:3], v[2:3], v[42:43]
.LBB62_108:                             ;   in Loop: Header=BB62_4 Depth=1
	s_or_b32 exec_lo, exec_lo, s72
	v_mul_f64_e32 v[40:41], v[30:31], v[34:35]
	v_mul_f64_e32 v[30:31], v[30:31], v[32:33]
	;; [unrolled: 1-line block ×4, first 2 shown]
	s_barrier_signal -1
	s_barrier_wait -1
	s_delay_alu instid0(VALU_DEP_4) | instskip(NEXT) | instid1(VALU_DEP_4)
	v_fmac_f64_e32 v[40:41], v[28:29], v[32:33]
	v_fma_f64 v[28:29], v[28:29], v[34:35], -v[30:31]
	v_mul_f64_e32 v[30:31], v[10:11], v[18:19]
	v_mul_f64_e32 v[10:11], v[10:11], v[16:17]
	v_fmac_f64_e32 v[42:43], v[20:21], v[24:25]
	v_fma_f64 v[20:21], v[20:21], v[26:27], -v[22:23]
	v_mul_f64_e32 v[26:27], v[6:7], v[14:15]
	v_mul_f64_e32 v[6:7], v[6:7], v[12:13]
	v_add_f64_e32 v[22:23], 0, v[40:41]
	v_add_f64_e32 v[24:25], 0, v[28:29]
	v_fmac_f64_e32 v[30:31], v[8:9], v[16:17]
	v_fma_f64 v[8:9], v[8:9], v[18:19], -v[10:11]
	v_fmac_f64_e32 v[26:27], v[4:5], v[12:13]
	v_fma_f64 v[6:7], v[4:5], v[14:15], -v[6:7]
	v_add_f64_e32 v[10:11], v[22:23], v[42:43]
	v_add_f64_e32 v[16:17], v[24:25], v[20:21]
	s_delay_alu instid0(VALU_DEP_2) | instskip(NEXT) | instid1(VALU_DEP_2)
	v_add_f64_e32 v[4:5], v[10:11], v[30:31]
	v_add_f64_e32 v[8:9], v[16:17], v[8:9]
	s_delay_alu instid0(VALU_DEP_2) | instskip(NEXT) | instid1(VALU_DEP_2)
	v_add_f64_e32 v[4:5], v[4:5], v[26:27]
	v_add_f64_e32 v[6:7], v[8:9], v[6:7]
	ds_store_b128 v183, v[4:7]
	s_wait_dscnt 0x0
	s_barrier_signal -1
	s_barrier_wait -1
	s_and_saveexec_b32 s72, s15
	s_cbranch_execz .LBB62_110
; %bb.109:                              ;   in Loop: Header=BB62_4 Depth=1
	ds_load_b128 v[4:7], v180
	ds_load_b128 v[8:11], v180 offset:16
	s_wait_dscnt 0x1
	v_add_f64_e32 v[0:1], v[0:1], v[4:5]
	v_add_f64_e32 v[2:3], v[2:3], v[6:7]
	s_wait_dscnt 0x0
	s_delay_alu instid0(VALU_DEP_2) | instskip(NEXT) | instid1(VALU_DEP_2)
	v_add_f64_e32 v[8:9], v[0:1], v[8:9]
	v_add_f64_e32 v[10:11], v[2:3], v[10:11]
	ds_load_b128 v[0:3], v180 offset:32
	ds_load_b128 v[4:7], v180 offset:48
	s_wait_dscnt 0x1
	v_add_f64_e32 v[0:1], v[8:9], v[0:1]
	v_add_f64_e32 v[2:3], v[10:11], v[2:3]
	s_wait_dscnt 0x0
	s_delay_alu instid0(VALU_DEP_2) | instskip(NEXT) | instid1(VALU_DEP_2)
	v_add_f64_e32 v[8:9], v[0:1], v[4:5]
	v_add_f64_e32 v[10:11], v[2:3], v[6:7]
	ds_load_b128 v[0:3], v180 offset:64
	;; [unrolled: 9-line block ×3, first 2 shown]
	ds_load_b128 v[4:7], v180 offset:112
	s_wait_dscnt 0x1
	v_add_f64_e32 v[0:1], v[8:9], v[0:1]
	v_add_f64_e32 v[2:3], v[10:11], v[2:3]
	s_wait_dscnt 0x0
	s_delay_alu instid0(VALU_DEP_2) | instskip(NEXT) | instid1(VALU_DEP_2)
	v_add_f64_e32 v[0:1], v[0:1], v[4:5]
	v_add_f64_e32 v[2:3], v[2:3], v[6:7]
.LBB62_110:                             ;   in Loop: Header=BB62_4 Depth=1
	s_or_b32 exec_lo, exec_lo, s72
	s_mul_u64 s[72:73], s[36:37], s[34:35]
	s_and_not1_b32 vcc_lo, exec_lo, s79
	s_lshl_b64 s[72:73], s[72:73], 4
	s_delay_alu instid0(SALU_CYCLE_1)
	s_add_nc_u64 s[72:73], s[44:45], s[72:73]
	s_barrier_signal -1
	s_barrier_wait -1
	s_cbranch_vccnz .LBB62_117
; %bb.111:                              ;   in Loop: Header=BB62_4 Depth=1
	v_lshl_add_u64 v[4:5], s[56:57], 4, v[38:39]
	v_lshl_add_u64 v[166:167], s[54:55], 4, v[36:37]
	v_mov_b32_e32 v196, v148
	s_mov_b32 s74, 0
	s_mov_b32 s82, s33
	v_lshl_add_u64 v[4:5], v[162:163], 4, v[4:5]
	s_delay_alu instid0(VALU_DEP_1) | instskip(NEXT) | instid1(VALU_DEP_1)
	v_lshl_add_u64 v[4:5], v[160:161], 4, v[4:5]
	v_lshl_add_u64 v[6:7], v[164:165], 4, v[4:5]
	v_add_nc_u64_e32 v[4:5], s[68:69], v[4:5]
	s_delay_alu instid0(VALU_DEP_2) | instskip(NEXT) | instid1(VALU_DEP_1)
	v_lshl_add_u64 v[6:7], s[40:41], 4, v[6:7]
	v_add_nc_u64_e32 v[6:7], s[66:67], v[6:7]
	s_delay_alu instid0(VALU_DEP_1)
	v_dual_cndmask_b32 v5, v5, v7, s1 :: v_dual_cndmask_b32 v4, v4, v6, s1
	s_branch .LBB62_113
.LBB62_112:                             ;   in Loop: Header=BB62_113 Depth=2
	s_wait_xcnt 0x0
	s_or_b32 exec_lo, exec_lo, s75
	v_dual_mul_f64 v[84:85], v[18:19], v[38:39] :: v_dual_add_nc_u32 v196, 64, v196
	v_mul_f64_e32 v[38:39], v[16:17], v[38:39]
	v_mul_f64_e32 v[86:87], v[14:15], v[50:51]
	;; [unrolled: 1-line block ×3, first 2 shown]
	s_add_co_i32 s82, s82, -1
	s_add_co_i32 s74, s74, s80
	s_cmp_eq_u32 s82, 0
	s_wait_storecnt 0x0
	s_barrier_signal -1
	s_barrier_wait -1
	s_delay_alu instid0(VALU_DEP_4) | instskip(NEXT) | instid1(VALU_DEP_4)
	v_fma_f64 v[16:17], v[16:17], v[36:37], -v[84:85]
	v_fmac_f64_e32 v[38:39], v[18:19], v[36:37]
	v_mul_f64_e32 v[18:19], v[10:11], v[46:47]
	v_mul_f64_e32 v[36:37], v[8:9], v[46:47]
	v_fma_f64 v[12:13], v[12:13], v[48:49], -v[86:87]
	v_fmac_f64_e32 v[50:51], v[14:15], v[48:49]
	v_mul_f64_e32 v[14:15], v[6:7], v[30:31]
	v_add_f64_e32 v[0:1], v[0:1], v[16:17]
	v_mul_f64_e32 v[16:17], v[4:5], v[30:31]
	v_add_f64_e32 v[2:3], v[2:3], v[38:39]
	v_fma_f64 v[8:9], v[8:9], v[44:45], -v[18:19]
	v_fmac_f64_e32 v[36:37], v[10:11], v[44:45]
	v_mul_f64_e32 v[10:11], v[42:43], v[74:75]
	v_fma_f64 v[4:5], v[4:5], v[28:29], -v[14:15]
	v_mul_f64_e32 v[14:15], v[24:25], v[78:79]
	v_add_f64_e32 v[0:1], v[0:1], v[12:13]
	v_mul_f64_e32 v[12:13], v[40:41], v[74:75]
	v_add_f64_e32 v[2:3], v[2:3], v[50:51]
	v_fmac_f64_e32 v[16:17], v[6:7], v[28:29]
	v_mul_f64_e32 v[6:7], v[34:35], v[82:83]
	v_fma_f64 v[10:11], v[40:41], v[72:73], -v[10:11]
	v_fmac_f64_e32 v[14:15], v[26:27], v[76:77]
	v_add_f64_e32 v[0:1], v[0:1], v[8:9]
	v_mul_f64_e32 v[8:9], v[32:33], v[82:83]
	v_add_f64_e32 v[2:3], v[2:3], v[36:37]
	v_fmac_f64_e32 v[12:13], v[42:43], v[72:73]
	v_fma_f64 v[6:7], v[32:33], v[80:81], -v[6:7]
	v_add_f64_e32 v[0:1], v[0:1], v[4:5]
	v_mul_f64_e32 v[4:5], v[26:27], v[78:79]
	v_add_f64_e32 v[2:3], v[2:3], v[16:17]
	v_fmac_f64_e32 v[8:9], v[34:35], v[80:81]
	s_delay_alu instid0(VALU_DEP_4) | instskip(SKIP_1) | instid1(VALU_DEP_4)
	v_add_f64_e32 v[0:1], v[0:1], v[10:11]
	v_mul_f64_e32 v[10:11], v[22:23], v[70:71]
	v_add_f64_e32 v[2:3], v[2:3], v[12:13]
	v_mul_f64_e32 v[12:13], v[20:21], v[70:71]
	v_fma_f64 v[4:5], v[24:25], v[76:77], -v[4:5]
	v_add_f64_e32 v[0:1], v[0:1], v[6:7]
	v_mul_f64_e32 v[6:7], v[66:67], v[122:123]
	v_add_f64_e32 v[2:3], v[2:3], v[8:9]
	v_mul_f64_e32 v[8:9], v[64:65], v[122:123]
	v_fma_f64 v[10:11], v[20:21], v[68:69], -v[10:11]
	v_fmac_f64_e32 v[12:13], v[22:23], v[68:69]
	v_add_f64_e32 v[0:1], v[0:1], v[4:5]
	v_mul_f64_e32 v[4:5], v[62:63], v[130:131]
	v_add_f64_e32 v[2:3], v[2:3], v[14:15]
	v_mul_f64_e32 v[14:15], v[60:61], v[130:131]
	v_fma_f64 v[6:7], v[64:65], v[120:121], -v[6:7]
	v_fmac_f64_e32 v[8:9], v[66:67], v[120:121]
	;; [unrolled: 6-line block ×8, first 2 shown]
	v_add_f64_e32 v[0:1], v[0:1], v[10:11]
	v_fma_f64 v[4:5], v[96:97], v[136:137], -v[4:5]
	v_add_f64_e32 v[2:3], v[2:3], v[12:13]
	v_fmac_f64_e32 v[14:15], v[98:99], v[136:137]
	s_delay_alu instid0(VALU_DEP_4) | instskip(NEXT) | instid1(VALU_DEP_3)
	v_add_f64_e32 v[0:1], v[0:1], v[6:7]
	v_add_f64_e32 v[2:3], v[2:3], v[8:9]
	s_delay_alu instid0(VALU_DEP_2) | instskip(SKIP_1) | instid1(VALU_DEP_3)
	v_add_f64_e32 v[0:1], v[0:1], v[4:5]
	v_add_nc_u64_e32 v[4:5], s[64:65], v[168:169]
	v_add_f64_e32 v[2:3], v[2:3], v[14:15]
	s_cbranch_scc1 .LBB62_117
.LBB62_113:                             ;   Parent Loop BB62_4 Depth=1
                                        ; =>  This Inner Loop Header: Depth=2
	s_and_saveexec_b32 s83, s0
	s_cbranch_execz .LBB62_115
; %bb.114:                              ;   in Loop: Header=BB62_113 Depth=2
	s_ashr_i32 s75, s74, 31
	s_delay_alu instid0(SALU_CYCLE_1)
	v_lshl_add_u64 v[6:7], s[74:75], 4, v[166:167]
	flat_load_b128 v[6:9], v[6:7]
	s_wait_loadcnt_dscnt 0x0
	ds_store_2addr_b64 v149, v[6:7], v[8:9] offset1:1
.LBB62_115:                             ;   in Loop: Header=BB62_113 Depth=2
	s_wait_xcnt 0x0
	s_or_b32 exec_lo, exec_lo, s83
	v_add_nc_u64_e32 v[6:7], s[62:63], v[4:5]
	s_wait_dscnt 0x0
	s_barrier_signal -1
	s_barrier_wait -1
	s_delay_alu instid0(VALU_DEP_1) | instskip(NEXT) | instid1(VALU_DEP_1)
	v_add_nc_u64_e32 v[8:9], s[62:63], v[6:7]
	v_add_nc_u64_e32 v[28:29], s[62:63], v[8:9]
	s_clause 0x3
	flat_load_b128 v[16:19], v[4:5]
	flat_load_b128 v[12:15], v[6:7]
	;; [unrolled: 1-line block ×4, first 2 shown]
	ds_load_b128 v[20:23], v171
	ds_load_b128 v[36:39], v185
	s_wait_loadcnt_dscnt 0x301
	v_mul_f64_e32 v[24:25], v[18:19], v[22:23]
	v_mul_f64_e32 v[26:27], v[18:19], v[20:21]
	s_wait_loadcnt 0x2
	v_mul_f64_e32 v[32:33], v[14:15], v[22:23]
	v_mul_f64_e32 v[30:31], v[14:15], v[20:21]
	s_wait_loadcnt 0x1
	;; [unrolled: 3-line block ×3, first 2 shown]
	v_mul_f64_e32 v[52:53], v[6:7], v[22:23]
	v_mul_f64_e32 v[44:45], v[6:7], v[20:21]
	v_fmac_f64_e32 v[24:25], v[16:17], v[20:21]
	v_fma_f64 v[26:27], v[16:17], v[22:23], -v[26:27]
	v_fmac_f64_e32 v[32:33], v[12:13], v[20:21]
	v_fma_f64 v[34:35], v[12:13], v[22:23], -v[30:31]
	;; [unrolled: 2-line block ×4, first 2 shown]
	v_add_nc_u64_e32 v[20:21], s[64:65], v[28:29]
	ds_load_b128 v[48:51], v185 offset:16
	ds_load_b128 v[44:47], v185 offset:32
	s_wait_xcnt 0x0
	ds_load_b128 v[28:31], v185 offset:48
	ds_store_b128 v186, v[24:27]
	ds_store_b128 v186, v[32:35] offset:1072
	ds_store_b128 v186, v[40:43] offset:2144
	;; [unrolled: 1-line block ×3, first 2 shown]
	v_add_nc_u64_e32 v[22:23], s[62:63], v[20:21]
	s_wait_dscnt 0x0
	s_barrier_signal -1
	s_barrier_wait -1
	ds_load_b128 v[116:119], v187
	ds_load_b128 v[104:107], v187 offset:16
	ds_load_b128 v[92:95], v187 offset:32
	;; [unrolled: 1-line block ×3, first 2 shown]
	s_wait_dscnt 0x0
	v_add_nc_u64_e32 v[56:57], s[62:63], v[22:23]
	s_barrier_signal -1
	s_barrier_wait -1
	s_delay_alu instid0(VALU_DEP_1)
	v_add_nc_u64_e32 v[68:69], s[62:63], v[56:57]
	s_clause 0x3
	flat_load_b128 v[40:43], v[20:21]
	flat_load_b128 v[32:35], v[22:23]
	;; [unrolled: 1-line block ×4, first 2 shown]
	ds_load_b128 v[52:55], v171
	ds_load_b128 v[72:75], v185 offset:256
	s_wait_loadcnt_dscnt 0x301
	v_mul_f64_e32 v[58:59], v[42:43], v[52:53]
	s_wait_xcnt 0x1
	v_mul_f64_e32 v[56:57], v[42:43], v[54:55]
	s_wait_loadcnt 0x2
	v_mul_f64_e32 v[62:63], v[34:35], v[52:53]
	v_mul_f64_e32 v[60:61], v[34:35], v[54:55]
	s_wait_loadcnt 0x1
	v_mul_f64_e32 v[66:67], v[26:27], v[52:53]
	;; [unrolled: 3-line block ×3, first 2 shown]
	v_mul_f64_e32 v[88:89], v[22:23], v[54:55]
	v_fma_f64 v[58:59], v[40:41], v[54:55], -v[58:59]
	v_fmac_f64_e32 v[56:57], v[40:41], v[52:53]
	v_fma_f64 v[62:63], v[32:33], v[54:55], -v[62:63]
	v_fmac_f64_e32 v[60:61], v[32:33], v[52:53]
	;; [unrolled: 2-line block ×4, first 2 shown]
	v_add_nc_u64_e32 v[52:53], s[64:65], v[68:69]
	ds_load_b128 v[80:83], v185 offset:272
	ds_load_b128 v[76:79], v185 offset:288
	s_wait_xcnt 0x0
	ds_load_b128 v[68:71], v185 offset:304
	ds_store_b128 v186, v[56:59]
	ds_store_b128 v186, v[60:63] offset:1072
	ds_store_b128 v186, v[64:67] offset:2144
	;; [unrolled: 1-line block ×3, first 2 shown]
	v_add_nc_u64_e32 v[54:55], s[62:63], v[52:53]
	s_wait_dscnt 0x0
	s_barrier_signal -1
	s_barrier_wait -1
	ds_load_b128 v[198:201], v187
	ds_load_b128 v[202:205], v187 offset:16
	ds_load_b128 v[206:209], v187 offset:32
	;; [unrolled: 1-line block ×3, first 2 shown]
	s_wait_dscnt 0x0
	v_add_nc_u64_e32 v[96:97], s[62:63], v[54:55]
	s_barrier_signal -1
	s_barrier_wait -1
	s_delay_alu instid0(VALU_DEP_1)
	v_add_nc_u64_e32 v[112:113], s[62:63], v[96:97]
	s_clause 0x2
	flat_load_b128 v[64:67], v[52:53]
	flat_load_b128 v[60:63], v[54:55]
	;; [unrolled: 1-line block ×4, first 2 shown]
	ds_load_b128 v[88:91], v171
	ds_load_b128 v[120:123], v185 offset:512
	v_add_f64_e32 v[198:199], 0, v[198:199]
	v_add_f64_e32 v[200:201], 0, v[200:201]
	s_delay_alu instid0(VALU_DEP_2) | instskip(NEXT) | instid1(VALU_DEP_2)
	v_add_f64_e32 v[198:199], v[198:199], v[202:203]
	v_add_f64_e32 v[200:201], v[200:201], v[204:205]
	s_delay_alu instid0(VALU_DEP_2) | instskip(NEXT) | instid1(VALU_DEP_2)
	v_add_f64_e32 v[198:199], v[198:199], v[206:207]
	v_add_f64_e32 v[200:201], v[200:201], v[208:209]
	s_wait_loadcnt_dscnt 0x301
	v_mul_f64_e32 v[98:99], v[66:67], v[88:89]
	s_wait_xcnt 0x1
	v_mul_f64_e32 v[96:97], v[66:67], v[90:91]
	s_wait_loadcnt 0x2
	v_mul_f64_e32 v[102:103], v[62:63], v[88:89]
	v_mul_f64_e32 v[100:101], v[62:63], v[90:91]
	s_wait_loadcnt 0x1
	v_mul_f64_e32 v[110:111], v[58:59], v[88:89]
	;; [unrolled: 3-line block ×3, first 2 shown]
	v_mul_f64_e32 v[132:133], v[54:55], v[90:91]
	v_fma_f64 v[98:99], v[64:65], v[90:91], -v[98:99]
	v_fmac_f64_e32 v[96:97], v[64:65], v[88:89]
	v_fma_f64 v[102:103], v[60:61], v[90:91], -v[102:103]
	v_fmac_f64_e32 v[100:101], v[60:61], v[88:89]
	;; [unrolled: 2-line block ×4, first 2 shown]
	v_add_nc_u64_e32 v[88:89], s[64:65], v[112:113]
	ds_load_b128 v[128:131], v185 offset:528
	ds_load_b128 v[124:127], v185 offset:544
	s_wait_xcnt 0x0
	ds_load_b128 v[112:115], v185 offset:560
	ds_store_b128 v186, v[96:99]
	ds_store_b128 v186, v[100:103] offset:1072
	ds_store_b128 v186, v[108:111] offset:2144
	ds_store_b128 v186, v[132:135] offset:3216
	v_add_nc_u64_e32 v[90:91], s[62:63], v[88:89]
	s_wait_dscnt 0x0
	s_barrier_signal -1
	s_barrier_wait -1
	ds_load_b128 v[214:217], v187
	ds_load_b128 v[218:221], v187 offset:16
	ds_load_b128 v[222:225], v187 offset:32
	;; [unrolled: 1-line block ×3, first 2 shown]
	s_wait_dscnt 0x0
	v_add_nc_u64_e32 v[136:137], s[62:63], v[90:91]
	s_barrier_signal -1
	s_barrier_wait -1
	s_delay_alu instid0(VALU_DEP_1)
	v_add_nc_u64_e32 v[168:169], s[62:63], v[136:137]
	flat_load_b128 v[108:111], v[88:89]
	flat_load_b128 v[100:103], v[90:91]
	;; [unrolled: 1-line block ×4, first 2 shown]
	s_wait_xcnt 0x1
	ds_load_b128 v[136:139], v171
	ds_load_b128 v[132:135], v185 offset:768
	v_add_f64_e32 v[214:215], 0, v[214:215]
	v_add_f64_e32 v[216:217], 0, v[216:217]
	s_delay_alu instid0(VALU_DEP_2) | instskip(NEXT) | instid1(VALU_DEP_2)
	v_add_f64_e32 v[202:203], v[214:215], v[218:219]
	v_add_f64_e32 v[204:205], v[216:217], v[220:221]
	s_delay_alu instid0(VALU_DEP_2) | instskip(NEXT) | instid1(VALU_DEP_2)
	v_add_f64_e32 v[202:203], v[202:203], v[222:223]
	v_add_f64_e32 v[204:205], v[204:205], v[224:225]
	s_wait_loadcnt_dscnt 0x301
	v_mul_f64_e32 v[140:141], v[110:111], v[136:137]
	v_mul_f64_e32 v[230:231], v[110:111], v[138:139]
	s_wait_loadcnt 0x2
	v_mul_f64_e32 v[142:143], v[102:103], v[136:137]
	v_mul_f64_e32 v[234:235], v[102:103], v[138:139]
	s_wait_loadcnt 0x1
	;; [unrolled: 3-line block ×3, first 2 shown]
	v_mul_f64_e32 v[146:147], v[98:99], v[136:137]
	v_mul_f64_e32 v[242:243], v[98:99], v[138:139]
	v_fma_f64 v[232:233], v[108:109], v[138:139], -v[140:141]
	v_fmac_f64_e32 v[230:231], v[108:109], v[136:137]
	v_fma_f64 v[236:237], v[100:101], v[138:139], -v[142:143]
	v_fmac_f64_e32 v[234:235], v[100:101], v[136:137]
	;; [unrolled: 2-line block ×4, first 2 shown]
	ds_load_b128 v[144:147], v185 offset:784
	ds_load_b128 v[140:143], v185 offset:800
	;; [unrolled: 1-line block ×3, first 2 shown]
	ds_store_b128 v186, v[230:233]
	ds_store_b128 v186, v[234:237] offset:1072
	ds_store_b128 v186, v[238:241] offset:2144
	;; [unrolled: 1-line block ×3, first 2 shown]
	s_wait_dscnt 0x0
	s_barrier_signal -1
	s_barrier_wait -1
	ds_load_b128 v[230:233], v187
	v_add_f64_e32 v[234:235], 0, v[116:117]
	v_add_f64_e32 v[236:237], 0, v[118:119]
	ds_load_b128 v[116:119], v187 offset:16
	s_wait_dscnt 0x1
	v_add_f64_e32 v[230:231], 0, v[230:231]
	v_add_f64_e32 v[232:233], 0, v[232:233]
	;; [unrolled: 1-line block ×4, first 2 shown]
	ds_load_b128 v[104:107], v187 offset:32
	s_wait_dscnt 0x1
	v_add_f64_e32 v[116:117], v[230:231], v[116:117]
	v_add_f64_e32 v[118:119], v[232:233], v[118:119]
	;; [unrolled: 1-line block ×4, first 2 shown]
	ds_load_b128 v[92:95], v187 offset:48
	s_wait_dscnt 0x0
	s_barrier_signal -1
	s_barrier_wait -1
	v_add_f64_e32 v[206:207], v[116:117], v[104:105]
	v_add_f64_e32 v[208:209], v[118:119], v[106:107]
	v_add_f64_e32 v[104:105], v[198:199], v[210:211]
	v_add_f64_e32 v[106:107], v[200:201], v[212:213]
	v_add_f64_e32 v[116:117], v[202:203], v[226:227]
	v_add_f64_e32 v[118:119], v[204:205], v[228:229]
	v_add_f64_e32 v[84:85], v[214:215], v[84:85]
	v_add_f64_e32 v[86:87], v[216:217], v[86:87]
	v_add_f64_e32 v[92:93], v[206:207], v[92:93]
	v_add_f64_e32 v[94:95], v[208:209], v[94:95]
	ds_store_b128 v195, v[84:87]
	ds_store_b128 v195, v[104:107] offset:256
	ds_store_b128 v195, v[116:119] offset:512
	;; [unrolled: 1-line block ×3, first 2 shown]
	s_wait_dscnt 0x0
	s_barrier_signal -1
	s_barrier_wait -1
	s_wait_xcnt 0x0
	s_and_saveexec_b32 s75, s22
	s_cbranch_execz .LBB62_112
; %bb.116:                              ;   in Loop: Header=BB62_113 Depth=2
	ds_load_b128 v[84:87], v188
	ds_load_b128 v[92:95], v188 offset:16
	s_wait_dscnt 0x0
	v_add_f64_e32 v[104:105], v[92:93], v[84:85]
	v_add_f64_e32 v[106:107], v[94:95], v[86:87]
	ds_load_b128 v[84:87], v188 offset:32
	ds_load_b128 v[92:95], v188 offset:48
	s_wait_dscnt 0x1
	v_add_f64_e32 v[84:85], v[104:105], v[84:85]
	v_add_f64_e32 v[86:87], v[106:107], v[86:87]
	s_wait_dscnt 0x0
	s_delay_alu instid0(VALU_DEP_2) | instskip(NEXT) | instid1(VALU_DEP_2)
	v_add_f64_e32 v[104:105], v[84:85], v[92:93]
	v_add_f64_e32 v[106:107], v[86:87], v[94:95]
	ds_load_b128 v[84:87], v188 offset:64
	ds_load_b128 v[92:95], v188 offset:80
	s_wait_dscnt 0x1
	v_add_f64_e32 v[84:85], v[104:105], v[84:85]
	v_add_f64_e32 v[86:87], v[106:107], v[86:87]
	s_wait_dscnt 0x0
	s_delay_alu instid0(VALU_DEP_2) | instskip(NEXT) | instid1(VALU_DEP_2)
	;; [unrolled: 9-line block ×6, first 2 shown]
	v_add_f64_e32 v[104:105], v[84:85], v[92:93]
	v_add_f64_e32 v[106:107], v[86:87], v[94:95]
	ds_load_b128 v[84:87], v188 offset:224
	ds_load_b128 v[92:95], v189
	s_wait_dscnt 0x1
	v_add_f64_e32 v[84:85], v[104:105], v[84:85]
	v_add_f64_e32 v[86:87], v[106:107], v[86:87]
	s_wait_dscnt 0x0
	s_delay_alu instid0(VALU_DEP_2) | instskip(NEXT) | instid1(VALU_DEP_2)
	v_add_f64_e32 v[84:85], v[84:85], v[92:93]
	v_add_f64_e32 v[86:87], v[86:87], v[94:95]
	global_store_b128 v196, v[84:87], s[72:73] scale_offset
	s_branch .LBB62_112
.LBB62_117:                             ;   in Loop: Header=BB62_4 Depth=1
	ds_store_b128 v190, v[0:3]
	s_wait_dscnt 0x0
	s_barrier_signal -1
	s_barrier_wait -1
	s_and_saveexec_b32 s74, s81
	s_cbranch_execz .LBB62_2
; %bb.118:                              ;   in Loop: Header=BB62_4 Depth=1
	ds_load_b128 v[0:3], v170 offset:1072
	ds_load_b128 v[4:7], v170
	s_wait_dscnt 0x0
	v_add_f64_e32 v[8:9], v[0:1], v[4:5]
	v_add_f64_e32 v[10:11], v[2:3], v[6:7]
	ds_load_b128 v[0:3], v170 offset:2144
	ds_load_b128 v[4:7], v170 offset:3216
	s_wait_dscnt 0x1
	v_add_f64_e32 v[0:1], v[8:9], v[0:1]
	v_add_f64_e32 v[2:3], v[10:11], v[2:3]
	s_wait_dscnt 0x0
	s_delay_alu instid0(VALU_DEP_2) | instskip(NEXT) | instid1(VALU_DEP_2)
	v_add_f64_e32 v[0:1], v[0:1], v[4:5]
	v_add_f64_e32 v[2:3], v[2:3], v[6:7]
	v_lshl_add_u64 v[4:5], v[154:155], 4, s[72:73]
	global_store_b128 v[4:5], v[0:3], off
	s_branch .LBB62_2
.LBB62_119:                             ;   in Loop: Header=BB62_4 Depth=1
	flat_load_b128 v[6:9], v[0:1]
	s_wait_loadcnt_dscnt 0x0
	ds_store_2addr_b64 v172, v[6:7], v[8:9] offset1:1
	s_wait_xcnt 0x0
	s_or_b32 exec_lo, exec_lo, s72
	s_and_saveexec_b32 s72, s4
	s_delay_alu instid0(SALU_CYCLE_1)
	s_xor_b32 s72, exec_lo, s72
	s_cbranch_execz .LBB62_19
.LBB62_120:                             ;   in Loop: Header=BB62_4 Depth=1
	v_dual_mov_b32 v6, v151 :: v_dual_mov_b32 v7, v151
	v_dual_mov_b32 v8, v151 :: v_dual_mov_b32 v9, v151
	ds_store_b128 v173, v[6:9]
	s_and_not1_saveexec_b32 s72, s72
	s_cbranch_execz .LBB62_20
.LBB62_121:                             ;   in Loop: Header=BB62_4 Depth=1
	v_lshl_add_u64 v[2:3], s[42:43], 4, v[0:1]
	flat_load_b128 v[6:9], v[2:3]
	s_wait_loadcnt_dscnt 0x0
	ds_store_2addr_b64 v173, v[6:7], v[8:9] offset1:1
	s_wait_xcnt 0x0
	s_or_b32 exec_lo, exec_lo, s72
	s_and_saveexec_b32 s72, s5
	s_delay_alu instid0(SALU_CYCLE_1)
	s_xor_b32 s72, exec_lo, s72
	s_cbranch_execz .LBB62_21
.LBB62_122:                             ;   in Loop: Header=BB62_4 Depth=1
	v_dual_mov_b32 v6, v151 :: v_dual_mov_b32 v7, v151
	v_dual_mov_b32 v8, v151 :: v_dual_mov_b32 v9, v151
	ds_store_b128 v174, v[6:9]
	s_and_not1_saveexec_b32 s72, s72
	s_cbranch_execz .LBB62_22
.LBB62_123:                             ;   in Loop: Header=BB62_4 Depth=1
	v_lshl_add_u64 v[2:3], s[46:47], 4, v[0:1]
	flat_load_b128 v[6:9], v[2:3]
	s_wait_loadcnt_dscnt 0x0
	ds_store_2addr_b64 v174, v[6:7], v[8:9] offset1:1
	s_wait_xcnt 0x0
	s_or_b32 exec_lo, exec_lo, s72
	s_and_saveexec_b32 s72, s6
	s_delay_alu instid0(SALU_CYCLE_1)
	s_xor_b32 s72, exec_lo, s72
	s_cbranch_execz .LBB62_23
.LBB62_124:                             ;   in Loop: Header=BB62_4 Depth=1
	v_dual_mov_b32 v6, v151 :: v_dual_mov_b32 v7, v151
	v_dual_mov_b32 v8, v151 :: v_dual_mov_b32 v9, v151
	ds_store_b128 v175, v[6:9]
	s_and_not1_saveexec_b32 s72, s72
	s_cbranch_execnz .LBB62_24
	s_branch .LBB62_25
.LBB62_125:                             ;   in Loop: Header=BB62_4 Depth=1
	flat_load_b128 v[10:13], v[4:5]
	s_wait_loadcnt_dscnt 0x0
	ds_store_2addr_b64 v172, v[10:11], v[12:13] offset1:1
	s_wait_xcnt 0x0
	s_or_b32 exec_lo, exec_lo, s72
	s_and_saveexec_b32 s72, s18
	s_delay_alu instid0(SALU_CYCLE_1)
	s_xor_b32 s72, exec_lo, s72
	s_cbranch_execz .LBB62_59
.LBB62_126:                             ;   in Loop: Header=BB62_4 Depth=1
	v_dual_mov_b32 v10, v151 :: v_dual_mov_b32 v11, v151
	v_dual_mov_b32 v12, v151 :: v_dual_mov_b32 v13, v151
	ds_store_b128 v173, v[10:13]
	s_and_not1_saveexec_b32 s72, s72
	s_cbranch_execz .LBB62_60
.LBB62_127:                             ;   in Loop: Header=BB62_4 Depth=1
	v_lshl_add_u64 v[6:7], s[42:43], 4, v[4:5]
	flat_load_b128 v[10:13], v[6:7]
	s_wait_loadcnt_dscnt 0x0
	ds_store_2addr_b64 v173, v[10:11], v[12:13] offset1:1
	s_wait_xcnt 0x0
	s_or_b32 exec_lo, exec_lo, s72
	s_and_saveexec_b32 s72, s19
	s_delay_alu instid0(SALU_CYCLE_1)
	s_xor_b32 s72, exec_lo, s72
	s_cbranch_execz .LBB62_61
.LBB62_128:                             ;   in Loop: Header=BB62_4 Depth=1
	v_dual_mov_b32 v10, v151 :: v_dual_mov_b32 v11, v151
	v_dual_mov_b32 v12, v151 :: v_dual_mov_b32 v13, v151
	ds_store_b128 v174, v[10:13]
	s_and_not1_saveexec_b32 s72, s72
	s_cbranch_execz .LBB62_62
.LBB62_129:                             ;   in Loop: Header=BB62_4 Depth=1
	v_lshl_add_u64 v[6:7], s[46:47], 4, v[4:5]
	flat_load_b128 v[10:13], v[6:7]
	s_wait_loadcnt_dscnt 0x0
	ds_store_2addr_b64 v174, v[10:11], v[12:13] offset1:1
	s_wait_xcnt 0x0
	s_or_b32 exec_lo, exec_lo, s72
	s_and_saveexec_b32 s72, s20
	s_delay_alu instid0(SALU_CYCLE_1)
	s_xor_b32 s72, exec_lo, s72
	s_cbranch_execz .LBB62_63
.LBB62_130:                             ;   in Loop: Header=BB62_4 Depth=1
	v_dual_mov_b32 v10, v151 :: v_dual_mov_b32 v11, v151
	v_dual_mov_b32 v12, v151 :: v_dual_mov_b32 v13, v151
	ds_store_b128 v175, v[10:13]
	s_and_not1_saveexec_b32 s72, s72
	s_cbranch_execnz .LBB62_64
	s_branch .LBB62_65
.LBB62_131:                             ;   in Loop: Header=BB62_4 Depth=1
	flat_load_b128 v[6:9], v[4:5]
	s_wait_loadcnt_dscnt 0x0
	ds_store_2addr_b64 v172, v[6:7], v[8:9] offset1:1
	s_wait_xcnt 0x0
	s_or_b32 exec_lo, exec_lo, s72
	s_and_saveexec_b32 s72, s4
	s_delay_alu instid0(SALU_CYCLE_1)
	s_xor_b32 s72, exec_lo, s72
	s_cbranch_execz .LBB62_99
.LBB62_132:                             ;   in Loop: Header=BB62_4 Depth=1
	v_dual_mov_b32 v6, v151 :: v_dual_mov_b32 v7, v151
	v_dual_mov_b32 v8, v151 :: v_dual_mov_b32 v9, v151
	ds_store_b128 v173, v[6:9]
	s_and_not1_saveexec_b32 s72, s72
	s_cbranch_execz .LBB62_100
.LBB62_133:                             ;   in Loop: Header=BB62_4 Depth=1
	v_lshl_add_u64 v[6:7], s[42:43], 4, v[4:5]
	flat_load_b128 v[6:9], v[6:7]
	s_wait_loadcnt_dscnt 0x0
	ds_store_2addr_b64 v173, v[6:7], v[8:9] offset1:1
	s_wait_xcnt 0x0
	s_or_b32 exec_lo, exec_lo, s72
	s_and_saveexec_b32 s72, s5
	s_delay_alu instid0(SALU_CYCLE_1)
	s_xor_b32 s72, exec_lo, s72
	s_cbranch_execz .LBB62_101
.LBB62_134:                             ;   in Loop: Header=BB62_4 Depth=1
	v_dual_mov_b32 v6, v151 :: v_dual_mov_b32 v7, v151
	v_dual_mov_b32 v8, v151 :: v_dual_mov_b32 v9, v151
	ds_store_b128 v174, v[6:9]
	s_and_not1_saveexec_b32 s72, s72
	s_cbranch_execz .LBB62_102
.LBB62_135:                             ;   in Loop: Header=BB62_4 Depth=1
	v_lshl_add_u64 v[6:7], s[46:47], 4, v[4:5]
	flat_load_b128 v[6:9], v[6:7]
	s_wait_loadcnt_dscnt 0x0
	ds_store_2addr_b64 v174, v[6:7], v[8:9] offset1:1
	s_wait_xcnt 0x0
	s_or_b32 exec_lo, exec_lo, s72
	s_and_saveexec_b32 s72, s6
	s_delay_alu instid0(SALU_CYCLE_1)
	s_xor_b32 s72, exec_lo, s72
	s_cbranch_execz .LBB62_103
.LBB62_136:                             ;   in Loop: Header=BB62_4 Depth=1
	v_dual_mov_b32 v6, v151 :: v_dual_mov_b32 v7, v151
	v_dual_mov_b32 v8, v151 :: v_dual_mov_b32 v9, v151
	ds_store_b128 v175, v[6:9]
	s_and_not1_saveexec_b32 s72, s72
	s_cbranch_execnz .LBB62_104
	s_branch .LBB62_105
.LBB62_137:
	s_sendmsg sendmsg(MSG_DEALLOC_VGPRS)
	s_endpgm
	.section	.rodata,"a",@progbits
	.p2align	6, 0x0
	.amdhsa_kernel _ZL26rocblas_hemvn_kernel_lowerILb1ELi64ELi4ELi33ELi32ELi16Ei19rocblas_complex_numIdEPKPKS1_PS1_EviT6_lT7_lT5_lS8_lS9_lS7_lT8_i
		.amdhsa_group_segment_fixed_size 19200
		.amdhsa_private_segment_fixed_size 0
		.amdhsa_kernarg_size 392
		.amdhsa_user_sgpr_count 2
		.amdhsa_user_sgpr_dispatch_ptr 0
		.amdhsa_user_sgpr_queue_ptr 0
		.amdhsa_user_sgpr_kernarg_segment_ptr 1
		.amdhsa_user_sgpr_dispatch_id 0
		.amdhsa_user_sgpr_kernarg_preload_length 0
		.amdhsa_user_sgpr_kernarg_preload_offset 0
		.amdhsa_user_sgpr_private_segment_size 0
		.amdhsa_wavefront_size32 1
		.amdhsa_uses_dynamic_stack 0
		.amdhsa_enable_private_segment 0
		.amdhsa_system_sgpr_workgroup_id_x 1
		.amdhsa_system_sgpr_workgroup_id_y 0
		.amdhsa_system_sgpr_workgroup_id_z 1
		.amdhsa_system_sgpr_workgroup_info 0
		.amdhsa_system_vgpr_workitem_id 1
		.amdhsa_next_free_vgpr 246
		.amdhsa_next_free_sgpr 84
		.amdhsa_named_barrier_count 0
		.amdhsa_reserve_vcc 1
		.amdhsa_float_round_mode_32 0
		.amdhsa_float_round_mode_16_64 0
		.amdhsa_float_denorm_mode_32 3
		.amdhsa_float_denorm_mode_16_64 3
		.amdhsa_fp16_overflow 0
		.amdhsa_memory_ordered 1
		.amdhsa_forward_progress 1
		.amdhsa_inst_pref_size 67
		.amdhsa_round_robin_scheduling 0
		.amdhsa_exception_fp_ieee_invalid_op 0
		.amdhsa_exception_fp_denorm_src 0
		.amdhsa_exception_fp_ieee_div_zero 0
		.amdhsa_exception_fp_ieee_overflow 0
		.amdhsa_exception_fp_ieee_underflow 0
		.amdhsa_exception_fp_ieee_inexact 0
		.amdhsa_exception_int_div_zero 0
	.end_amdhsa_kernel
	.section	.text._ZL26rocblas_hemvn_kernel_lowerILb1ELi64ELi4ELi33ELi32ELi16Ei19rocblas_complex_numIdEPKPKS1_PS1_EviT6_lT7_lT5_lS8_lS9_lS7_lT8_i,"axG",@progbits,_ZL26rocblas_hemvn_kernel_lowerILb1ELi64ELi4ELi33ELi32ELi16Ei19rocblas_complex_numIdEPKPKS1_PS1_EviT6_lT7_lT5_lS8_lS9_lS7_lT8_i,comdat
.Lfunc_end62:
	.size	_ZL26rocblas_hemvn_kernel_lowerILb1ELi64ELi4ELi33ELi32ELi16Ei19rocblas_complex_numIdEPKPKS1_PS1_EviT6_lT7_lT5_lS8_lS9_lS7_lT8_i, .Lfunc_end62-_ZL26rocblas_hemvn_kernel_lowerILb1ELi64ELi4ELi33ELi32ELi16Ei19rocblas_complex_numIdEPKPKS1_PS1_EviT6_lT7_lT5_lS8_lS9_lS7_lT8_i
                                        ; -- End function
	.set _ZL26rocblas_hemvn_kernel_lowerILb1ELi64ELi4ELi33ELi32ELi16Ei19rocblas_complex_numIdEPKPKS1_PS1_EviT6_lT7_lT5_lS8_lS9_lS7_lT8_i.num_vgpr, 246
	.set _ZL26rocblas_hemvn_kernel_lowerILb1ELi64ELi4ELi33ELi32ELi16Ei19rocblas_complex_numIdEPKPKS1_PS1_EviT6_lT7_lT5_lS8_lS9_lS7_lT8_i.num_agpr, 0
	.set _ZL26rocblas_hemvn_kernel_lowerILb1ELi64ELi4ELi33ELi32ELi16Ei19rocblas_complex_numIdEPKPKS1_PS1_EviT6_lT7_lT5_lS8_lS9_lS7_lT8_i.numbered_sgpr, 84
	.set _ZL26rocblas_hemvn_kernel_lowerILb1ELi64ELi4ELi33ELi32ELi16Ei19rocblas_complex_numIdEPKPKS1_PS1_EviT6_lT7_lT5_lS8_lS9_lS7_lT8_i.num_named_barrier, 0
	.set _ZL26rocblas_hemvn_kernel_lowerILb1ELi64ELi4ELi33ELi32ELi16Ei19rocblas_complex_numIdEPKPKS1_PS1_EviT6_lT7_lT5_lS8_lS9_lS7_lT8_i.private_seg_size, 0
	.set _ZL26rocblas_hemvn_kernel_lowerILb1ELi64ELi4ELi33ELi32ELi16Ei19rocblas_complex_numIdEPKPKS1_PS1_EviT6_lT7_lT5_lS8_lS9_lS7_lT8_i.uses_vcc, 1
	.set _ZL26rocblas_hemvn_kernel_lowerILb1ELi64ELi4ELi33ELi32ELi16Ei19rocblas_complex_numIdEPKPKS1_PS1_EviT6_lT7_lT5_lS8_lS9_lS7_lT8_i.uses_flat_scratch, 1
	.set _ZL26rocblas_hemvn_kernel_lowerILb1ELi64ELi4ELi33ELi32ELi16Ei19rocblas_complex_numIdEPKPKS1_PS1_EviT6_lT7_lT5_lS8_lS9_lS7_lT8_i.has_dyn_sized_stack, 0
	.set _ZL26rocblas_hemvn_kernel_lowerILb1ELi64ELi4ELi33ELi32ELi16Ei19rocblas_complex_numIdEPKPKS1_PS1_EviT6_lT7_lT5_lS8_lS9_lS7_lT8_i.has_recursion, 0
	.set _ZL26rocblas_hemvn_kernel_lowerILb1ELi64ELi4ELi33ELi32ELi16Ei19rocblas_complex_numIdEPKPKS1_PS1_EviT6_lT7_lT5_lS8_lS9_lS7_lT8_i.has_indirect_call, 0
	.section	.AMDGPU.csdata,"",@progbits
; Kernel info:
; codeLenInByte = 8528
; TotalNumSgprs: 86
; NumVgprs: 246
; ScratchSize: 0
; MemoryBound: 0
; FloatMode: 240
; IeeeMode: 1
; LDSByteSize: 19200 bytes/workgroup (compile time only)
; SGPRBlocks: 0
; VGPRBlocks: 15
; NumSGPRsForWavesPerEU: 86
; NumVGPRsForWavesPerEU: 246
; NamedBarCnt: 0
; Occupancy: 4
; WaveLimiterHint : 1
; COMPUTE_PGM_RSRC2:SCRATCH_EN: 0
; COMPUTE_PGM_RSRC2:USER_SGPR: 2
; COMPUTE_PGM_RSRC2:TRAP_HANDLER: 0
; COMPUTE_PGM_RSRC2:TGID_X_EN: 1
; COMPUTE_PGM_RSRC2:TGID_Y_EN: 0
; COMPUTE_PGM_RSRC2:TGID_Z_EN: 1
; COMPUTE_PGM_RSRC2:TIDIG_COMP_CNT: 1
	.section	.text._ZL36rocblas_hemvn_kernel_lower_block_sumILi64Ei19rocblas_complex_numIdEPKPS1_S1_EviT1_lS5_lT2_lT0_lPT3_i,"axG",@progbits,_ZL36rocblas_hemvn_kernel_lower_block_sumILi64Ei19rocblas_complex_numIdEPKPS1_S1_EviT1_lS5_lT2_lT0_lPT3_i,comdat
	.globl	_ZL36rocblas_hemvn_kernel_lower_block_sumILi64Ei19rocblas_complex_numIdEPKPS1_S1_EviT1_lS5_lT2_lT0_lPT3_i ; -- Begin function _ZL36rocblas_hemvn_kernel_lower_block_sumILi64Ei19rocblas_complex_numIdEPKPS1_S1_EviT1_lS5_lT2_lT0_lPT3_i
	.p2align	8
	.type	_ZL36rocblas_hemvn_kernel_lower_block_sumILi64Ei19rocblas_complex_numIdEPKPS1_S1_EviT1_lS5_lT2_lT0_lPT3_i,@function
_ZL36rocblas_hemvn_kernel_lower_block_sumILi64Ei19rocblas_complex_numIdEPKPS1_S1_EviT1_lS5_lT2_lT0_lPT3_i: ; @_ZL36rocblas_hemvn_kernel_lower_block_sumILi64Ei19rocblas_complex_numIdEPKPS1_S1_EviT1_lS5_lT2_lT0_lPT3_i
; %bb.0:
	s_load_b32 s24, s[0:1], 0x60
	s_bfe_u32 s2, ttmp6, 0x40014
	s_lshr_b32 s3, ttmp7, 16
	s_add_co_i32 s2, s2, 1
	s_bfe_u32 s4, ttmp6, 0x40008
	s_mul_i32 s2, s3, s2
	s_getreg_b32 s12, hwreg(HW_REG_IB_STS2, 6, 4)
	s_add_co_i32 s4, s4, s2
	s_cmp_eq_u32 s12, 0
	s_cselect_b32 s2, s3, s4
	s_mov_b32 s3, 0
	s_wait_kmcnt 0x0
	s_cmp_ge_u32 s2, s24
	s_cbranch_scc1 .LBB63_24
; %bb.1:
	s_clause 0x3
	s_load_b128 s[4:7], s[0:1], 0x8
	s_load_b32 s17, s[0:1], 0x48
	s_load_b128 s[8:11], s[0:1], 0x20
	s_load_b32 s18, s[0:1], 0x0
	s_bfe_u32 s15, ttmp6, 0x4000c
	s_and_b32 s16, ttmp6, 15
	s_add_co_i32 s15, s15, 1
	s_load_b64 s[20:21], s[0:1], 0x58
	s_mul_i32 s15, ttmp9, s15
	s_delay_alu instid0(SALU_CYCLE_1)
	s_add_co_i32 s16, s16, s15
	s_wait_kmcnt 0x0
	v_cmp_neq_f64_e64 s13, s[4:5], 0
	v_cmp_neq_f64_e64 s14, s[6:7], 0
	v_cmp_neq_f64_e64 s22, s[8:9], 1.0
	v_cmp_neq_f64_e64 s23, s[10:11], 0
	v_cmp_neq_f64_e64 s28, s[8:9], 0
	s_or_b32 s27, s13, s14
	s_delay_alu instid0(SALU_CYCLE_1)
	s_xor_b32 s25, s27, -1
	s_cmp_eq_u32 s12, 0
	s_load_b128 s[12:15], s[0:1], 0x38
	s_cselect_b32 s26, ttmp9, s16
	s_ashr_i32 s19, s18, 31
	v_lshl_or_b32 v2, s26, 6, v0
	s_delay_alu instid0(VALU_DEP_1) | instskip(SKIP_4) | instid1(SALU_CYCLE_1)
	v_mad_u32 v0, s18, s26, v2
	v_mul_lo_u32 v4, s17, v2
	s_add_nc_u64 s[16:17], s[0:1], 0x68
	s_wait_xcnt 0x0
	s_or_b32 s0, s27, s22
	s_or_b32 s1, s0, s23
	v_cmp_gt_i32_e64 s0, s18, v2
	s_lshl_b64 s[18:19], s[18:19], 4
	v_ashrrev_i32_e32 v1, 31, v0
	v_ashrrev_i32_e32 v5, 31, v4
	s_wait_kmcnt 0x0
	s_lshl_b64 s[14:15], s[14:15], 4
	s_delay_alu instid0(VALU_DEP_2) | instskip(SKIP_1) | instid1(SALU_CYCLE_1)
	v_lshl_add_u64 v[0:1], v[0:1], 4, s[20:21]
	s_or_b32 s20, s28, s23
	v_cndmask_b32_e64 v10, 0, 1, s20
	s_xor_b32 s27, s20, -1
	s_delay_alu instid0(VALU_DEP_2)
	v_add_nc_u64_e32 v[6:7], 8, v[0:1]
	s_branch .LBB63_4
.LBB63_2:                               ;   in Loop: Header=BB63_4 Depth=1
	s_wait_xcnt 0x0
	s_or_b32 exec_lo, exec_lo, s22
.LBB63_3:                               ;   in Loop: Header=BB63_4 Depth=1
	s_add_co_i32 s2, s2, 0x10000
	s_delay_alu instid0(SALU_CYCLE_1)
	s_cmp_lt_u32 s2, s24
	s_cbranch_scc0 .LBB63_24
.LBB63_4:                               ; =>This Loop Header: Depth=1
                                        ;     Child Loop BB63_15 Depth 2
	s_and_not1_b32 vcc_lo, exec_lo, s1
	s_cbranch_vccnz .LBB63_3
; %bb.5:                                ;   in Loop: Header=BB63_4 Depth=1
	s_lshl_b64 s[20:21], s[2:3], 3
	s_and_not1_b32 vcc_lo, exec_lo, s25
	s_add_nc_u64 s[20:21], s[12:13], s[20:21]
	s_load_b64 s[20:21], s[20:21], 0x0
	s_wait_kmcnt 0x0
	s_wait_xcnt 0x0
	s_add_nc_u64 s[20:21], s[20:21], s[14:15]
	s_cbranch_vccnz .LBB63_10
; %bb.6:                                ;   in Loop: Header=BB63_4 Depth=1
	s_mov_b32 s22, 0
	s_mov_b32 s28, 0
                                        ; implicit-def: $vgpr2_vgpr3
	s_and_saveexec_b32 s23, s0
	s_cbranch_execz .LBB63_11
; %bb.7:                                ;   in Loop: Header=BB63_4 Depth=1
	v_mov_b64_e32 v[2:3], 0
	v_cmp_ne_u32_e32 vcc_lo, 1, v10
	v_mov_b64_e32 v[0:1], 0
	s_cbranch_vccnz .LBB63_9
; %bb.8:                                ;   in Loop: Header=BB63_4 Depth=1
	v_lshl_add_u64 v[0:1], v[4:5], 4, s[20:21]
	flat_load_b128 v[12:15], v[0:1]
	s_wait_loadcnt_dscnt 0x0
	s_wait_xcnt 0x0
	v_mul_f64_e32 v[0:1], s[10:11], v[14:15]
	v_mul_f64_e32 v[2:3], s[8:9], v[14:15]
	s_delay_alu instid0(VALU_DEP_2) | instskip(NEXT) | instid1(VALU_DEP_2)
	v_fma_f64 v[0:1], s[8:9], v[12:13], -v[0:1]
	v_fmac_f64_e32 v[2:3], s[10:11], v[12:13]
.LBB63_9:                               ;   in Loop: Header=BB63_4 Depth=1
	s_mov_b32 s28, exec_lo
	s_or_b32 exec_lo, exec_lo, s23
	s_delay_alu instid0(SALU_CYCLE_1)
	s_and_b32 vcc_lo, exec_lo, s22
	s_cbranch_vccnz .LBB63_12
	s_branch .LBB63_22
.LBB63_10:                              ;   in Loop: Header=BB63_4 Depth=1
	s_mov_b32 s28, 0
                                        ; implicit-def: $vgpr2_vgpr3
	s_cbranch_execnz .LBB63_12
	s_branch .LBB63_22
.LBB63_11:                              ;   in Loop: Header=BB63_4 Depth=1
	s_or_b32 exec_lo, exec_lo, s23
	s_delay_alu instid0(SALU_CYCLE_1)
	s_and_b32 vcc_lo, exec_lo, s22
	s_cbranch_vccz .LBB63_22
.LBB63_12:                              ;   in Loop: Header=BB63_4 Depth=1
                                        ; implicit-def: $vgpr2_vgpr3
	s_and_saveexec_b32 s29, s0
	s_cbranch_execz .LBB63_21
; %bb.13:                               ;   in Loop: Header=BB63_4 Depth=1
	s_load_b32 s22, s[16:17], 0x0
	v_mov_b64_e32 v[0:1], 0
	v_mov_b64_e32 v[8:9], 0
	s_wait_kmcnt 0x0
	s_cmp_ge_i32 s26, s22
	s_cbranch_scc1 .LBB63_16
; %bb.14:                               ;   in Loop: Header=BB63_4 Depth=1
	s_mov_b32 s23, s3
	v_mov_b64_e32 v[0:1], 0
	s_mul_u64 s[30:31], s[18:19], s[22:23]
	v_mov_b64_e32 v[8:9], 0
	v_mad_nc_u64_u32 v[2:3], s30, s2, v[6:7]
	s_mov_b32 s23, s26
	s_delay_alu instid0(VALU_DEP_1)
	v_mad_u32 v3, s31, s2, v3
.LBB63_15:                              ;   Parent Loop BB63_4 Depth=1
                                        ; =>  This Inner Loop Header: Depth=2
	global_load_b128 v[12:15], v[2:3], off offset:-8
	s_wait_xcnt 0x0
	v_add_nc_u64_e32 v[2:3], s[18:19], v[2:3]
	s_add_co_i32 s23, s23, 1
	s_delay_alu instid0(SALU_CYCLE_1)
	s_cmp_ge_i32 s23, s22
	s_wait_loadcnt 0x0
	v_add_f64_e32 v[8:9], v[8:9], v[12:13]
	v_add_f64_e32 v[0:1], v[0:1], v[14:15]
	s_cbranch_scc0 .LBB63_15
.LBB63_16:                              ;   in Loop: Header=BB63_4 Depth=1
	s_delay_alu instid0(VALU_DEP_1) | instskip(SKIP_3) | instid1(VALU_DEP_2)
	v_mul_f64_e32 v[12:13], s[6:7], v[0:1]
	v_mul_f64_e32 v[2:3], s[4:5], v[0:1]
	s_and_b32 vcc_lo, exec_lo, s27
	s_mov_b32 s22, -1
	v_fma_f64 v[0:1], s[4:5], v[8:9], -v[12:13]
	s_delay_alu instid0(VALU_DEP_2)
	v_fmac_f64_e32 v[2:3], s[6:7], v[8:9]
	s_cbranch_vccz .LBB63_18
; %bb.17:                               ;   in Loop: Header=BB63_4 Depth=1
	s_mov_b32 s22, 0
.LBB63_18:                              ;   in Loop: Header=BB63_4 Depth=1
	s_delay_alu instid0(SALU_CYCLE_1)
	s_and_not1_b32 vcc_lo, exec_lo, s22
	s_cbranch_vccnz .LBB63_20
; %bb.19:                               ;   in Loop: Header=BB63_4 Depth=1
	v_lshl_add_u64 v[8:9], v[4:5], 4, s[20:21]
	flat_load_b128 v[12:15], v[8:9]
	s_wait_loadcnt_dscnt 0x0
	s_wait_xcnt 0x0
	v_mul_f64_e32 v[8:9], s[10:11], v[14:15]
	v_mul_f64_e32 v[14:15], s[8:9], v[14:15]
	s_delay_alu instid0(VALU_DEP_2) | instskip(NEXT) | instid1(VALU_DEP_2)
	v_fma_f64 v[8:9], s[8:9], v[12:13], -v[8:9]
	v_fmac_f64_e32 v[14:15], s[10:11], v[12:13]
	s_delay_alu instid0(VALU_DEP_2) | instskip(NEXT) | instid1(VALU_DEP_2)
	v_add_f64_e32 v[0:1], v[0:1], v[8:9]
	v_add_f64_e32 v[2:3], v[2:3], v[14:15]
.LBB63_20:                              ;   in Loop: Header=BB63_4 Depth=1
	s_or_b32 s28, s28, exec_lo
.LBB63_21:                              ;   in Loop: Header=BB63_4 Depth=1
	s_or_b32 exec_lo, exec_lo, s29
.LBB63_22:                              ;   in Loop: Header=BB63_4 Depth=1
	s_and_saveexec_b32 s22, s28
	s_cbranch_execz .LBB63_2
; %bb.23:                               ;   in Loop: Header=BB63_4 Depth=1
	v_lshl_add_u64 v[8:9], v[4:5], 4, s[20:21]
	flat_store_b128 v[8:9], v[0:3]
	s_branch .LBB63_2
.LBB63_24:
	s_endpgm
	.section	.rodata,"a",@progbits
	.p2align	6, 0x0
	.amdhsa_kernel _ZL36rocblas_hemvn_kernel_lower_block_sumILi64Ei19rocblas_complex_numIdEPKPS1_S1_EviT1_lS5_lT2_lT0_lPT3_i
		.amdhsa_group_segment_fixed_size 0
		.amdhsa_private_segment_fixed_size 0
		.amdhsa_kernarg_size 360
		.amdhsa_user_sgpr_count 2
		.amdhsa_user_sgpr_dispatch_ptr 0
		.amdhsa_user_sgpr_queue_ptr 0
		.amdhsa_user_sgpr_kernarg_segment_ptr 1
		.amdhsa_user_sgpr_dispatch_id 0
		.amdhsa_user_sgpr_kernarg_preload_length 0
		.amdhsa_user_sgpr_kernarg_preload_offset 0
		.amdhsa_user_sgpr_private_segment_size 0
		.amdhsa_wavefront_size32 1
		.amdhsa_uses_dynamic_stack 0
		.amdhsa_enable_private_segment 0
		.amdhsa_system_sgpr_workgroup_id_x 1
		.amdhsa_system_sgpr_workgroup_id_y 0
		.amdhsa_system_sgpr_workgroup_id_z 1
		.amdhsa_system_sgpr_workgroup_info 0
		.amdhsa_system_vgpr_workitem_id 0
		.amdhsa_next_free_vgpr 16
		.amdhsa_next_free_sgpr 32
		.amdhsa_named_barrier_count 0
		.amdhsa_reserve_vcc 1
		.amdhsa_float_round_mode_32 0
		.amdhsa_float_round_mode_16_64 0
		.amdhsa_float_denorm_mode_32 3
		.amdhsa_float_denorm_mode_16_64 3
		.amdhsa_fp16_overflow 0
		.amdhsa_memory_ordered 1
		.amdhsa_forward_progress 1
		.amdhsa_inst_pref_size 7
		.amdhsa_round_robin_scheduling 0
		.amdhsa_exception_fp_ieee_invalid_op 0
		.amdhsa_exception_fp_denorm_src 0
		.amdhsa_exception_fp_ieee_div_zero 0
		.amdhsa_exception_fp_ieee_overflow 0
		.amdhsa_exception_fp_ieee_underflow 0
		.amdhsa_exception_fp_ieee_inexact 0
		.amdhsa_exception_int_div_zero 0
	.end_amdhsa_kernel
	.section	.text._ZL36rocblas_hemvn_kernel_lower_block_sumILi64Ei19rocblas_complex_numIdEPKPS1_S1_EviT1_lS5_lT2_lT0_lPT3_i,"axG",@progbits,_ZL36rocblas_hemvn_kernel_lower_block_sumILi64Ei19rocblas_complex_numIdEPKPS1_S1_EviT1_lS5_lT2_lT0_lPT3_i,comdat
.Lfunc_end63:
	.size	_ZL36rocblas_hemvn_kernel_lower_block_sumILi64Ei19rocblas_complex_numIdEPKPS1_S1_EviT1_lS5_lT2_lT0_lPT3_i, .Lfunc_end63-_ZL36rocblas_hemvn_kernel_lower_block_sumILi64Ei19rocblas_complex_numIdEPKPS1_S1_EviT1_lS5_lT2_lT0_lPT3_i
                                        ; -- End function
	.set _ZL36rocblas_hemvn_kernel_lower_block_sumILi64Ei19rocblas_complex_numIdEPKPS1_S1_EviT1_lS5_lT2_lT0_lPT3_i.num_vgpr, 16
	.set _ZL36rocblas_hemvn_kernel_lower_block_sumILi64Ei19rocblas_complex_numIdEPKPS1_S1_EviT1_lS5_lT2_lT0_lPT3_i.num_agpr, 0
	.set _ZL36rocblas_hemvn_kernel_lower_block_sumILi64Ei19rocblas_complex_numIdEPKPS1_S1_EviT1_lS5_lT2_lT0_lPT3_i.numbered_sgpr, 32
	.set _ZL36rocblas_hemvn_kernel_lower_block_sumILi64Ei19rocblas_complex_numIdEPKPS1_S1_EviT1_lS5_lT2_lT0_lPT3_i.num_named_barrier, 0
	.set _ZL36rocblas_hemvn_kernel_lower_block_sumILi64Ei19rocblas_complex_numIdEPKPS1_S1_EviT1_lS5_lT2_lT0_lPT3_i.private_seg_size, 0
	.set _ZL36rocblas_hemvn_kernel_lower_block_sumILi64Ei19rocblas_complex_numIdEPKPS1_S1_EviT1_lS5_lT2_lT0_lPT3_i.uses_vcc, 1
	.set _ZL36rocblas_hemvn_kernel_lower_block_sumILi64Ei19rocblas_complex_numIdEPKPS1_S1_EviT1_lS5_lT2_lT0_lPT3_i.uses_flat_scratch, 0
	.set _ZL36rocblas_hemvn_kernel_lower_block_sumILi64Ei19rocblas_complex_numIdEPKPS1_S1_EviT1_lS5_lT2_lT0_lPT3_i.has_dyn_sized_stack, 0
	.set _ZL36rocblas_hemvn_kernel_lower_block_sumILi64Ei19rocblas_complex_numIdEPKPS1_S1_EviT1_lS5_lT2_lT0_lPT3_i.has_recursion, 0
	.set _ZL36rocblas_hemvn_kernel_lower_block_sumILi64Ei19rocblas_complex_numIdEPKPS1_S1_EviT1_lS5_lT2_lT0_lPT3_i.has_indirect_call, 0
	.section	.AMDGPU.csdata,"",@progbits
; Kernel info:
; codeLenInByte = 828
; TotalNumSgprs: 34
; NumVgprs: 16
; ScratchSize: 0
; MemoryBound: 0
; FloatMode: 240
; IeeeMode: 1
; LDSByteSize: 0 bytes/workgroup (compile time only)
; SGPRBlocks: 0
; VGPRBlocks: 0
; NumSGPRsForWavesPerEU: 34
; NumVGPRsForWavesPerEU: 16
; NamedBarCnt: 0
; Occupancy: 16
; WaveLimiterHint : 1
; COMPUTE_PGM_RSRC2:SCRATCH_EN: 0
; COMPUTE_PGM_RSRC2:USER_SGPR: 2
; COMPUTE_PGM_RSRC2:TRAP_HANDLER: 0
; COMPUTE_PGM_RSRC2:TGID_X_EN: 1
; COMPUTE_PGM_RSRC2:TGID_Y_EN: 0
; COMPUTE_PGM_RSRC2:TGID_Z_EN: 1
; COMPUTE_PGM_RSRC2:TIDIG_COMP_CNT: 0
	.section	.text._ZL50rocblas_symv_kernel_upper_double_buffered_diagonalILi32ELi4E24rocblas_internal_val_ptrIfEPKfPfEvbiT1_lT2_lllS6_lllS5_lT3_llli,"axG",@progbits,_ZL50rocblas_symv_kernel_upper_double_buffered_diagonalILi32ELi4E24rocblas_internal_val_ptrIfEPKfPfEvbiT1_lT2_lllS6_lllS5_lT3_llli,comdat
	.globl	_ZL50rocblas_symv_kernel_upper_double_buffered_diagonalILi32ELi4E24rocblas_internal_val_ptrIfEPKfPfEvbiT1_lT2_lllS6_lllS5_lT3_llli ; -- Begin function _ZL50rocblas_symv_kernel_upper_double_buffered_diagonalILi32ELi4E24rocblas_internal_val_ptrIfEPKfPfEvbiT1_lT2_lllS6_lllS5_lT3_llli
	.p2align	8
	.type	_ZL50rocblas_symv_kernel_upper_double_buffered_diagonalILi32ELi4E24rocblas_internal_val_ptrIfEPKfPfEvbiT1_lT2_lllS6_lllS5_lT3_llli,@function
_ZL50rocblas_symv_kernel_upper_double_buffered_diagonalILi32ELi4E24rocblas_internal_val_ptrIfEPKfPfEvbiT1_lT2_lllS6_lllS5_lT3_llli: ; @_ZL50rocblas_symv_kernel_upper_double_buffered_diagonalILi32ELi4E24rocblas_internal_val_ptrIfEPKfPfEvbiT1_lT2_lllS6_lllS5_lT3_llli
; %bb.0:
	s_load_b64 s[4:5], s[0:1], 0x4
	s_clause 0x1
	s_load_b512 s[8:23], s[2:3], 0x8
	s_load_b256 s[24:31], s[2:3], 0x48
	v_bfe_u32 v6, v0, 10, 10
	s_load_b32 s33, s[2:3], 0x88
	v_and_b32_e32 v8, 0x3ff, v0
	v_bfe_u32 v0, v0, 20, 10
	s_wait_xcnt 0x0
	s_bfe_u32 s1, ttmp6, 0x40014
	s_lshr_b32 s0, ttmp7, 16
	s_add_co_i32 s1, s1, 1
	s_wait_kmcnt 0x0
	v_mul_u32_u24_e32 v1, s5, v6
	s_lshr_b32 s4, s4, 16
	v_dual_mov_b32 v2, s8 :: v_dual_mov_b32 v3, s9
	s_mul_i32 s4, s4, s5
	s_bfe_u32 s5, ttmp6, 0x40008
	v_mad_u32_u24 v1, s4, v8, v1
	s_mul_i32 s4, s0, s1
	s_getreg_b32 s1, hwreg(HW_REG_IB_STS2, 6, 4)
	s_add_co_i32 s5, s5, s4
	s_cmp_eq_u32 s1, 0
	v_add_lshl_u32 v0, v1, v0, 3
	v_dual_mov_b32 v4, s28 :: v_dual_mov_b32 v5, s29
	s_cselect_b32 s28, s0, s5
	s_mov_b32 s29, 0
	s_delay_alu instid0(VALU_DEP_2)
	v_add_nc_u32_e32 v1, 0x80, v0
	s_cmp_ge_u32 s28, s33
	ds_store_2addr_stride64_b64 v1, v[4:5], v[2:3] offset0:10 offset1:12
	s_cbranch_scc1 .LBB64_42
; %bb.1:
	s_load_b32 s36, s[2:3], 0x0
	v_dual_mov_b32 v9, 0 :: v_dual_add_nc_u32 v10, 0x1880, v0
	s_clause 0x2
	s_load_b64 s[8:9], s[2:3], 0x68
	s_load_b128 s[4:7], s[2:3], 0x70
	s_load_b64 s[34:35], s[2:3], 0x80
	v_add_nc_u32_e32 v11, 0x1480, v0
	v_dual_mov_b32 v7, v9 :: v_dual_lshlrev_b32 v22, 2, v8
	v_mul_u64_e32 v[4:5], s[24:25], v[8:9]
	s_wait_xcnt 0x0
	s_add_nc_u64 s[2:3], s[16:17], 1
	v_sub_co_u32 v15, s37, v8, v6
	v_mul_u64_e32 v[2:3], s[16:17], v[6:7]
	v_dual_lshlrev_b32 v7, 7, v6 :: v_dual_mov_b32 v23, v9
	v_lshl_add_u32 v14, v6, 5, v8
	v_cmp_eq_u32_e64 s0, 0, v6
	v_lshlrev_b32_e32 v6, 2, v6
	s_delay_alu instid0(VALU_DEP_4)
	v_add_nc_u32_e32 v16, 0x800, v7
	v_add_nc_u32_e32 v17, 0xa00, v7
	;; [unrolled: 1-line block ×3, first 2 shown]
	s_wait_kmcnt 0x0
	s_bitcmp1_b32 s36, 0
	v_add_nc_u32_e32 v19, 0xe00, v7
	s_cselect_b32 s36, -1, 0
	s_bfe_u32 s38, ttmp6, 0x4000c
	s_and_b32 s39, ttmp6, 15
	s_add_co_i32 s38, s38, 1
	s_lshl_b64 s[14:15], s[14:15], 2
	s_mul_i32 s38, ttmp9, s38
	s_lshl_b64 s[22:23], s[22:23], 2
	s_lshl_b64 s[4:5], s[4:5], 2
	s_xor_b32 s36, s36, -1
	s_add_co_i32 s39, s39, s38
	s_cmp_eq_u32 s1, 0
	v_mul_u64_e32 v[0:1], s[6:7], v[8:9]
	s_cselect_b32 s1, ttmp9, s39
	s_add_nc_u64 s[12:13], s[12:13], s[14:15]
	s_lshl_b32 s14, s1, 5
	s_add_nc_u64 s[4:5], s[8:9], s[4:5]
	s_ashr_i32 s15, s14, 31
	s_add_nc_u64 s[20:21], s[20:21], s[22:23]
	s_mul_u64 s[2:3], s[2:3], s[14:15]
	s_mul_u64 s[8:9], s[24:25], s[14:15]
	s_lshl_b64 s[2:3], s[2:3], 2
	s_mul_u64 s[6:7], s[6:7], s[14:15]
	s_add_nc_u64 s[2:3], s[12:13], s[2:3]
	s_lshl_b64 s[8:9], s[8:9], 2
	v_lshl_add_u64 v[12:13], v[2:3], 2, s[2:3]
	s_lshl_b64 s[2:3], s[6:7], 2
	s_add_nc_u64 s[6:7], s[20:21], s[8:9]
	v_cmp_gt_u32_e64 s1, 16, v8
	v_lshl_add_u64 v[2:3], v[4:5], 2, s[6:7]
	v_add_nc_u64_e32 v[4:5], v[12:13], v[22:23]
	v_sub_nc_u32_e32 v12, 0, v15
	v_mul_u32_u24_e32 v8, 0x7c, v8
	v_add_nc_u32_e32 v20, 0x200, v7
	v_add_nc_u32_e32 v21, 0x400, v7
	s_add_nc_u64 s[12:13], s[4:5], s[2:3]
	v_dual_add_nc_u32 v12, v22, v7 :: v_dual_max_i32 v13, v15, v12
	v_add_nc_u32_e32 v7, 0x600, v7
	v_add_nc_u32_e32 v9, 0x1400, v22
	v_add3_u32 v8, v22, v8, v6
	s_delay_alu instid0(VALU_DEP_4)
	v_cmp_lt_u32_e64 s2, 16, v13
	v_cmp_lt_u32_e64 s3, 20, v13
	;; [unrolled: 1-line block ×7, first 2 shown]
	v_add_nc_u32_e32 v13, 0x1400, v6
	v_lshl_add_u32 v14, v14, 2, 0x1000
	v_or_b32_e32 v15, 0x1000, v22
	v_dual_add_nc_u32 v16, v22, v16 :: v_dual_add_nc_u32 v17, v22, v17
	v_dual_add_nc_u32 v18, v22, v18 :: v_dual_add_nc_u32 v19, v22, v19
	;; [unrolled: 1-line block ×3, first 2 shown]
	v_add_nc_u32_e32 v22, v22, v7
	s_lshl_b64 s[14:15], s[16:17], 2
	s_lshl_b64 s[20:21], s[16:17], 6
	s_xor_b32 s24, s37, -1
	s_lshl_b64 s[16:17], s[16:17], 4
	s_branch .LBB64_4
.LBB64_2:                               ;   in Loop: Header=BB64_4 Depth=1
	s_wait_xcnt 0x0
	s_or_b32 exec_lo, exec_lo, s25
.LBB64_3:                               ;   in Loop: Header=BB64_4 Depth=1
	s_delay_alu instid0(SALU_CYCLE_1) | instskip(SKIP_1) | instid1(SALU_CYCLE_1)
	s_or_b32 exec_lo, exec_lo, s9
	s_add_co_i32 s28, s28, 0x10000
	s_cmp_lt_u32 s28, s33
	s_cbranch_scc0 .LBB64_42
.LBB64_4:                               ; =>This Inner Loop Header: Depth=1
	s_and_b32 vcc_lo, exec_lo, s36
	s_mov_b32 s9, -1
                                        ; implicit-def: $vgpr23
	s_cbranch_vccnz .LBB64_32
; %bb.5:                                ;   in Loop: Header=BB64_4 Depth=1
	s_and_not1_b32 vcc_lo, exec_lo, s9
	s_cbranch_vccz .LBB64_33
.LBB64_6:                               ;   in Loop: Header=BB64_4 Depth=1
	s_and_b32 vcc_lo, exec_lo, s36
	s_mov_b32 s9, -1
                                        ; implicit-def: $vgpr24
	s_cbranch_vccnz .LBB64_34
.LBB64_7:                               ;   in Loop: Header=BB64_4 Depth=1
	s_and_not1_b32 vcc_lo, exec_lo, s9
	s_cbranch_vccnz .LBB64_9
.LBB64_8:                               ;   in Loop: Header=BB64_4 Depth=1
	s_wait_loadcnt_dscnt 0x0
	ds_load_b32 v24, v11
.LBB64_9:                               ;   in Loop: Header=BB64_4 Depth=1
	s_wait_loadcnt_dscnt 0x0
	v_cmp_neq_f32_e32 vcc_lo, 0, v23
	v_cmp_neq_f32_e64 s9, 1.0, v24
	s_or_b32 s22, vcc_lo, s9
	s_wait_xcnt 0x0
	s_and_saveexec_b32 s9, s22
	s_cbranch_execz .LBB64_3
; %bb.10:                               ;   in Loop: Header=BB64_4 Depth=1
	s_mul_u64 s[22:23], s[34:35], s[28:29]
	s_mov_b32 s25, exec_lo
	s_lshl_b64 s[22:23], s[22:23], 2
	s_delay_alu instid0(SALU_CYCLE_1)
	s_add_nc_u64 s[22:23], s[12:13], s[22:23]
	v_cmpx_eq_f32_e32 0, v23
	s_xor_b32 s25, exec_lo, s25
	s_cbranch_execz .LBB64_14
; %bb.11:                               ;   in Loop: Header=BB64_4 Depth=1
	s_and_saveexec_b32 s37, s0
	s_cbranch_execz .LBB64_13
; %bb.12:                               ;   in Loop: Header=BB64_4 Depth=1
	v_lshl_add_u64 v[6:7], v[0:1], 2, s[22:23]
	global_load_b32 v23, v[6:7], off
	s_wait_loadcnt 0x0
	v_mul_f32_e32 v23, v24, v23
	global_store_b32 v[6:7], v23, off
.LBB64_13:                              ;   in Loop: Header=BB64_4 Depth=1
	s_wait_xcnt 0x0
	s_or_b32 exec_lo, exec_lo, s37
                                        ; implicit-def: $vgpr23
                                        ; implicit-def: $vgpr24
.LBB64_14:                              ;   in Loop: Header=BB64_4 Depth=1
	s_and_not1_saveexec_b32 s25, s25
	s_cbranch_execz .LBB64_3
; %bb.15:                               ;   in Loop: Header=BB64_4 Depth=1
	v_mov_b32_e32 v25, 0
	s_and_saveexec_b32 s25, s0
	s_cbranch_execz .LBB64_19
; %bb.16:                               ;   in Loop: Header=BB64_4 Depth=1
	v_mov_b32_e32 v25, 0
	s_mov_b32 s37, exec_lo
	v_cmpx_neq_f32_e32 0, v24
	s_cbranch_execz .LBB64_18
; %bb.17:                               ;   in Loop: Header=BB64_4 Depth=1
	v_lshl_add_u64 v[6:7], v[0:1], 2, s[22:23]
	global_load_b32 v6, v[6:7], off
	s_wait_loadcnt 0x0
	v_mul_f32_e32 v25, v24, v6
.LBB64_18:                              ;   in Loop: Header=BB64_4 Depth=1
	s_wait_xcnt 0x0
	s_or_b32 exec_lo, exec_lo, s37
	s_mul_u64 s[38:39], s[26:27], s[28:29]
	s_delay_alu instid0(SALU_CYCLE_1)
	v_lshl_add_u64 v[6:7], s[38:39], 2, v[2:3]
	global_load_b32 v6, v[6:7], off
	s_wait_loadcnt 0x0
	ds_store_b32 v9, v6
.LBB64_19:                              ;   in Loop: Header=BB64_4 Depth=1
	s_wait_xcnt 0x0
	s_or_b32 exec_lo, exec_lo, s25
	s_mul_u64 s[38:39], s[18:19], s[28:29]
	s_delay_alu instid0(SALU_CYCLE_1)
	v_lshl_add_u64 v[6:7], s[38:39], 2, v[4:5]
	s_and_saveexec_b32 s25, s1
	s_cbranch_execz .LBB64_21
; %bb.20:                               ;   in Loop: Header=BB64_4 Depth=1
	s_delay_alu instid0(VALU_DEP_1) | instskip(NEXT) | instid1(VALU_DEP_1)
	v_lshl_add_u64 v[26:27], s[14:15], 2, v[6:7]
	v_add_nc_u64_e32 v[28:29], s[16:17], v[26:27]
	s_delay_alu instid0(VALU_DEP_1)
	v_add_nc_u64_e32 v[30:31], s[16:17], v[28:29]
	s_clause 0x3
	global_load_b32 v32, v[6:7], off
	global_load_b32 v33, v[26:27], off
	;; [unrolled: 1-line block ×4, first 2 shown]
	s_wait_loadcnt 0x2
	ds_store_2addr_stride64_b32 v12, v32, v33 offset1:2
	s_wait_loadcnt 0x0
	ds_store_2addr_stride64_b32 v12, v34, v35 offset0:4 offset1:6
.LBB64_21:                              ;   in Loop: Header=BB64_4 Depth=1
	s_wait_xcnt 0x0
	s_or_b32 exec_lo, exec_lo, s25
	v_add_nc_u64_e32 v[6:7], s[20:21], v[6:7]
	s_delay_alu instid0(VALU_DEP_1) | instskip(NEXT) | instid1(VALU_DEP_1)
	v_lshl_add_u64 v[26:27], s[14:15], 2, v[6:7]
	v_add_nc_u64_e32 v[28:29], s[16:17], v[26:27]
	s_delay_alu instid0(VALU_DEP_1)
	v_add_nc_u64_e32 v[30:31], s[16:17], v[28:29]
	s_clause 0x3
	global_load_b32 v32, v[6:7], off
	global_load_b32 v33, v[26:27], off
	;; [unrolled: 1-line block ×4, first 2 shown]
	s_wait_loadcnt 0x3
	ds_store_b32 v16, v32
	s_wait_loadcnt 0x2
	ds_store_b32 v17, v33
	;; [unrolled: 2-line block ×4, first 2 shown]
	s_wait_storecnt_dscnt 0x0
	s_barrier_signal -1
	s_barrier_wait -1
	s_wait_xcnt 0x0
	s_and_saveexec_b32 s25, s2
	s_cbranch_execnz .LBB64_35
; %bb.22:                               ;   in Loop: Header=BB64_4 Depth=1
	s_or_b32 exec_lo, exec_lo, s25
	s_and_saveexec_b32 s25, s3
	s_cbranch_execnz .LBB64_36
.LBB64_23:                              ;   in Loop: Header=BB64_4 Depth=1
	s_or_b32 exec_lo, exec_lo, s25
	s_and_saveexec_b32 s25, s4
	s_cbranch_execnz .LBB64_37
.LBB64_24:                              ;   in Loop: Header=BB64_4 Depth=1
	s_or_b32 exec_lo, exec_lo, s25
	s_and_saveexec_b32 s25, s5
	s_cbranch_execnz .LBB64_38
.LBB64_25:                              ;   in Loop: Header=BB64_4 Depth=1
	s_or_b32 exec_lo, exec_lo, s25
	s_and_saveexec_b32 s25, s24
	s_cbranch_execnz .LBB64_39
.LBB64_26:                              ;   in Loop: Header=BB64_4 Depth=1
	s_or_b32 exec_lo, exec_lo, s25
	s_and_saveexec_b32 s25, s6
	s_cbranch_execnz .LBB64_40
.LBB64_27:                              ;   in Loop: Header=BB64_4 Depth=1
	s_or_b32 exec_lo, exec_lo, s25
	s_and_saveexec_b32 s25, s7
	s_cbranch_execnz .LBB64_41
.LBB64_28:                              ;   in Loop: Header=BB64_4 Depth=1
	s_or_b32 exec_lo, exec_lo, s25
	s_and_saveexec_b32 s25, s8
	s_cbranch_execz .LBB64_30
.LBB64_29:                              ;   in Loop: Header=BB64_4 Depth=1
	ds_load_b32 v6, v8 offset:48
	s_wait_dscnt 0x0
	ds_store_b32 v22, v6
.LBB64_30:                              ;   in Loop: Header=BB64_4 Depth=1
	s_or_b32 exec_lo, exec_lo, s25
	s_wait_dscnt 0x0
	s_barrier_signal -1
	s_barrier_wait -1
	ds_load_b32 v6, v12
	ds_load_b32 v7, v20
	ds_load_2addr_b32 v[26:27], v13 offset1:4
	ds_load_2addr_b32 v[28:29], v13 offset0:8 offset1:12
	ds_load_b32 v30, v21
	ds_load_b32 v31, v22
	ds_load_2addr_b32 v[32:33], v13 offset0:16 offset1:20
	ds_load_b32 v34, v16
	ds_load_b32 v35, v17
	;; [unrolled: 1-line block ×4, first 2 shown]
	s_wait_dscnt 0x8
	v_pk_mul_f32 v[6:7], v[6:7], v[26:27]
	ds_load_2addr_b32 v[26:27], v13 offset0:24 offset1:28
	s_wait_dscnt 0x6
	v_pk_mul_f32 v[28:29], v[30:31], v[28:29]
	v_add_f32_e32 v6, 0, v6
	s_delay_alu instid0(VALU_DEP_1) | instskip(NEXT) | instid1(VALU_DEP_1)
	v_add_f32_e32 v6, v6, v7
	v_add_f32_e32 v28, v6, v28
	s_wait_dscnt 0x3
	v_pk_mul_f32 v[6:7], v[34:35], v[32:33]
	s_delay_alu instid0(VALU_DEP_2) | instskip(SKIP_2) | instid1(VALU_DEP_2)
	v_add_f32_e32 v28, v28, v29
	s_wait_dscnt 0x0
	v_pk_mul_f32 v[26:27], v[36:37], v[26:27]
	v_add_f32_e32 v6, v28, v6
	s_delay_alu instid0(VALU_DEP_1) | instskip(NEXT) | instid1(VALU_DEP_1)
	v_add_f32_e32 v6, v6, v7
	v_add_f32_e32 v6, v6, v26
	s_delay_alu instid0(VALU_DEP_1)
	v_add_f32_e32 v6, v6, v27
	ds_store_b32 v14, v6
	s_wait_dscnt 0x0
	s_barrier_signal -1
	s_barrier_wait -1
	s_and_saveexec_b32 s25, s0
	s_cbranch_execz .LBB64_2
; %bb.31:                               ;   in Loop: Header=BB64_4 Depth=1
	ds_load_2addr_b32 v[6:7], v15 offset1:32
	ds_load_2addr_b32 v[26:27], v15 offset0:64 offset1:96
	v_cmp_neq_f32_e32 vcc_lo, 0, v24
	s_wait_dscnt 0x1
	v_add_f32_e32 v6, 0, v6
	s_delay_alu instid0(VALU_DEP_1) | instskip(SKIP_1) | instid1(VALU_DEP_1)
	v_add_f32_e32 v6, v6, v7
	s_wait_dscnt 0x0
	v_add_f32_e32 v6, v6, v26
	s_delay_alu instid0(VALU_DEP_1) | instskip(NEXT) | instid1(VALU_DEP_1)
	v_add_f32_e32 v6, v6, v27
	v_dual_mul_f32 v7, v23, v6 :: v_dual_fmac_f32 v25, v23, v6
	s_delay_alu instid0(VALU_DEP_1)
	v_cndmask_b32_e32 v23, v7, v25, vcc_lo
	v_lshl_add_u64 v[6:7], v[0:1], 2, s[22:23]
	global_store_b32 v[6:7], v23, off
	s_branch .LBB64_2
.LBB64_32:                              ;   in Loop: Header=BB64_4 Depth=1
	ds_load_b64 v[6:7], v10
	s_mul_u64 s[22:23], s[10:11], s[28:29]
	s_wait_dscnt 0x0
	v_lshl_add_u64 v[6:7], s[22:23], 2, v[6:7]
	flat_load_b32 v23, v[6:7]
	s_cbranch_execnz .LBB64_6
.LBB64_33:                              ;   in Loop: Header=BB64_4 Depth=1
	s_wait_loadcnt_dscnt 0x0
	ds_load_b32 v23, v10
	s_and_b32 vcc_lo, exec_lo, s36
	s_mov_b32 s9, -1
                                        ; implicit-def: $vgpr24
	s_cbranch_vccz .LBB64_7
.LBB64_34:                              ;   in Loop: Header=BB64_4 Depth=1
	s_wait_xcnt 0x0
	ds_load_b64 v[6:7], v11
	s_mul_u64 s[22:23], s[30:31], s[28:29]
	s_wait_dscnt 0x0
	v_lshl_add_u64 v[6:7], s[22:23], 2, v[6:7]
	flat_load_b32 v24, v[6:7]
	s_cbranch_execz .LBB64_8
	s_branch .LBB64_9
.LBB64_35:                              ;   in Loop: Header=BB64_4 Depth=1
	ds_load_b32 v6, v8 offset:64
	s_wait_dscnt 0x0
	ds_store_b32 v16, v6
	s_or_b32 exec_lo, exec_lo, s25
	s_and_saveexec_b32 s25, s3
	s_cbranch_execz .LBB64_23
.LBB64_36:                              ;   in Loop: Header=BB64_4 Depth=1
	ds_load_b32 v6, v8 offset:80
	s_wait_dscnt 0x0
	ds_store_b32 v17, v6
	s_or_b32 exec_lo, exec_lo, s25
	s_and_saveexec_b32 s25, s4
	s_cbranch_execz .LBB64_24
.LBB64_37:                              ;   in Loop: Header=BB64_4 Depth=1
	ds_load_b32 v6, v8 offset:96
	s_wait_dscnt 0x0
	ds_store_b32 v18, v6
	s_or_b32 exec_lo, exec_lo, s25
	s_and_saveexec_b32 s25, s5
	s_cbranch_execz .LBB64_25
.LBB64_38:                              ;   in Loop: Header=BB64_4 Depth=1
	ds_load_b32 v6, v8 offset:112
	s_wait_dscnt 0x0
	ds_store_b32 v19, v6
	s_or_b32 exec_lo, exec_lo, s25
	s_and_saveexec_b32 s25, s24
	s_cbranch_execz .LBB64_26
.LBB64_39:                              ;   in Loop: Header=BB64_4 Depth=1
	ds_load_b32 v6, v8
	s_wait_dscnt 0x0
	ds_store_b32 v12, v6
	s_or_b32 exec_lo, exec_lo, s25
	s_and_saveexec_b32 s25, s6
	s_cbranch_execz .LBB64_27
.LBB64_40:                              ;   in Loop: Header=BB64_4 Depth=1
	ds_load_b32 v6, v8 offset:16
	s_wait_dscnt 0x0
	ds_store_b32 v20, v6
	s_or_b32 exec_lo, exec_lo, s25
	s_and_saveexec_b32 s25, s7
	s_cbranch_execz .LBB64_28
.LBB64_41:                              ;   in Loop: Header=BB64_4 Depth=1
	ds_load_b32 v6, v8 offset:32
	s_wait_dscnt 0x0
	ds_store_b32 v21, v6
	s_or_b32 exec_lo, exec_lo, s25
	s_and_saveexec_b32 s25, s8
	s_cbranch_execnz .LBB64_29
	s_branch .LBB64_30
.LBB64_42:
	s_endpgm
	.section	.rodata,"a",@progbits
	.p2align	6, 0x0
	.amdhsa_kernel _ZL50rocblas_symv_kernel_upper_double_buffered_diagonalILi32ELi4E24rocblas_internal_val_ptrIfEPKfPfEvbiT1_lT2_lllS6_lllS5_lT3_llli
		.amdhsa_group_segment_fixed_size 7296
		.amdhsa_private_segment_fixed_size 0
		.amdhsa_kernarg_size 140
		.amdhsa_user_sgpr_count 4
		.amdhsa_user_sgpr_dispatch_ptr 1
		.amdhsa_user_sgpr_queue_ptr 0
		.amdhsa_user_sgpr_kernarg_segment_ptr 1
		.amdhsa_user_sgpr_dispatch_id 0
		.amdhsa_user_sgpr_kernarg_preload_length 0
		.amdhsa_user_sgpr_kernarg_preload_offset 0
		.amdhsa_user_sgpr_private_segment_size 0
		.amdhsa_wavefront_size32 1
		.amdhsa_uses_dynamic_stack 0
		.amdhsa_enable_private_segment 0
		.amdhsa_system_sgpr_workgroup_id_x 1
		.amdhsa_system_sgpr_workgroup_id_y 0
		.amdhsa_system_sgpr_workgroup_id_z 1
		.amdhsa_system_sgpr_workgroup_info 0
		.amdhsa_system_vgpr_workitem_id 2
		.amdhsa_next_free_vgpr 38
		.amdhsa_next_free_sgpr 40
		.amdhsa_named_barrier_count 0
		.amdhsa_reserve_vcc 1
		.amdhsa_float_round_mode_32 0
		.amdhsa_float_round_mode_16_64 0
		.amdhsa_float_denorm_mode_32 3
		.amdhsa_float_denorm_mode_16_64 3
		.amdhsa_fp16_overflow 0
		.amdhsa_memory_ordered 1
		.amdhsa_forward_progress 1
		.amdhsa_inst_pref_size 17
		.amdhsa_round_robin_scheduling 0
		.amdhsa_exception_fp_ieee_invalid_op 0
		.amdhsa_exception_fp_denorm_src 0
		.amdhsa_exception_fp_ieee_div_zero 0
		.amdhsa_exception_fp_ieee_overflow 0
		.amdhsa_exception_fp_ieee_underflow 0
		.amdhsa_exception_fp_ieee_inexact 0
		.amdhsa_exception_int_div_zero 0
	.end_amdhsa_kernel
	.section	.text._ZL50rocblas_symv_kernel_upper_double_buffered_diagonalILi32ELi4E24rocblas_internal_val_ptrIfEPKfPfEvbiT1_lT2_lllS6_lllS5_lT3_llli,"axG",@progbits,_ZL50rocblas_symv_kernel_upper_double_buffered_diagonalILi32ELi4E24rocblas_internal_val_ptrIfEPKfPfEvbiT1_lT2_lllS6_lllS5_lT3_llli,comdat
.Lfunc_end64:
	.size	_ZL50rocblas_symv_kernel_upper_double_buffered_diagonalILi32ELi4E24rocblas_internal_val_ptrIfEPKfPfEvbiT1_lT2_lllS6_lllS5_lT3_llli, .Lfunc_end64-_ZL50rocblas_symv_kernel_upper_double_buffered_diagonalILi32ELi4E24rocblas_internal_val_ptrIfEPKfPfEvbiT1_lT2_lllS6_lllS5_lT3_llli
                                        ; -- End function
	.set _ZL50rocblas_symv_kernel_upper_double_buffered_diagonalILi32ELi4E24rocblas_internal_val_ptrIfEPKfPfEvbiT1_lT2_lllS6_lllS5_lT3_llli.num_vgpr, 38
	.set _ZL50rocblas_symv_kernel_upper_double_buffered_diagonalILi32ELi4E24rocblas_internal_val_ptrIfEPKfPfEvbiT1_lT2_lllS6_lllS5_lT3_llli.num_agpr, 0
	.set _ZL50rocblas_symv_kernel_upper_double_buffered_diagonalILi32ELi4E24rocblas_internal_val_ptrIfEPKfPfEvbiT1_lT2_lllS6_lllS5_lT3_llli.numbered_sgpr, 40
	.set _ZL50rocblas_symv_kernel_upper_double_buffered_diagonalILi32ELi4E24rocblas_internal_val_ptrIfEPKfPfEvbiT1_lT2_lllS6_lllS5_lT3_llli.num_named_barrier, 0
	.set _ZL50rocblas_symv_kernel_upper_double_buffered_diagonalILi32ELi4E24rocblas_internal_val_ptrIfEPKfPfEvbiT1_lT2_lllS6_lllS5_lT3_llli.private_seg_size, 0
	.set _ZL50rocblas_symv_kernel_upper_double_buffered_diagonalILi32ELi4E24rocblas_internal_val_ptrIfEPKfPfEvbiT1_lT2_lllS6_lllS5_lT3_llli.uses_vcc, 1
	.set _ZL50rocblas_symv_kernel_upper_double_buffered_diagonalILi32ELi4E24rocblas_internal_val_ptrIfEPKfPfEvbiT1_lT2_lllS6_lllS5_lT3_llli.uses_flat_scratch, 0
	.set _ZL50rocblas_symv_kernel_upper_double_buffered_diagonalILi32ELi4E24rocblas_internal_val_ptrIfEPKfPfEvbiT1_lT2_lllS6_lllS5_lT3_llli.has_dyn_sized_stack, 0
	.set _ZL50rocblas_symv_kernel_upper_double_buffered_diagonalILi32ELi4E24rocblas_internal_val_ptrIfEPKfPfEvbiT1_lT2_lllS6_lllS5_lT3_llli.has_recursion, 0
	.set _ZL50rocblas_symv_kernel_upper_double_buffered_diagonalILi32ELi4E24rocblas_internal_val_ptrIfEPKfPfEvbiT1_lT2_lllS6_lllS5_lT3_llli.has_indirect_call, 0
	.section	.AMDGPU.csdata,"",@progbits
; Kernel info:
; codeLenInByte = 2092
; TotalNumSgprs: 42
; NumVgprs: 38
; ScratchSize: 0
; MemoryBound: 0
; FloatMode: 240
; IeeeMode: 1
; LDSByteSize: 7296 bytes/workgroup (compile time only)
; SGPRBlocks: 0
; VGPRBlocks: 2
; NumSGPRsForWavesPerEU: 42
; NumVGPRsForWavesPerEU: 38
; NamedBarCnt: 0
; Occupancy: 16
; WaveLimiterHint : 1
; COMPUTE_PGM_RSRC2:SCRATCH_EN: 0
; COMPUTE_PGM_RSRC2:USER_SGPR: 4
; COMPUTE_PGM_RSRC2:TRAP_HANDLER: 0
; COMPUTE_PGM_RSRC2:TGID_X_EN: 1
; COMPUTE_PGM_RSRC2:TGID_Y_EN: 0
; COMPUTE_PGM_RSRC2:TGID_Z_EN: 1
; COMPUTE_PGM_RSRC2:TIDIG_COMP_CNT: 2
	.section	.text._ZL54rocblas_symv_kernel_upper_double_buffered_non_diagonalILi32ELi4ELi4E24rocblas_internal_val_ptrIfEPKfPfEvbiT2_lT3_lllS6_lllT4_llli,"axG",@progbits,_ZL54rocblas_symv_kernel_upper_double_buffered_non_diagonalILi32ELi4ELi4E24rocblas_internal_val_ptrIfEPKfPfEvbiT2_lT3_lllS6_lllT4_llli,comdat
	.globl	_ZL54rocblas_symv_kernel_upper_double_buffered_non_diagonalILi32ELi4ELi4E24rocblas_internal_val_ptrIfEPKfPfEvbiT2_lT3_lllS6_lllT4_llli ; -- Begin function _ZL54rocblas_symv_kernel_upper_double_buffered_non_diagonalILi32ELi4ELi4E24rocblas_internal_val_ptrIfEPKfPfEvbiT2_lT3_lllS6_lllT4_llli
	.p2align	8
	.type	_ZL54rocblas_symv_kernel_upper_double_buffered_non_diagonalILi32ELi4ELi4E24rocblas_internal_val_ptrIfEPKfPfEvbiT2_lT3_lllS6_lllT4_llli,@function
_ZL54rocblas_symv_kernel_upper_double_buffered_non_diagonalILi32ELi4ELi4E24rocblas_internal_val_ptrIfEPKfPfEvbiT2_lT3_lllS6_lllT4_llli: ; @_ZL54rocblas_symv_kernel_upper_double_buffered_non_diagonalILi32ELi4ELi4E24rocblas_internal_val_ptrIfEPKfPfEvbiT2_lT3_lllS6_lllT4_llli
; %bb.0:
	s_load_b64 s[20:21], s[0:1], 0x4
	s_load_b512 s[4:19], s[2:3], 0x8
	v_bfe_u32 v1, v0, 10, 10
	s_wait_xcnt 0x0
	s_load_b32 s1, s[2:3], 0x78
	v_and_b32_e32 v6, 0x3ff, v0
	s_bfe_u32 s0, ttmp6, 0x40014
	s_lshr_b32 s22, ttmp7, 16
	s_add_co_i32 s0, s0, 1
	v_bfe_u32 v0, v0, 20, 10
	s_wait_kmcnt 0x0
	v_mul_u32_u24_e32 v4, s21, v1
	s_lshr_b32 s20, s20, 16
	v_dual_mov_b32 v2, s4 :: v_dual_mov_b32 v3, s5
	s_mul_i32 s20, s20, s21
	s_mul_i32 s4, s22, s0
	v_mad_u32_u24 v4, s20, v6, v4
	s_bfe_u32 s5, ttmp6, 0x40008
	s_getreg_b32 s0, hwreg(HW_REG_IB_STS2, 6, 4)
	s_add_co_i32 s5, s5, s4
	s_cmp_eq_u32 s0, 0
	v_add_lshl_u32 v0, v4, v0, 3
	s_cselect_b32 s4, s22, s5
	s_mov_b32 s5, 0
	s_cmp_ge_u32 s4, s1
	ds_store_b64 v0, v[2:3] offset:3200
	s_cbranch_scc1 .LBB65_29
; %bb.1:
	s_clause 0x2
	s_load_b32 s33, s[2:3], 0x0
	s_load_b128 s[20:23], s[2:3], 0x60
	s_load_b64 s[30:31], s[2:3], 0x58
	v_lshl_add_u32 v12, v1, 5, v6
	v_dual_mov_b32 v7, 0 :: v_dual_add_nc_u32 v52, 0xc80, v0
	v_and_b32_e32 v2, 15, v6
	s_clause 0x1
	s_load_b128 s[24:27], s[2:3], 0x48
	s_load_b64 s[28:29], s[2:3], 0x70
	v_dual_lshrrev_b32 v19, 4, v12 :: v_dual_mov_b32 v3, v7
	v_dual_mov_b32 v5, v7 :: v_dual_lshlrev_b32 v16, 2, v6
	v_dual_lshlrev_b32 v0, 2, v2 :: v_dual_bitop2_b32 v4, 16, v2 bitop3:0x54
	s_delay_alu instid0(VALU_DEP_3)
	v_lshlrev_b32_e32 v13, 2, v19
	v_and_b32_e32 v18, 0xfff0, v12
	v_lshlrev_b32_e32 v56, 7, v19
	v_add_nc_u32_e32 v53, 0xc00, v16
	v_add_nc_u32_e32 v57, 0x800, v16
	v_mad_nc_u64_u32 v[8:9], s12, v13, v[2:3]
	s_wait_kmcnt 0x0
	s_bitcmp1_b32 s33, 0
	v_add_nc_u32_e32 v55, 0xc00, v18
	s_cselect_b32 s33, -1, 0
	s_lshl_b64 s[34:35], s[20:21], 2
	s_lshl_b64 s[44:45], s[10:11], 2
	s_bfe_u32 s11, ttmp6, 0x4000c
	s_bfe_u32 s21, ttmp6, 0x40010
	s_and_b32 s20, ttmp7, 0xffff
	s_add_co_i32 s11, s11, 1
	s_add_co_i32 s21, s21, 1
	s_and_b32 s10, ttmp6, 15
	s_bfe_u32 s36, ttmp6, 0x40004
	s_mul_i32 s11, ttmp9, s11
	s_mul_i32 s21, s20, s21
	s_lshl_b64 s[18:19], s[18:19], 2
	s_xor_b32 s33, s33, -1
	s_add_co_i32 s10, s10, s11
	s_add_co_i32 s36, s36, s21
	s_cmp_eq_u32 s0, 0
	v_cmp_eq_u32_e64 s0, 0, v1
	v_mad_u32 v9, s13, v13, v9
	v_mul_u64_e32 v[12:13], s[24:25], v[2:3]
	v_dual_add_nc_u32 v1, 1, v6 :: v_dual_add_nc_u32 v2, 2, v6
	v_lshlrev_b32_e32 v22, 6, v6
	v_mul_u64_e32 v[14:15], s[24:25], v[4:5]
	s_delay_alu instid0(VALU_DEP_3) | instskip(NEXT) | instid1(VALU_DEP_4)
	v_dual_lshlrev_b32 v28, 8, v19 :: v_dual_bitop2_b32 v1, 15, v1 bitop3:0x40
	v_dual_mov_b32 v19, v7 :: v_dual_bitop2_b32 v2, 15, v2 bitop3:0x40
	s_delay_alu instid0(VALU_DEP_4) | instskip(SKIP_1) | instid1(VALU_DEP_4)
	v_dual_add_nc_u32 v3, 3, v6 :: v_dual_bitop2_b32 v58, v22, v0 bitop3:0x54
	v_add_nc_u32_e32 v4, 4, v6
	v_lshl_or_b32 v59, v1, 2, v22
	s_delay_alu instid0(VALU_DEP_4) | instskip(NEXT) | instid1(VALU_DEP_4)
	v_lshl_or_b32 v60, v2, 2, v22
	v_dual_add_nc_u32 v2, 5, v6 :: v_dual_bitop2_b32 v1, 15, v3 bitop3:0x40
	s_delay_alu instid0(VALU_DEP_4) | instskip(SKIP_1) | instid1(VALU_DEP_3)
	v_dual_add_nc_u32 v4, 6, v6 :: v_dual_bitop2_b32 v3, 15, v4 bitop3:0x40
	v_add_nc_u32_e32 v5, 7, v6
	v_lshl_or_b32 v61, v1, 2, v22
	s_delay_alu instid0(VALU_DEP_4) | instskip(NEXT) | instid1(VALU_DEP_4)
	v_and_b32_e32 v1, 15, v2
	v_lshl_or_b32 v62, v3, 2, v22
	v_dual_add_nc_u32 v4, 9, v6 :: v_dual_bitop2_b32 v2, 15, v4 bitop3:0x40
	v_and_b32_e32 v3, 15, v5
	s_cselect_b32 s10, ttmp9, s10
	s_cselect_b32 s66, s20, s36
	s_delay_alu instid0(VALU_DEP_2) | instskip(SKIP_4) | instid1(VALU_DEP_3)
	v_lshl_or_b32 v64, v2, 2, v22
	v_and_b32_e32 v2, 15, v4
	v_lshl_or_b32 v65, v3, 2, v22
	v_dual_add_nc_u32 v3, 10, v6 :: v_dual_add_nc_u32 v4, 12, v6
	s_lshl_b32 s40, s10, 5
	v_lshl_or_b32 v67, v2, 2, v22
	s_ashr_i32 s41, s40, 31
	s_delay_alu instid0(VALU_DEP_2) | instskip(SKIP_2) | instid1(VALU_DEP_3)
	v_dual_add_nc_u32 v74, v0, v28 :: v_dual_bitop2_b32 v2, 15, v3 bitop3:0x40
	v_dual_add_nc_u32 v23, 14, v6 :: v_dual_bitop2_b32 v4, 15, v4 bitop3:0x40
	v_mul_u64_e32 v[10:11], s[24:25], v[6:7]
	v_lshl_or_b32 v68, v2, 2, v22
	v_lshl_add_u64 v[2:3], s[40:41], 2, v[18:19]
	v_mul_u64_e32 v[16:17], s[22:23], v[6:7]
	v_lshl_or_b32 v70, v4, 2, v22
	v_and_b32_e32 v23, 15, v23
	s_add_nc_u64 s[30:31], s[30:31], s[34:35]
	v_or_b32_e32 v18, 12, v2
	v_mul_lo_u32 v24, s12, v3
	v_add_nc_u32_e32 v5, 13, v6
	v_or_b32_e32 v3, 8, v2
	v_or_b32_e32 v20, 4, v2
	v_mul_lo_u32 v27, s13, v18
	v_mad_nc_u64_u32 v[18:19], s12, v18, s[44:45]
	v_mul_lo_u32 v25, s13, v2
	v_lshl_or_b32 v72, v23, 2, v22
	v_mul_lo_u32 v29, s13, v20
	v_mad_nc_u64_u32 v[20:21], s12, v20, s[44:45]
	s_mul_u64 s[34:35], s[12:13], s[40:41]
	s_lshl_b32 s67, s66, 5
	s_lshl_b64 s[46:47], s[34:35], 2
	v_or_b32_e32 v54, 0x800, v0
	s_add_nc_u64 s[36:37], s[8:9], s[44:45]
	s_cmp_lg_u32 s10, 0
	v_add3_u32 v19, v27, v19, v24
	v_mov_b32_e32 v27, v7
	v_lshl_or_b32 v63, v1, 2, v22
	v_bitop3_b32 v1, v6, 8, 15 bitop3:0x6c
	v_add3_u32 v21, v29, v21, v24
	s_mul_u64 s[48:49], s[24:25], s[40:41]
	s_mul_u64 s[50:51], s[22:23], s[40:41]
	s_add_nc_u64 s[2:3], s[2:3], 0x80
	v_lshl_or_b32 v66, v1, 2, v22
	v_dual_add_nc_u32 v1, 11, v6 :: v_dual_add_nc_u32 v6, -1, v6
	s_add_nc_u64 s[20:21], s[16:17], s[18:19]
	s_add_nc_u64 s[34:35], s[36:37], s[46:47]
	s_cselect_b32 s68, -1, 0
	s_delay_alu instid0(VALU_DEP_1)
	v_and_b32_e32 v1, 15, v1
	v_and_b32_e32 v6, 15, v6
	s_lshl_b64 s[36:37], s[24:25], 7
	s_lshl_b64 s[38:39], s[22:23], 7
	s_mov_b32 s11, s5
	v_lshl_or_b32 v69, v1, 2, v22
	v_and_b32_e32 v1, 15, v5
	v_mad_nc_u64_u32 v[4:5], s12, v2, s[44:45]
	v_lshl_or_b32 v73, v6, 2, v22
	v_or_b32_e32 v6, 64, v0
	s_lshl_b64 s[40:41], s[12:13], 2
	v_lshl_or_b32 v71, v1, 2, v22
	v_mov_b32_e32 v1, v7
	v_mul_lo_u32 v26, s13, v3
	v_mad_nc_u64_u32 v[2:3], s12, v3, s[44:45]
	s_add_nc_u64 s[44:45], s[46:47], s[44:45]
	s_lshl_b64 s[42:43], s[14:15], 2
	v_add_nc_u64_e32 v[22:23], v[18:19], v[0:1]
	v_add3_u32 v5, v25, v5, v24
	s_lshl_b64 s[46:47], s[24:25], 2
	s_lshl_b64 s[48:49], s[48:49], 2
	;; [unrolled: 1-line block ×3, first 2 shown]
	s_delay_alu instid0(VALU_DEP_1) | instskip(NEXT) | instid1(VALU_DEP_3)
	v_add_nc_u64_e32 v[4:5], v[4:5], v[0:1]
	v_add_nc_u64_e32 v[22:23], s[8:9], v[22:23]
	v_add3_u32 v3, v26, v3, v24
	v_add_nc_u64_e32 v[24:25], v[20:21], v[0:1]
	v_or_b32_e32 v26, 0x80, v0
	s_delay_alu instid0(VALU_DEP_3) | instskip(SKIP_1) | instid1(VALU_DEP_4)
	v_add_nc_u64_e32 v[2:3], v[2:3], v[0:1]
	v_add_nc_u64_e32 v[18:19], s[8:9], v[4:5]
	;; [unrolled: 1-line block ×3, first 2 shown]
	s_delay_alu instid0(VALU_DEP_3)
	v_add_nc_u64_e32 v[20:21], s[8:9], v[2:3]
	s_add_nc_u64 s[8:9], s[8:9], s[44:45]
	s_lshl_b64 s[44:45], s[26:27], 2
	s_branch .LBB65_3
.LBB65_2:                               ;   in Loop: Header=BB65_3 Depth=1
	s_wait_xcnt 0x0
	s_or_b32 exec_lo, exec_lo, s69
	s_add_co_i32 s4, s4, 0x10000
	s_delay_alu instid0(SALU_CYCLE_1)
	s_cmp_lt_u32 s4, s1
	s_cbranch_scc0 .LBB65_29
.LBB65_3:                               ; =>This Loop Header: Depth=1
                                        ;     Child Loop BB65_17 Depth 2
	s_and_b32 vcc_lo, exec_lo, s33
	s_mov_b32 s52, -1
                                        ; implicit-def: $vgpr75
	s_cbranch_vccz .LBB65_5
; %bb.4:                                ;   in Loop: Header=BB65_3 Depth=1
	ds_load_b64 v[0:1], v52
	s_mul_u64 s[52:53], s[6:7], s[4:5]
	s_wait_dscnt 0x0
	v_lshl_add_u64 v[0:1], s[52:53], 2, v[0:1]
	s_mov_b32 s52, 0
	flat_load_b32 v75, v[0:1]
.LBB65_5:                               ;   in Loop: Header=BB65_3 Depth=1
	s_and_not1_b32 vcc_lo, exec_lo, s52
	s_cbranch_vccnz .LBB65_7
; %bb.6:                                ;   in Loop: Header=BB65_3 Depth=1
	s_wait_loadcnt_dscnt 0x0
	ds_load_b32 v75, v52
.LBB65_7:                               ;   in Loop: Header=BB65_3 Depth=1
	s_mov_b32 s69, exec_lo
	s_wait_loadcnt_dscnt 0x0
	s_wait_xcnt 0x0
	v_cmpx_neq_f32_e32 0, v75
	s_cbranch_execz .LBB65_2
; %bb.8:                                ;   in Loop: Header=BB65_3 Depth=1
	s_and_not1_b32 vcc_lo, exec_lo, s68
	s_cbranch_vccnz .LBB65_2
; %bb.9:                                ;   in Loop: Header=BB65_3 Depth=1
	s_mul_u64 s[52:53], s[26:27], s[4:5]
	s_delay_alu instid0(SALU_CYCLE_1) | instskip(NEXT) | instid1(SALU_CYCLE_1)
	s_lshl_b64 s[52:53], s[52:53], 2
	s_add_nc_u64 s[56:57], s[20:21], s[52:53]
	s_and_saveexec_b32 s52, s0
	s_cbranch_execz .LBB65_11
; %bb.10:                               ;   in Loop: Header=BB65_3 Depth=1
	s_add_nc_u64 s[54:55], s[56:57], s[48:49]
	s_delay_alu instid0(SALU_CYCLE_1)
	v_lshl_add_u64 v[0:1], v[10:11], 2, s[54:55]
	global_load_b32 v0, v[0:1], off
	s_wait_loadcnt 0x0
	ds_store_b32 v53, v0
.LBB65_11:                              ;   in Loop: Header=BB65_3 Depth=1
	s_wait_xcnt 0x0
	s_or_b32 exec_lo, exec_lo, s52
	s_load_b32 s52, s[2:3], 0x4
	s_mov_b32 s55, s5
	s_wait_kmcnt 0x0
	s_cvt_f32_u32 s53, s52
	s_sub_co_i32 s54, 0, s52
	s_delay_alu instid0(SALU_CYCLE_2) | instskip(SKIP_1) | instid1(TRANS32_DEP_1)
	v_rcp_iflag_f32_e32 v0, s53
	v_nop
	v_readfirstlane_b32 s53, v0
	s_mul_f32 s53, s53, 0x4f7ffffe
	s_delay_alu instid0(SALU_CYCLE_3) | instskip(NEXT) | instid1(SALU_CYCLE_3)
	s_cvt_u32_f32 s53, s53
	s_mul_i32 s54, s54, s53
	s_delay_alu instid0(SALU_CYCLE_1) | instskip(NEXT) | instid1(SALU_CYCLE_1)
	s_mul_hi_u32 s54, s53, s54
	s_add_co_i32 s54, s53, s54
	s_delay_alu instid0(SALU_CYCLE_1) | instskip(NEXT) | instid1(SALU_CYCLE_1)
	s_mul_u64 s[54:55], s[10:11], s[54:55]
	s_mul_i32 s53, s55, s52
	s_add_co_i32 s54, s55, 1
	s_sub_co_i32 s53, s10, s53
	s_delay_alu instid0(SALU_CYCLE_1)
	s_sub_co_i32 s58, s53, s52
	s_cmp_ge_u32 s53, s52
	s_cselect_b32 s54, s54, s55
	s_cselect_b32 s53, s58, s53
	s_add_co_i32 s55, s54, 1
	s_cmp_ge_u32 s53, s52
	s_cselect_b32 s54, s55, s54
	s_add_co_i32 s53, s52, -1
	s_mov_b32 s70, s54
	s_cmp_lg_u32 s66, s53
	s_cbranch_scc1 .LBB65_13
; %bb.12:                               ;   in Loop: Header=BB65_3 Depth=1
	s_mul_i32 s52, s54, s52
	s_delay_alu instid0(SALU_CYCLE_1) | instskip(NEXT) | instid1(SALU_CYCLE_1)
	s_sub_co_i32 s52, s10, s52
	s_add_co_i32 s70, s52, s54
.LBB65_13:                              ;   in Loop: Header=BB65_3 Depth=1
	s_delay_alu instid0(SALU_CYCLE_1)
	s_cmp_eq_u32 s70, 0
	s_cbranch_scc1 .LBB65_2
; %bb.14:                               ;   in Loop: Header=BB65_3 Depth=1
	s_mul_u64 s[52:53], s[28:29], s[4:5]
	s_wait_dscnt 0x0
	s_lshl_b64 s[52:53], s[52:53], 2
	s_cmp_lt_i32 s70, 1
	s_add_nc_u64 s[52:53], s[30:31], s[52:53]
	s_barrier_signal -1
	s_barrier_wait -1
	s_cbranch_scc1 .LBB65_21
; %bb.15:                               ;   in Loop: Header=BB65_3 Depth=1
	s_mul_u64 s[60:61], s[14:15], s[4:5]
	s_mul_i32 s58, s67, s54
	s_lshl_b64 s[54:55], s[60:61], 2
	s_ashr_i32 s59, s58, 31
	s_add_nc_u64 s[60:61], s[34:35], s[54:55]
	s_lshl_b64 s[54:55], s[58:59], 2
	s_mul_u64 s[62:63], s[24:25], s[58:59]
	s_add_nc_u64 s[60:61], s[60:61], s[54:55]
	s_lshl_b64 s[62:63], s[62:63], 2
	v_lshl_add_u64 v[0:1], v[8:9], 2, s[60:61]
	s_add_nc_u64 s[62:63], s[56:57], s[62:63]
	s_mul_u64 s[56:57], s[22:23], s[58:59]
	v_lshl_add_u64 v[30:31], v[12:13], 2, s[62:63]
	s_lshl_b64 s[56:57], s[56:57], 2
	v_lshl_add_u64 v[2:3], s[12:13], 2, v[0:1]
	s_add_nc_u64 s[64:65], s[52:53], s[56:57]
	s_cmp_eq_u32 s70, 1
	s_delay_alu instid0(VALU_DEP_1) | instskip(NEXT) | instid1(VALU_DEP_1)
	v_add_nc_u64_e32 v[4:5], s[40:41], v[2:3]
	v_add_nc_u64_e32 v[28:29], s[40:41], v[4:5]
	s_clause 0x3
	global_load_b32 v0, v[0:1], off
	global_load_b32 v1, v[2:3], off
	;; [unrolled: 1-line block ×5, first 2 shown]
	s_cbranch_scc1 .LBB65_22
; %bb.16:                               ;   in Loop: Header=BB65_3 Depth=1
	v_add_nc_u64_e32 v[2:3], s[54:55], v[6:7]
	v_add_nc_u64_e32 v[4:5], s[54:55], v[26:27]
	s_mul_u64 s[60:61], s[44:45], s[4:5]
	s_wait_xcnt 0x0
	v_mov_b32_e32 v30, 0
	s_add_nc_u64 s[56:57], s[16:17], s[60:61]
	v_mov_b64_e32 v[32:33], s[64:65]
	s_mul_u64 s[58:59], s[46:47], s[58:59]
	v_mad_nc_u64_u32 v[38:39], s24, v2, s[56:57]
	v_mad_nc_u64_u32 v[40:41], s24, v4, s[56:57]
	s_mul_u64 s[56:57], s[42:43], s[4:5]
	v_dual_mov_b32 v31, v30 :: v_dual_mov_b32 v34, v30
	v_add_nc_u64_e32 v[42:43], s[56:57], v[18:19]
	v_add_nc_u64_e32 v[44:45], s[56:57], v[20:21]
	;; [unrolled: 1-line block ×4, first 2 shown]
	v_mov_b32_e32 v35, v30
	s_add_nc_u64 s[58:59], s[58:59], s[60:61]
	v_mad_u32 v2, s25, v2, v39
	v_mad_u32 v4, s25, v4, v41
	s_add_nc_u64 s[56:57], s[8:9], s[56:57]
	s_add_co_i32 s60, s70, -1
	s_add_nc_u64 s[58:59], s[16:17], s[58:59]
	s_delay_alu instid0(VALU_DEP_2) | instskip(NEXT) | instid1(VALU_DEP_2)
	v_mad_u32 v39, s24, v3, v2
	v_mad_u32 v41, s24, v5, v4
.LBB65_17:                              ;   Parent Loop BB65_3 Depth=1
                                        ; =>  This Inner Loop Header: Depth=2
	v_add_nc_u64_e32 v[2:3], s[54:55], v[42:43]
	v_add_nc_u64_e32 v[80:81], s[54:55], v[48:49]
	;; [unrolled: 1-line block ×6, first 2 shown]
	global_load_b32 v50, v[2:3], off offset:64
	global_load_b32 v51, v[80:81], off offset:64
	;; [unrolled: 1-line block ×4, first 2 shown]
	global_load_b32 v4, v[4:5], off
	global_load_b32 v2, v[2:3], off offset:128
	global_load_b32 v3, v[80:81], off offset:128
	;; [unrolled: 1-line block ×4, first 2 shown]
	global_load_b32 v78, v[86:87], off
	s_wait_xcnt 0x2
	ds_load_b128 v[80:83], v55
	s_wait_loadcnt_dscnt 0x0
	s_barrier_signal -1
	s_barrier_wait -1
	v_fma_f32 v29, v0, v80, 0
	v_fma_f32 v80, v50, v80, 0
	s_delay_alu instid0(VALU_DEP_1) | instskip(NEXT) | instid1(VALU_DEP_1)
	v_dual_fmac_f32 v29, v1, v81 :: v_dual_fmac_f32 v80, v51, v81
	v_dual_fmac_f32 v29, v76, v82 :: v_dual_fmac_f32 v80, v79, v82
	s_delay_alu instid0(VALU_DEP_1) | instskip(NEXT) | instid1(VALU_DEP_2)
	v_dual_add_nc_u32 v81, v54, v56 :: v_dual_fmac_f32 v29, v36, v83
	v_fmac_f32_e32 v80, v37, v83
	ds_store_2addr_b32 v81, v29, v80 offset1:16
	s_wait_dscnt 0x0
	s_barrier_signal -1
	s_barrier_wait -1
	s_wait_xcnt 0x0
	s_and_saveexec_b32 s61, s0
	s_cbranch_execz .LBB65_19
; %bb.18:                               ;   in Loop: Header=BB65_17 Depth=2
	ds_load_2addr_b32 v[80:81], v57 offset1:32
	ds_load_2addr_b32 v[82:83], v57 offset0:64 offset1:96
	ds_load_2addr_b32 v[84:85], v57 offset0:128 offset1:160
	s_wait_dscnt 0x2
	v_add_f32_e32 v29, 0, v80
	s_delay_alu instid0(VALU_DEP_1) | instskip(SKIP_3) | instid1(VALU_DEP_1)
	v_add_f32_e32 v29, v29, v81
	ds_load_2addr_b32 v[80:81], v57 offset0:192 offset1:224
	s_wait_dscnt 0x2
	v_add_f32_e32 v29, v29, v82
	v_add_f32_e32 v29, v29, v83
	s_wait_dscnt 0x1
	s_delay_alu instid0(VALU_DEP_1) | instskip(NEXT) | instid1(VALU_DEP_1)
	v_add_f32_e32 v29, v29, v84
	v_add_f32_e32 v29, v29, v85
	s_wait_dscnt 0x0
	s_delay_alu instid0(VALU_DEP_1) | instskip(NEXT) | instid1(VALU_DEP_1)
	v_add_f32_e32 v29, v29, v80
	v_add_f32_e32 v29, v29, v81
	v_lshl_add_u64 v[80:81], v[16:17], 2, v[32:33]
	v_add_nc_u64_e32 v[32:33], s[38:39], v[32:33]
	s_delay_alu instid0(VALU_DEP_3)
	v_mul_f32_e32 v29, v75, v29
	global_atomic_add_f32 v[80:81], v29, off scope:SCOPE_DEV
.LBB65_19:                              ;   in Loop: Header=BB65_17 Depth=2
	s_wait_xcnt 0x0
	s_or_b32 exec_lo, exec_lo, s61
	v_dual_mov_b32 v29, v4 :: v_dual_mul_f32 v82, v4, v79
	v_add_nc_u64_e32 v[42:43], 0x80, v[42:43]
	v_add_nc_u64_e32 v[44:45], 0x80, v[44:45]
	;; [unrolled: 1-line block ×3, first 2 shown]
	s_delay_alu instid0(VALU_DEP_4)
	v_pk_mul_f32 v[36:37], v[28:29], v[36:37]
	v_mul_f32_e32 v80, v28, v76
	v_pk_fma_f32 v[0:1], v[28:29], v[0:1], v[30:31] op_sel_hi:[0,1,1]
	v_add_nc_u64_e32 v[48:49], 0x80, v[48:49]
	v_add_nc_u64_e32 v[38:39], s[36:37], v[38:39]
	v_dual_mov_b32 v81, v36 :: v_dual_mov_b32 v83, v37
	v_add_nc_u64_e32 v[40:41], s[36:37], v[40:41]
	v_pk_fma_f32 v[30:31], v[4:5], v[50:51], v[0:1] op_sel_hi:[0,1,1]
	s_add_co_i32 s60, s60, -1
	s_delay_alu instid0(VALU_DEP_3) | instskip(SKIP_3) | instid1(VALU_DEP_1)
	v_pk_add_f32 v[28:29], v[34:35], v[80:81]
	s_add_nc_u64 s[56:57], s[56:57], 0x80
	s_cmp_eq_u32 s60, 0
	s_add_nc_u64 s[58:59], s[58:59], s[36:37]
	v_pk_add_f32 v[34:35], v[28:29], v[82:83]
	s_cbranch_scc1 .LBB65_23
; %bb.20:                               ;   in Loop: Header=BB65_17 Depth=2
	v_dual_mov_b32 v28, v78 :: v_dual_mov_b32 v0, v2
	v_dual_mov_b32 v1, v3 :: v_dual_mov_b32 v76, v77
	v_mov_b32_e32 v36, v5
	s_branch .LBB65_17
.LBB65_21:                              ;   in Loop: Header=BB65_3 Depth=1
	v_mov_b32_e32 v1, 0
	s_delay_alu instid0(VALU_DEP_1)
	v_dual_mov_b32 v0, v1 :: v_dual_mov_b32 v3, v1
	v_mov_b32_e32 v2, v1
	s_branch .LBB65_27
.LBB65_22:                              ;   in Loop: Header=BB65_3 Depth=1
	s_wait_loadcnt 0x1
	v_dual_mov_b32 v35, 0 :: v_dual_mov_b32 v3, v36
	v_mov_b64_e32 v[32:33], s[64:65]
	s_wait_xcnt 0x0
	s_delay_alu instid0(VALU_DEP_2) | instskip(NEXT) | instid1(VALU_DEP_3)
	v_dual_mov_b32 v34, v35 :: v_dual_mov_b32 v31, v35
	v_mov_b64_e32 v[4:5], v[2:3]
	v_mov_b64_e32 v[2:3], v[0:1]
	v_mov_b32_e32 v30, v35
	s_branch .LBB65_24
.LBB65_23:                              ;   in Loop: Header=BB65_3 Depth=1
	v_dual_mov_b32 v36, v5 :: v_dual_mov_b32 v76, v77
	v_dual_mov_b32 v1, v3 :: v_dual_mov_b32 v0, v2
	v_mov_b32_e32 v28, v78
	s_add_nc_u64 s[62:63], s[58:59], s[18:19]
	s_add_nc_u64 s[60:61], s[56:57], s[54:55]
.LBB65_24:                              ;   in Loop: Header=BB65_3 Depth=1
	s_delay_alu instid0(SALU_CYCLE_1) | instskip(NEXT) | instid1(VALU_DEP_1)
	v_lshl_add_u64 v[38:39], v[8:9], 2, s[60:61]
	v_lshl_add_u64 v[40:41], s[12:13], 2, v[38:39]
	global_load_b32 v38, v[38:39], off offset:64
	v_add_nc_u64_e32 v[42:43], s[40:41], v[40:41]
	global_load_b32 v39, v[40:41], off offset:64
	v_add_nc_u64_e32 v[44:45], s[40:41], v[42:43]
	s_clause 0x1
	global_load_b32 v40, v[42:43], off offset:64
	global_load_b32 v37, v[44:45], off offset:64
	s_wait_xcnt 0x1
	v_lshl_add_u64 v[42:43], v[14:15], 2, s[62:63]
	global_load_b32 v4, v[42:43], off
	s_wait_xcnt 0x0
	ds_load_b128 v[42:45], v55
	s_wait_storecnt 0x0
	s_wait_loadcnt_dscnt 0x0
	s_barrier_signal -1
	s_barrier_wait -1
	v_fma_f32 v0, v0, v42, 0
	v_fma_f32 v29, v38, v42, 0
	s_delay_alu instid0(VALU_DEP_1) | instskip(NEXT) | instid1(VALU_DEP_1)
	v_dual_fmac_f32 v0, v1, v43 :: v_dual_fmac_f32 v29, v39, v43
	v_fmac_f32_e32 v29, v40, v44
	s_delay_alu instid0(VALU_DEP_1) | instskip(NEXT) | instid1(VALU_DEP_1)
	v_dual_fmac_f32 v0, v76, v44 :: v_dual_fmac_f32 v29, v37, v45
	v_dual_fmac_f32 v0, v36, v45 :: v_dual_add_nc_u32 v1, v54, v56
	ds_store_2addr_b32 v1, v0, v29 offset1:16
	s_wait_dscnt 0x0
	s_barrier_signal -1
	s_barrier_wait -1
	s_and_saveexec_b32 s54, s0
	s_cbranch_execz .LBB65_26
; %bb.25:                               ;   in Loop: Header=BB65_3 Depth=1
	ds_load_2addr_b32 v[0:1], v57 offset1:32
	ds_load_2addr_b32 v[42:43], v57 offset0:64 offset1:96
	ds_load_2addr_b32 v[44:45], v57 offset0:128 offset1:160
	s_wait_dscnt 0x2
	v_add_f32_e32 v0, 0, v0
	s_delay_alu instid0(VALU_DEP_1) | instskip(SKIP_1) | instid1(VALU_DEP_1)
	v_add_f32_e32 v0, v0, v1
	s_wait_dscnt 0x1
	v_add_f32_e32 v29, v0, v42
	ds_load_2addr_b32 v[0:1], v57 offset0:192 offset1:224
	v_add_f32_e32 v29, v29, v43
	s_wait_dscnt 0x1
	s_delay_alu instid0(VALU_DEP_1) | instskip(NEXT) | instid1(VALU_DEP_1)
	v_add_f32_e32 v29, v29, v44
	v_add_f32_e32 v29, v29, v45
	s_wait_dscnt 0x0
	s_delay_alu instid0(VALU_DEP_1) | instskip(NEXT) | instid1(VALU_DEP_1)
	v_add_f32_e32 v0, v29, v0
	v_add_f32_e32 v29, v0, v1
	v_lshl_add_u64 v[0:1], v[16:17], 2, v[32:33]
	s_delay_alu instid0(VALU_DEP_2)
	v_mul_f32_e32 v29, v75, v29
	global_atomic_add_f32 v[0:1], v29, off scope:SCOPE_DEV
.LBB65_26:                              ;   in Loop: Header=BB65_3 Depth=1
	s_wait_xcnt 0x0
	s_or_b32 exec_lo, exec_lo, s54
	v_dual_mov_b32 v29, v4 :: v_dual_mov_b32 v36, v5
	v_mul_f32_e32 v32, v28, v76
	s_delay_alu instid0(VALU_DEP_2) | instskip(NEXT) | instid1(VALU_DEP_3)
	v_pk_fma_f32 v[2:3], v[28:29], v[2:3], v[30:31] op_sel_hi:[0,1,1]
	v_pk_mul_f32 v[0:1], v[28:29], v[36:37]
	s_delay_alu instid0(VALU_DEP_2) | instskip(NEXT) | instid1(VALU_DEP_2)
	v_pk_fma_f32 v[2:3], v[4:5], v[38:39], v[2:3] op_sel_hi:[0,1,1]
	v_mov_b32_e32 v33, v0
	v_mul_f32_e32 v0, v4, v40
	s_delay_alu instid0(VALU_DEP_2) | instskip(NEXT) | instid1(VALU_DEP_1)
	v_pk_add_f32 v[32:33], v[34:35], v[32:33]
	v_pk_add_f32 v[0:1], v[32:33], v[0:1]
.LBB65_27:                              ;   in Loop: Header=BB65_3 Depth=1
	ds_store_2addr_b32 v74, v2, v3 offset1:16
	ds_store_2addr_b32 v74, v0, v1 offset0:32 offset1:48
	s_wait_storecnt_dscnt 0x0
	s_barrier_signal -1
	s_barrier_wait -1
	s_and_b32 exec_lo, exec_lo, s0
	s_cbranch_execz .LBB65_2
; %bb.28:                               ;   in Loop: Header=BB65_3 Depth=1
	ds_load_b32 v0, v58
	ds_load_b32 v1, v59
	;; [unrolled: 1-line block ×8, first 2 shown]
	s_add_nc_u64 s[52:53], s[52:53], s[50:51]
	s_wait_dscnt 0x7
	v_add_f32_e32 v0, 0, v0
	s_wait_dscnt 0x6
	s_delay_alu instid0(VALU_DEP_1)
	v_add_f32_e32 v0, v0, v1
	ds_load_b32 v1, v66
	s_wait_dscnt 0x6
	v_add_f32_e32 v0, v0, v2
	ds_load_b32 v2, v67
	s_wait_dscnt 0x6
	;; [unrolled: 3-line block ×3, first 2 shown]
	v_add_f32_e32 v0, v0, v4
	s_wait_dscnt 0x5
	s_delay_alu instid0(VALU_DEP_1) | instskip(SKIP_1) | instid1(VALU_DEP_1)
	v_add_f32_e32 v0, v0, v5
	s_wait_dscnt 0x4
	v_add_f32_e32 v0, v0, v28
	s_wait_dscnt 0x3
	s_delay_alu instid0(VALU_DEP_1)
	v_add_f32_e32 v0, v0, v29
	ds_load_b32 v4, v69
	ds_load_b32 v5, v70
	;; [unrolled: 1-line block ×5, first 2 shown]
	s_wait_dscnt 0x7
	v_add_f32_e32 v0, v0, v1
	s_wait_dscnt 0x6
	s_delay_alu instid0(VALU_DEP_1) | instskip(SKIP_1) | instid1(VALU_DEP_1)
	v_add_f32_e32 v0, v0, v2
	s_wait_dscnt 0x5
	v_add_f32_e32 v0, v0, v3
	s_wait_dscnt 0x4
	s_delay_alu instid0(VALU_DEP_1) | instskip(SKIP_1) | instid1(VALU_DEP_1)
	v_add_f32_e32 v0, v0, v4
	;; [unrolled: 5-line block ×3, first 2 shown]
	s_wait_dscnt 0x1
	v_add_f32_e32 v0, v0, v29
	s_wait_dscnt 0x0
	s_delay_alu instid0(VALU_DEP_1) | instskip(SKIP_1) | instid1(VALU_DEP_2)
	v_add_f32_e32 v2, v0, v30
	v_lshl_add_u64 v[0:1], v[16:17], 2, s[52:53]
	v_mul_f32_e32 v2, v75, v2
	global_atomic_add_f32 v[0:1], v2, off scope:SCOPE_DEV
	s_branch .LBB65_2
.LBB65_29:
	s_sendmsg sendmsg(MSG_DEALLOC_VGPRS)
	s_endpgm
	.section	.rodata,"a",@progbits
	.p2align	6, 0x0
	.amdhsa_kernel _ZL54rocblas_symv_kernel_upper_double_buffered_non_diagonalILi32ELi4ELi4E24rocblas_internal_val_ptrIfEPKfPfEvbiT2_lT3_lllS6_lllT4_llli
		.amdhsa_group_segment_fixed_size 4224
		.amdhsa_private_segment_fixed_size 0
		.amdhsa_kernarg_size 384
		.amdhsa_user_sgpr_count 4
		.amdhsa_user_sgpr_dispatch_ptr 1
		.amdhsa_user_sgpr_queue_ptr 0
		.amdhsa_user_sgpr_kernarg_segment_ptr 1
		.amdhsa_user_sgpr_dispatch_id 0
		.amdhsa_user_sgpr_kernarg_preload_length 0
		.amdhsa_user_sgpr_kernarg_preload_offset 0
		.amdhsa_user_sgpr_private_segment_size 0
		.amdhsa_wavefront_size32 1
		.amdhsa_uses_dynamic_stack 0
		.amdhsa_enable_private_segment 0
		.amdhsa_system_sgpr_workgroup_id_x 1
		.amdhsa_system_sgpr_workgroup_id_y 1
		.amdhsa_system_sgpr_workgroup_id_z 1
		.amdhsa_system_sgpr_workgroup_info 0
		.amdhsa_system_vgpr_workitem_id 2
		.amdhsa_next_free_vgpr 88
		.amdhsa_next_free_sgpr 71
		.amdhsa_named_barrier_count 0
		.amdhsa_reserve_vcc 1
		.amdhsa_float_round_mode_32 0
		.amdhsa_float_round_mode_16_64 0
		.amdhsa_float_denorm_mode_32 3
		.amdhsa_float_denorm_mode_16_64 3
		.amdhsa_fp16_overflow 0
		.amdhsa_memory_ordered 1
		.amdhsa_forward_progress 1
		.amdhsa_inst_pref_size 26
		.amdhsa_round_robin_scheduling 0
		.amdhsa_exception_fp_ieee_invalid_op 0
		.amdhsa_exception_fp_denorm_src 0
		.amdhsa_exception_fp_ieee_div_zero 0
		.amdhsa_exception_fp_ieee_overflow 0
		.amdhsa_exception_fp_ieee_underflow 0
		.amdhsa_exception_fp_ieee_inexact 0
		.amdhsa_exception_int_div_zero 0
	.end_amdhsa_kernel
	.section	.text._ZL54rocblas_symv_kernel_upper_double_buffered_non_diagonalILi32ELi4ELi4E24rocblas_internal_val_ptrIfEPKfPfEvbiT2_lT3_lllS6_lllT4_llli,"axG",@progbits,_ZL54rocblas_symv_kernel_upper_double_buffered_non_diagonalILi32ELi4ELi4E24rocblas_internal_val_ptrIfEPKfPfEvbiT2_lT3_lllS6_lllT4_llli,comdat
.Lfunc_end65:
	.size	_ZL54rocblas_symv_kernel_upper_double_buffered_non_diagonalILi32ELi4ELi4E24rocblas_internal_val_ptrIfEPKfPfEvbiT2_lT3_lllS6_lllT4_llli, .Lfunc_end65-_ZL54rocblas_symv_kernel_upper_double_buffered_non_diagonalILi32ELi4ELi4E24rocblas_internal_val_ptrIfEPKfPfEvbiT2_lT3_lllS6_lllT4_llli
                                        ; -- End function
	.set _ZL54rocblas_symv_kernel_upper_double_buffered_non_diagonalILi32ELi4ELi4E24rocblas_internal_val_ptrIfEPKfPfEvbiT2_lT3_lllS6_lllT4_llli.num_vgpr, 88
	.set _ZL54rocblas_symv_kernel_upper_double_buffered_non_diagonalILi32ELi4ELi4E24rocblas_internal_val_ptrIfEPKfPfEvbiT2_lT3_lllS6_lllT4_llli.num_agpr, 0
	.set _ZL54rocblas_symv_kernel_upper_double_buffered_non_diagonalILi32ELi4ELi4E24rocblas_internal_val_ptrIfEPKfPfEvbiT2_lT3_lllS6_lllT4_llli.numbered_sgpr, 71
	.set _ZL54rocblas_symv_kernel_upper_double_buffered_non_diagonalILi32ELi4ELi4E24rocblas_internal_val_ptrIfEPKfPfEvbiT2_lT3_lllS6_lllT4_llli.num_named_barrier, 0
	.set _ZL54rocblas_symv_kernel_upper_double_buffered_non_diagonalILi32ELi4ELi4E24rocblas_internal_val_ptrIfEPKfPfEvbiT2_lT3_lllS6_lllT4_llli.private_seg_size, 0
	.set _ZL54rocblas_symv_kernel_upper_double_buffered_non_diagonalILi32ELi4ELi4E24rocblas_internal_val_ptrIfEPKfPfEvbiT2_lT3_lllS6_lllT4_llli.uses_vcc, 1
	.set _ZL54rocblas_symv_kernel_upper_double_buffered_non_diagonalILi32ELi4ELi4E24rocblas_internal_val_ptrIfEPKfPfEvbiT2_lT3_lllS6_lllT4_llli.uses_flat_scratch, 0
	.set _ZL54rocblas_symv_kernel_upper_double_buffered_non_diagonalILi32ELi4ELi4E24rocblas_internal_val_ptrIfEPKfPfEvbiT2_lT3_lllS6_lllT4_llli.has_dyn_sized_stack, 0
	.set _ZL54rocblas_symv_kernel_upper_double_buffered_non_diagonalILi32ELi4ELi4E24rocblas_internal_val_ptrIfEPKfPfEvbiT2_lT3_lllS6_lllT4_llli.has_recursion, 0
	.set _ZL54rocblas_symv_kernel_upper_double_buffered_non_diagonalILi32ELi4ELi4E24rocblas_internal_val_ptrIfEPKfPfEvbiT2_lT3_lllS6_lllT4_llli.has_indirect_call, 0
	.section	.AMDGPU.csdata,"",@progbits
; Kernel info:
; codeLenInByte = 3208
; TotalNumSgprs: 73
; NumVgprs: 88
; ScratchSize: 0
; MemoryBound: 0
; FloatMode: 240
; IeeeMode: 1
; LDSByteSize: 4224 bytes/workgroup (compile time only)
; SGPRBlocks: 0
; VGPRBlocks: 5
; NumSGPRsForWavesPerEU: 73
; NumVGPRsForWavesPerEU: 88
; NamedBarCnt: 0
; Occupancy: 10
; WaveLimiterHint : 1
; COMPUTE_PGM_RSRC2:SCRATCH_EN: 0
; COMPUTE_PGM_RSRC2:USER_SGPR: 4
; COMPUTE_PGM_RSRC2:TRAP_HANDLER: 0
; COMPUTE_PGM_RSRC2:TGID_X_EN: 1
; COMPUTE_PGM_RSRC2:TGID_Y_EN: 1
; COMPUTE_PGM_RSRC2:TGID_Z_EN: 1
; COMPUTE_PGM_RSRC2:TIDIG_COMP_CNT: 2
	.section	.text._ZL58rocblas_symv_kernel_upper_double_buffered_diagonal_genericILi32ELi8E24rocblas_internal_val_ptrIfEPKfPfEvbiT1_lT2_lllS6_lllS5_lT3_lllii,"axG",@progbits,_ZL58rocblas_symv_kernel_upper_double_buffered_diagonal_genericILi32ELi8E24rocblas_internal_val_ptrIfEPKfPfEvbiT1_lT2_lllS6_lllS5_lT3_lllii,comdat
	.globl	_ZL58rocblas_symv_kernel_upper_double_buffered_diagonal_genericILi32ELi8E24rocblas_internal_val_ptrIfEPKfPfEvbiT1_lT2_lllS6_lllS5_lT3_lllii ; -- Begin function _ZL58rocblas_symv_kernel_upper_double_buffered_diagonal_genericILi32ELi8E24rocblas_internal_val_ptrIfEPKfPfEvbiT1_lT2_lllS6_lllS5_lT3_lllii
	.p2align	8
	.type	_ZL58rocblas_symv_kernel_upper_double_buffered_diagonal_genericILi32ELi8E24rocblas_internal_val_ptrIfEPKfPfEvbiT1_lT2_lllS6_lllS5_lT3_lllii,@function
_ZL58rocblas_symv_kernel_upper_double_buffered_diagonal_genericILi32ELi8E24rocblas_internal_val_ptrIfEPKfPfEvbiT1_lT2_lllS6_lllS5_lT3_lllii: ; @_ZL58rocblas_symv_kernel_upper_double_buffered_diagonal_genericILi32ELi8E24rocblas_internal_val_ptrIfEPKfPfEvbiT1_lT2_lllS6_lllS5_lT3_lllii
; %bb.0:
	s_load_b64 s[4:5], s[0:1], 0x4
	s_clause 0x1
	s_load_b512 s[8:23], s[2:3], 0x8
	s_load_b256 s[24:31], s[2:3], 0x48
	v_bfe_u32 v8, v0, 10, 10
	v_and_b32_e32 v2, 0x3ff, v0
	s_load_b64 s[34:35], s[2:3], 0x88
	v_bfe_u32 v0, v0, 20, 10
	s_wait_xcnt 0x0
	s_lshr_b32 s1, ttmp7, 16
	s_wait_kmcnt 0x0
	v_mul_u32_u24_e32 v1, s5, v8
	s_lshr_b32 s0, s4, 16
	s_bfe_u32 s4, ttmp6, 0x40008
	s_mul_i32 s0, s0, s5
	v_dual_mov_b32 v4, s8 :: v_dual_mov_b32 v5, s9
	v_mad_u32 v1, s0, v2, v1
	s_bfe_u32 s0, ttmp6, 0x40014
	s_getreg_b32 s9, hwreg(HW_REG_IB_STS2, 6, 4)
	s_add_co_i32 s0, s0, 1
	v_dual_mov_b32 v6, s28 :: v_dual_mov_b32 v7, s29
	s_mul_i32 s0, s1, s0
	s_mov_b32 s29, 0
	s_add_co_i32 s4, s4, s0
	s_cmp_eq_u32 s9, 0
	s_delay_alu instid0(VALU_DEP_2) | instskip(SKIP_1) | instid1(SALU_CYCLE_1)
	v_add_lshl_u32 v0, v1, v0, 3
	s_cselect_b32 s8, s1, s4
	s_cmp_ge_u32 s8, s35
	s_delay_alu instid0(VALU_DEP_1)
	v_add_nc_u32_e32 v1, 0x80, v0
	ds_store_2addr_stride64_b64 v1, v[6:7], v[4:5] offset0:12 offset1:16
	s_cbranch_scc1 .LBB66_56
; %bb.1:
	s_load_b32 s28, s[2:3], 0x0
	v_dual_mov_b32 v3, 0 :: v_dual_add_nc_u32 v14, 0x2080, v0
	s_clause 0x2
	s_load_b64 s[40:41], s[2:3], 0x68
	s_load_b128 s[4:7], s[2:3], 0x70
	s_load_b64 s[36:37], s[2:3], 0x80
	s_add_nc_u64 s[38:39], s[2:3], 0x90
	v_dual_mov_b32 v9, v3 :: v_dual_lshlrev_b32 v10, 2, v2
	v_mul_u64_e32 v[6:7], s[24:25], v[2:3]
	s_add_nc_u64 s[44:45], s[16:17], 1
	v_add_nc_u32_e32 v15, 0x1880, v0
	v_cmp_gt_i32_e64 s33, s34, v2
	v_mul_u64_e32 v[4:5], s[16:17], v[8:9]
	s_wait_xcnt 0x0
	v_cmp_ne_u32_e64 s2, 0, v8
	v_lshl_add_u32 v12, v8, 5, v2
	v_cmp_le_i32_e64 s1, s34, v2
	v_dual_mov_b32 v11, v3 :: v_dual_add_nc_u32 v16, 0x1800, v10
	v_cmp_eq_u32_e64 s0, 0, v8
	v_or_b32_e32 v21, 0x1000, v10
	v_lshlrev_b32_e32 v20, 7, v8
	s_wait_kmcnt 0x0
	s_bitcmp1_b32 s28, 0
	s_cselect_b32 s3, -1, 0
	s_lshl_b64 s[50:51], s[14:15], 2
	s_lshl_b64 s[14:15], s[22:23], 2
	s_bfe_u32 s22, ttmp6, 0x4000c
	s_and_b32 s23, ttmp6, 15
	s_add_co_i32 s22, s22, 1
	s_lshl_b64 s[4:5], s[4:5], 2
	s_mul_i32 s22, ttmp9, s22
	s_xor_b32 s42, s3, -1
	s_add_co_i32 s23, s23, s22
	s_cmp_eq_u32 s9, 0
	s_add_nc_u64 s[20:21], s[20:21], s[14:15]
	s_cselect_b32 s43, ttmp9, s23
	v_mul_u64_e32 v[0:1], s[6:7], v[2:3]
	s_lshl_b32 s22, s43, 5
	s_add_nc_u64 s[46:47], s[12:13], s[50:51]
	s_ashr_i32 s23, s22, 31
	s_add_nc_u64 s[4:5], s[40:41], s[4:5]
	s_mul_u64 s[14:15], s[44:45], s[22:23]
	s_mul_u64 s[6:7], s[6:7], s[22:23]
	s_lshl_b64 s[40:41], s[14:15], 2
	s_mul_u64 s[22:23], s[24:25], s[22:23]
	s_add_nc_u64 s[14:15], s[46:47], s[40:41]
	s_lshl_b64 s[6:7], s[6:7], 2
	s_lshl_b64 s[22:23], s[22:23], 2
	v_lshl_add_u64 v[4:5], v[4:5], 2, s[14:15]
	s_add_nc_u64 s[14:15], s[4:5], s[6:7]
	s_add_nc_u64 s[4:5], s[20:21], s[22:23]
	s_lshl_b64 s[20:21], s[16:17], 5
	v_lshl_add_u64 v[6:7], v[6:7], 2, s[4:5]
	v_sub_co_u32 v9, s4, v2, v8
	s_nor_b32 s44, s2, s33
	s_lshr_b32 s45, s34, 3
	s_cmp_gt_u32 s34, 7
	v_sub_nc_u32_e32 v13, 0, v9
	s_add_nc_u64 s[40:41], s[40:41], s[50:51]
	v_add_nc_u32_e32 v23, 0x800, v20
	v_add_nc_u32_e32 v24, 0xc00, v20
	s_cselect_b32 s46, -1, 0
	v_max_i32_e32 v9, v9, v13
	v_mul_u32_u24_e32 v13, 0x7c, v2
	v_lshlrev_b32_e32 v2, 2, v8
	s_and_b32 s3, s34, 7
	s_xor_b32 s47, s4, -1
	s_add_nc_u64 s[12:13], s[12:13], s[40:41]
	s_cmp_gt_u32 s34, 15
	v_add3_u32 v18, v10, v13, v2
	v_add_nc_u32_e32 v13, 0x400, v20
	v_add_nc_u64_e32 v[4:5], v[4:5], v[10:11]
	v_cmp_gt_u32_e64 s3, s3, v8
	v_cmp_lt_u32_e64 s4, 16, v9
	v_cmp_lt_u32_e64 s5, 24, v9
	;; [unrolled: 1-line block ×3, first 2 shown]
	v_add_nc_u64_e32 v[8:9], s[12:13], v[10:11]
	s_cselect_b32 s34, -1, 0
	s_and_b32 s48, s45, 0x1ffffffe
	v_dual_add_nc_u32 v17, v20, v10 :: v_dual_add_nc_u32 v22, v10, v13
	v_add_nc_u32_e32 v19, 0x1800, v2
	v_lshl_add_u32 v20, v12, 2, 0x1000
	v_dual_add_nc_u32 v23, v10, v23 :: v_dual_add_nc_u32 v24, v10, v24
	s_cmp_lg_u32 s45, s48
	s_mov_b32 s22, s16
	s_mov_b32 s23, s17
	;; [unrolled: 1-line block ×4, first 2 shown]
	s_cselect_b32 s49, -1, 0
	s_lshl_b64 s[12:13], s[18:19], 2
	s_branch .LBB66_4
.LBB66_2:                               ;   in Loop: Header=BB66_4 Depth=1
	s_wait_xcnt 0x0
	s_or_b32 exec_lo, exec_lo, s9
.LBB66_3:                               ;   in Loop: Header=BB66_4 Depth=1
	s_delay_alu instid0(SALU_CYCLE_1) | instskip(SKIP_1) | instid1(SALU_CYCLE_1)
	s_or_b32 exec_lo, exec_lo, s7
	s_add_co_i32 s8, s8, 0x10000
	s_cmp_lt_u32 s8, s35
	s_cbranch_scc0 .LBB66_56
.LBB66_4:                               ; =>This Loop Header: Depth=1
                                        ;     Child Loop BB66_35 Depth 2
                                        ;     Child Loop BB66_42 Depth 2
	s_mov_b32 s9, s29
	s_and_b32 vcc_lo, exec_lo, s42
	s_mov_b32 s7, -1
                                        ; implicit-def: $vgpr26
	s_cbranch_vccnz .LBB66_37
; %bb.5:                                ;   in Loop: Header=BB66_4 Depth=1
	s_and_not1_b32 vcc_lo, exec_lo, s7
	s_cbranch_vccz .LBB66_38
.LBB66_6:                               ;   in Loop: Header=BB66_4 Depth=1
	s_and_b32 vcc_lo, exec_lo, s42
	s_mov_b32 s7, -1
                                        ; implicit-def: $vgpr25
	s_cbranch_vccnz .LBB66_39
.LBB66_7:                               ;   in Loop: Header=BB66_4 Depth=1
	s_and_not1_b32 vcc_lo, exec_lo, s7
	s_cbranch_vccnz .LBB66_9
.LBB66_8:                               ;   in Loop: Header=BB66_4 Depth=1
	s_wait_loadcnt_dscnt 0x0
	ds_load_b32 v25, v15
.LBB66_9:                               ;   in Loop: Header=BB66_4 Depth=1
	s_wait_loadcnt_dscnt 0x0
	v_cmp_neq_f32_e32 vcc_lo, 0, v26
	v_cmp_neq_f32_e64 s7, 1.0, v25
	s_or_b32 s28, vcc_lo, s7
	s_wait_xcnt 0x0
	s_and_saveexec_b32 s7, s28
	s_cbranch_execz .LBB66_3
; %bb.10:                               ;   in Loop: Header=BB66_4 Depth=1
	s_mul_u64 s[40:41], s[36:37], s[8:9]
	s_mov_b32 s28, exec_lo
	s_lshl_b64 s[40:41], s[40:41], 2
	s_delay_alu instid0(SALU_CYCLE_1)
	s_add_nc_u64 s[40:41], s[14:15], s[40:41]
	v_cmpx_eq_f32_e32 0, v26
	s_xor_b32 s28, exec_lo, s28
	s_cbranch_execz .LBB66_17
; %bb.11:                               ;   in Loop: Header=BB66_4 Depth=1
	s_and_saveexec_b32 s50, s0
	s_cbranch_execz .LBB66_16
; %bb.12:                               ;   in Loop: Header=BB66_4 Depth=1
	s_mov_b32 s52, s33
	s_and_saveexec_b32 s51, s1
	s_cbranch_execz .LBB66_14
; %bb.13:                               ;   in Loop: Header=BB66_4 Depth=1
	s_load_b32 s52, s[38:39], 0x0
	s_wait_kmcnt 0x0
	s_add_co_i32 s52, s52, -1
	s_delay_alu instid0(SALU_CYCLE_1) | instskip(SKIP_3) | instid1(SALU_CYCLE_1)
	s_cmp_lt_u32 s43, s52
	s_cselect_b32 s52, -1, 0
	s_and_not1_b32 s53, s33, exec_lo
	s_and_b32 s52, s52, exec_lo
	s_or_b32 s52, s53, s52
.LBB66_14:                              ;   in Loop: Header=BB66_4 Depth=1
	s_or_b32 exec_lo, exec_lo, s51
	s_delay_alu instid0(SALU_CYCLE_1)
	s_and_b32 exec_lo, exec_lo, s52
	s_cbranch_execz .LBB66_16
; %bb.15:                               ;   in Loop: Header=BB66_4 Depth=1
	v_lshl_add_u64 v[10:11], v[0:1], 2, s[40:41]
	global_load_b32 v12, v[10:11], off
	s_wait_loadcnt 0x0
	v_mul_f32_e32 v12, v25, v12
	global_store_b32 v[10:11], v12, off
.LBB66_16:                              ;   in Loop: Header=BB66_4 Depth=1
	s_wait_xcnt 0x0
	s_or_b32 exec_lo, exec_lo, s50
                                        ; implicit-def: $vgpr25
                                        ; implicit-def: $vgpr26
.LBB66_17:                              ;   in Loop: Header=BB66_4 Depth=1
	s_and_not1_saveexec_b32 s28, s28
	s_cbranch_execz .LBB66_3
; %bb.18:                               ;   in Loop: Header=BB66_4 Depth=1
	v_mov_b32_e32 v27, 0
	s_and_saveexec_b32 s28, s0
	s_cbranch_execz .LBB66_26
; %bb.19:                               ;   in Loop: Header=BB66_4 Depth=1
	s_mov_b32 s51, s33
	s_and_saveexec_b32 s50, s1
	s_cbranch_execz .LBB66_21
; %bb.20:                               ;   in Loop: Header=BB66_4 Depth=1
	s_load_b32 s51, s[38:39], 0x0
	s_wait_kmcnt 0x0
	s_add_co_i32 s51, s51, -1
	s_delay_alu instid0(SALU_CYCLE_1) | instskip(SKIP_3) | instid1(SALU_CYCLE_1)
	s_cmp_lt_u32 s43, s51
	s_cselect_b32 s51, -1, 0
	s_and_not1_b32 s52, s33, exec_lo
	s_and_b32 s51, s51, exec_lo
	s_or_b32 s51, s52, s51
.LBB66_21:                              ;   in Loop: Header=BB66_4 Depth=1
	s_or_b32 exec_lo, exec_lo, s50
	v_mov_b32_e32 v27, 0
	s_and_saveexec_b32 s50, s51
	s_cbranch_execz .LBB66_25
; %bb.22:                               ;   in Loop: Header=BB66_4 Depth=1
	s_mul_u64 s[52:53], s[26:27], s[8:9]
	v_mov_b32_e32 v27, 0
	v_lshl_add_u64 v[10:11], s[52:53], 2, v[6:7]
	s_mov_b32 s51, exec_lo
	global_load_b32 v10, v[10:11], off
	s_wait_loadcnt 0x0
	ds_store_b32 v16, v10
	s_wait_xcnt 0x0
	v_cmpx_neq_f32_e32 0, v25
	s_cbranch_execz .LBB66_24
; %bb.23:                               ;   in Loop: Header=BB66_4 Depth=1
	v_lshl_add_u64 v[10:11], v[0:1], 2, s[40:41]
	global_load_b32 v10, v[10:11], off
	s_wait_loadcnt 0x0
	v_mul_f32_e32 v27, v25, v10
.LBB66_24:                              ;   in Loop: Header=BB66_4 Depth=1
	s_wait_xcnt 0x0
	s_or_b32 exec_lo, exec_lo, s51
.LBB66_25:                              ;   in Loop: Header=BB66_4 Depth=1
	s_delay_alu instid0(SALU_CYCLE_1)
	s_or_b32 exec_lo, exec_lo, s50
.LBB66_26:                              ;   in Loop: Header=BB66_4 Depth=1
	s_delay_alu instid0(SALU_CYCLE_1) | instskip(SKIP_2) | instid1(SALU_CYCLE_1)
	s_or_b32 exec_lo, exec_lo, s28
	s_load_b32 s28, s[38:39], 0x0
	s_mul_u64 s[50:51], s[18:19], s[8:9]
	v_lshl_add_u64 v[10:11], s[50:51], 2, v[4:5]
	s_wait_kmcnt 0x0
	s_add_co_i32 s9, s28, -1
	s_mov_b32 s28, -1
	s_cmp_eq_u32 s43, s9
	s_cbranch_scc1 .LBB66_28
; %bb.27:                               ;   in Loop: Header=BB66_4 Depth=1
	v_add_nc_u64_e32 v[12:13], s[20:21], v[10:11]
	s_mov_b32 s28, 0
	s_delay_alu instid0(VALU_DEP_1) | instskip(NEXT) | instid1(VALU_DEP_1)
	v_add_nc_u64_e32 v[28:29], s[20:21], v[12:13]
	v_add_nc_u64_e32 v[30:31], s[20:21], v[28:29]
	s_clause 0x3
	global_load_b32 v32, v[10:11], off
	global_load_b32 v33, v[12:13], off
	;; [unrolled: 1-line block ×4, first 2 shown]
	s_wait_loadcnt 0x2
	ds_store_2addr_stride64_b32 v17, v32, v33 offset1:4
	s_wait_loadcnt 0x0
	ds_store_2addr_stride64_b32 v17, v34, v35 offset0:8 offset1:12
.LBB66_28:                              ;   in Loop: Header=BB66_4 Depth=1
	s_and_not1_b32 vcc_lo, exec_lo, s28
	s_cbranch_vccnz .LBB66_46
; %bb.29:                               ;   in Loop: Header=BB66_4 Depth=1
	ds_store_2addr_stride64_b32 v17, v3, v3 offset1:4
	ds_store_2addr_stride64_b32 v17, v3, v3 offset0:8 offset1:12
	s_wait_xcnt 0x0
	s_and_saveexec_b32 s28, s44
; %bb.30:                               ;   in Loop: Header=BB66_4 Depth=1
	ds_store_b32 v16, v3
; %bb.31:                               ;   in Loop: Header=BB66_4 Depth=1
	s_or_b32 exec_lo, exec_lo, s28
	s_and_saveexec_b32 s50, s33
	s_cbranch_execz .LBB66_45
; %bb.32:                               ;   in Loop: Header=BB66_4 Depth=1
	s_and_not1_b32 vcc_lo, exec_lo, s46
	s_mov_b32 s51, 0
	s_cbranch_vccnz .LBB66_43
; %bb.33:                               ;   in Loop: Header=BB66_4 Depth=1
	s_and_not1_b32 vcc_lo, exec_lo, s34
	s_cbranch_vccnz .LBB66_40
; %bb.34:                               ;   in Loop: Header=BB66_4 Depth=1
	s_mov_b32 s51, 1
	s_mov_b32 s52, 0
	;; [unrolled: 1-line block ×3, first 2 shown]
.LBB66_35:                              ;   Parent Loop BB66_4 Depth=1
                                        ; =>  This Inner Loop Header: Depth=2
	s_lshl_b32 s28, s52, 3
	s_lshl_b32 s54, s51, 3
	s_mov_b32 s55, s29
	s_mul_u64 s[56:57], s[22:23], s[28:29]
	s_mul_u64 s[54:55], s[24:25], s[54:55]
	v_lshl_add_u64 v[12:13], s[56:57], 2, v[10:11]
	s_wait_xcnt 0x0
	v_lshl_add_u64 v[28:29], s[54:55], 2, v[10:11]
	s_add_co_i32 s53, s53, -2
	s_mov_b32 s54, s49
	s_clause 0x1
	global_load_b32 v30, v[12:13], off
	global_load_b32 v31, v[28:29], off
	s_wait_xcnt 0x1
	v_lshl_add_u32 v12, s52, 10, v17
	v_lshl_add_u32 v13, s51, 10, v17
	s_add_co_i32 s52, s52, 2
	s_add_co_i32 s51, s51, 2
	s_cmp_lg_u32 s53, 0
	s_mov_b32 s28, s48
	s_wait_loadcnt 0x1
	ds_store_b32 v12, v30
	s_wait_loadcnt 0x0
	ds_store_b32 v13, v31
	s_cbranch_scc1 .LBB66_35
; %bb.36:                               ;   in Loop: Header=BB66_4 Depth=1
	s_and_b32 vcc_lo, exec_lo, s54
	s_mov_b32 s51, s45
	s_cbranch_vccnz .LBB66_41
	s_branch .LBB66_43
.LBB66_37:                              ;   in Loop: Header=BB66_4 Depth=1
	ds_load_b64 v[10:11], v14
	s_mul_u64 s[40:41], s[10:11], s[8:9]
	s_wait_dscnt 0x0
	v_lshl_add_u64 v[10:11], s[40:41], 2, v[10:11]
	flat_load_b32 v26, v[10:11]
	s_cbranch_execnz .LBB66_6
.LBB66_38:                              ;   in Loop: Header=BB66_4 Depth=1
	s_wait_loadcnt_dscnt 0x0
	ds_load_b32 v26, v14
	s_and_b32 vcc_lo, exec_lo, s42
	s_mov_b32 s7, -1
                                        ; implicit-def: $vgpr25
	s_cbranch_vccz .LBB66_7
.LBB66_39:                              ;   in Loop: Header=BB66_4 Depth=1
	s_wait_xcnt 0x0
	ds_load_b64 v[10:11], v15
	s_mul_u64 s[40:41], s[30:31], s[8:9]
	s_wait_dscnt 0x0
	v_lshl_add_u64 v[10:11], s[40:41], 2, v[10:11]
	flat_load_b32 v25, v[10:11]
	s_cbranch_execz .LBB66_8
	s_branch .LBB66_9
.LBB66_40:                              ;   in Loop: Header=BB66_4 Depth=1
	s_mov_b32 s28, 0
	s_mov_b32 s51, s45
	s_cbranch_execz .LBB66_43
.LBB66_41:                              ;   in Loop: Header=BB66_4 Depth=1
	s_lshl_b64 s[52:53], s[28:29], 5
	s_wait_xcnt 0x0
	v_lshl_add_u32 v28, s28, 10, v17
	v_add_nc_u64_e32 v[12:13], s[52:53], v[2:3]
	s_sub_co_i32 s28, s45, s28
	s_delay_alu instid0(VALU_DEP_1) | instskip(NEXT) | instid1(VALU_DEP_1)
	v_mul_u64_e32 v[12:13], s[16:17], v[12:13]
	v_mad_nc_u64_u32 v[12:13], s12, s8, v[12:13]
	s_delay_alu instid0(VALU_DEP_1) | instskip(NEXT) | instid1(VALU_DEP_1)
	v_mad_u32 v13, s13, s8, v13
	v_add_nc_u64_e32 v[12:13], v[8:9], v[12:13]
.LBB66_42:                              ;   Parent Loop BB66_4 Depth=1
                                        ; =>  This Inner Loop Header: Depth=2
	global_load_b32 v29, v[12:13], off
	s_wait_xcnt 0x0
	v_add_nc_u64_e32 v[12:13], s[20:21], v[12:13]
	s_add_co_i32 s28, s28, -1
	s_mov_b32 s51, s45
	s_cmp_lg_u32 s28, 0
	s_wait_loadcnt 0x0
	ds_store_b32 v28, v29
	v_add_nc_u32_e32 v28, 0x400, v28
	s_cbranch_scc1 .LBB66_42
.LBB66_43:                              ;   in Loop: Header=BB66_4 Depth=1
	s_wait_xcnt 0x0
	s_and_b32 exec_lo, exec_lo, s3
	s_cbranch_execz .LBB66_45
; %bb.44:                               ;   in Loop: Header=BB66_4 Depth=1
	s_lshl_b32 s28, s51, 3
	s_delay_alu instid0(SALU_CYCLE_1) | instskip(NEXT) | instid1(SALU_CYCLE_1)
	s_mul_u64 s[52:53], s[16:17], s[28:29]
	v_lshl_add_u64 v[10:11], s[52:53], 2, v[10:11]
	global_load_b32 v10, v[10:11], off
	s_wait_xcnt 0x0
	v_lshl_add_u32 v11, s51, 10, v17
	s_wait_loadcnt 0x0
	ds_store_b32 v11, v10
.LBB66_45:                              ;   in Loop: Header=BB66_4 Depth=1
	s_or_b32 exec_lo, exec_lo, s50
.LBB66_46:                              ;   in Loop: Header=BB66_4 Depth=1
	s_wait_storecnt_dscnt 0x0
	s_barrier_signal -1
	s_barrier_wait -1
	s_wait_xcnt 0x0
	s_and_saveexec_b32 s28, s4
	s_cbranch_execnz .LBB66_53
; %bb.47:                               ;   in Loop: Header=BB66_4 Depth=1
	s_or_b32 exec_lo, exec_lo, s28
	s_and_saveexec_b32 s28, s5
	s_cbranch_execnz .LBB66_54
.LBB66_48:                              ;   in Loop: Header=BB66_4 Depth=1
	s_or_b32 exec_lo, exec_lo, s28
	s_and_saveexec_b32 s28, s47
	s_cbranch_execnz .LBB66_55
.LBB66_49:                              ;   in Loop: Header=BB66_4 Depth=1
	s_or_b32 exec_lo, exec_lo, s28
	s_and_saveexec_b32 s28, s6
	s_cbranch_execz .LBB66_51
.LBB66_50:                              ;   in Loop: Header=BB66_4 Depth=1
	ds_load_b32 v10, v18 offset:32
	s_wait_dscnt 0x0
	ds_store_b32 v22, v10
.LBB66_51:                              ;   in Loop: Header=BB66_4 Depth=1
	s_or_b32 exec_lo, exec_lo, s28
	s_wait_dscnt 0x0
	s_barrier_signal -1
	s_barrier_wait -1
	ds_load_b32 v10, v17
	ds_load_b32 v11, v22
	ds_load_2addr_b32 v[12:13], v19 offset1:8
	ds_load_2addr_b32 v[28:29], v19 offset0:16 offset1:24
	ds_load_b32 v30, v23
	ds_load_b32 v31, v24
	s_cmp_ge_u32 s43, s9
	s_cselect_b32 s9, -1, 0
	s_delay_alu instid0(SALU_CYCLE_1) | instskip(NEXT) | instid1(SALU_CYCLE_1)
	s_and_b32 s9, s1, s9
	s_nor_b32 s28, s9, s2
	s_wait_dscnt 0x3
	v_pk_mul_f32 v[10:11], v[10:11], v[12:13]
	s_wait_dscnt 0x0
	v_pk_mul_f32 v[12:13], v[30:31], v[28:29]
	s_delay_alu instid0(VALU_DEP_2) | instskip(NEXT) | instid1(VALU_DEP_1)
	v_add_f32_e32 v10, 0, v10
	v_add_f32_e32 v10, v10, v11
	s_delay_alu instid0(VALU_DEP_1) | instskip(NEXT) | instid1(VALU_DEP_1)
	v_add_f32_e32 v10, v10, v12
	v_add_f32_e32 v10, v10, v13
	ds_store_b32 v20, v10
	s_wait_dscnt 0x0
	s_barrier_signal -1
	s_barrier_wait -1
	s_and_saveexec_b32 s9, s28
	s_cbranch_execz .LBB66_2
; %bb.52:                               ;   in Loop: Header=BB66_4 Depth=1
	ds_load_2addr_b32 v[10:11], v21 offset1:32
	ds_load_2addr_b32 v[12:13], v21 offset0:64 offset1:96
	ds_load_2addr_b32 v[28:29], v21 offset0:128 offset1:160
	v_cmp_neq_f32_e32 vcc_lo, 0, v25
	s_wait_dscnt 0x2
	v_add_f32_e32 v10, 0, v10
	s_delay_alu instid0(VALU_DEP_1) | instskip(SKIP_3) | instid1(VALU_DEP_1)
	v_add_f32_e32 v30, v10, v11
	ds_load_2addr_b32 v[10:11], v21 offset0:192 offset1:224
	s_wait_dscnt 0x2
	v_add_f32_e32 v12, v30, v12
	v_add_f32_e32 v12, v12, v13
	s_wait_dscnt 0x1
	s_delay_alu instid0(VALU_DEP_1) | instskip(NEXT) | instid1(VALU_DEP_1)
	v_add_f32_e32 v12, v12, v28
	v_add_f32_e32 v12, v12, v29
	s_wait_dscnt 0x0
	s_delay_alu instid0(VALU_DEP_1) | instskip(NEXT) | instid1(VALU_DEP_1)
	v_add_f32_e32 v10, v12, v10
	v_add_f32_e32 v10, v10, v11
	s_delay_alu instid0(VALU_DEP_1) | instskip(NEXT) | instid1(VALU_DEP_1)
	v_dual_mul_f32 v11, v26, v10 :: v_dual_fmac_f32 v27, v26, v10
	v_cndmask_b32_e32 v12, v11, v27, vcc_lo
	v_lshl_add_u64 v[10:11], v[0:1], 2, s[40:41]
	global_store_b32 v[10:11], v12, off
	s_branch .LBB66_2
.LBB66_53:                              ;   in Loop: Header=BB66_4 Depth=1
	ds_load_b32 v10, v18 offset:64
	s_wait_dscnt 0x0
	ds_store_b32 v17, v10 offset:2048
	s_or_b32 exec_lo, exec_lo, s28
	s_and_saveexec_b32 s28, s5
	s_cbranch_execz .LBB66_48
.LBB66_54:                              ;   in Loop: Header=BB66_4 Depth=1
	ds_load_b32 v10, v18 offset:96
	s_wait_dscnt 0x0
	ds_store_b32 v17, v10 offset:3072
	s_or_b32 exec_lo, exec_lo, s28
	s_and_saveexec_b32 s28, s47
	s_cbranch_execz .LBB66_49
.LBB66_55:                              ;   in Loop: Header=BB66_4 Depth=1
	ds_load_b32 v10, v18
	s_wait_dscnt 0x0
	ds_store_b32 v17, v10
	s_or_b32 exec_lo, exec_lo, s28
	s_and_saveexec_b32 s28, s6
	s_cbranch_execnz .LBB66_50
	s_branch .LBB66_51
.LBB66_56:
	s_endpgm
	.section	.rodata,"a",@progbits
	.p2align	6, 0x0
	.amdhsa_kernel _ZL58rocblas_symv_kernel_upper_double_buffered_diagonal_genericILi32ELi8E24rocblas_internal_val_ptrIfEPKfPfEvbiT1_lT2_lllS6_lllS5_lT3_lllii
		.amdhsa_group_segment_fixed_size 10368
		.amdhsa_private_segment_fixed_size 0
		.amdhsa_kernarg_size 400
		.amdhsa_user_sgpr_count 4
		.amdhsa_user_sgpr_dispatch_ptr 1
		.amdhsa_user_sgpr_queue_ptr 0
		.amdhsa_user_sgpr_kernarg_segment_ptr 1
		.amdhsa_user_sgpr_dispatch_id 0
		.amdhsa_user_sgpr_kernarg_preload_length 0
		.amdhsa_user_sgpr_kernarg_preload_offset 0
		.amdhsa_user_sgpr_private_segment_size 0
		.amdhsa_wavefront_size32 1
		.amdhsa_uses_dynamic_stack 0
		.amdhsa_enable_private_segment 0
		.amdhsa_system_sgpr_workgroup_id_x 1
		.amdhsa_system_sgpr_workgroup_id_y 0
		.amdhsa_system_sgpr_workgroup_id_z 1
		.amdhsa_system_sgpr_workgroup_info 0
		.amdhsa_system_vgpr_workitem_id 2
		.amdhsa_next_free_vgpr 36
		.amdhsa_next_free_sgpr 58
		.amdhsa_named_barrier_count 0
		.amdhsa_reserve_vcc 1
		.amdhsa_float_round_mode_32 0
		.amdhsa_float_round_mode_16_64 0
		.amdhsa_float_denorm_mode_32 3
		.amdhsa_float_denorm_mode_16_64 3
		.amdhsa_fp16_overflow 0
		.amdhsa_memory_ordered 1
		.amdhsa_forward_progress 1
		.amdhsa_inst_pref_size 19
		.amdhsa_round_robin_scheduling 0
		.amdhsa_exception_fp_ieee_invalid_op 0
		.amdhsa_exception_fp_denorm_src 0
		.amdhsa_exception_fp_ieee_div_zero 0
		.amdhsa_exception_fp_ieee_overflow 0
		.amdhsa_exception_fp_ieee_underflow 0
		.amdhsa_exception_fp_ieee_inexact 0
		.amdhsa_exception_int_div_zero 0
	.end_amdhsa_kernel
	.section	.text._ZL58rocblas_symv_kernel_upper_double_buffered_diagonal_genericILi32ELi8E24rocblas_internal_val_ptrIfEPKfPfEvbiT1_lT2_lllS6_lllS5_lT3_lllii,"axG",@progbits,_ZL58rocblas_symv_kernel_upper_double_buffered_diagonal_genericILi32ELi8E24rocblas_internal_val_ptrIfEPKfPfEvbiT1_lT2_lllS6_lllS5_lT3_lllii,comdat
.Lfunc_end66:
	.size	_ZL58rocblas_symv_kernel_upper_double_buffered_diagonal_genericILi32ELi8E24rocblas_internal_val_ptrIfEPKfPfEvbiT1_lT2_lllS6_lllS5_lT3_lllii, .Lfunc_end66-_ZL58rocblas_symv_kernel_upper_double_buffered_diagonal_genericILi32ELi8E24rocblas_internal_val_ptrIfEPKfPfEvbiT1_lT2_lllS6_lllS5_lT3_lllii
                                        ; -- End function
	.set _ZL58rocblas_symv_kernel_upper_double_buffered_diagonal_genericILi32ELi8E24rocblas_internal_val_ptrIfEPKfPfEvbiT1_lT2_lllS6_lllS5_lT3_lllii.num_vgpr, 36
	.set _ZL58rocblas_symv_kernel_upper_double_buffered_diagonal_genericILi32ELi8E24rocblas_internal_val_ptrIfEPKfPfEvbiT1_lT2_lllS6_lllS5_lT3_lllii.num_agpr, 0
	.set _ZL58rocblas_symv_kernel_upper_double_buffered_diagonal_genericILi32ELi8E24rocblas_internal_val_ptrIfEPKfPfEvbiT1_lT2_lllS6_lllS5_lT3_lllii.numbered_sgpr, 58
	.set _ZL58rocblas_symv_kernel_upper_double_buffered_diagonal_genericILi32ELi8E24rocblas_internal_val_ptrIfEPKfPfEvbiT1_lT2_lllS6_lllS5_lT3_lllii.num_named_barrier, 0
	.set _ZL58rocblas_symv_kernel_upper_double_buffered_diagonal_genericILi32ELi8E24rocblas_internal_val_ptrIfEPKfPfEvbiT1_lT2_lllS6_lllS5_lT3_lllii.private_seg_size, 0
	.set _ZL58rocblas_symv_kernel_upper_double_buffered_diagonal_genericILi32ELi8E24rocblas_internal_val_ptrIfEPKfPfEvbiT1_lT2_lllS6_lllS5_lT3_lllii.uses_vcc, 1
	.set _ZL58rocblas_symv_kernel_upper_double_buffered_diagonal_genericILi32ELi8E24rocblas_internal_val_ptrIfEPKfPfEvbiT1_lT2_lllS6_lllS5_lT3_lllii.uses_flat_scratch, 0
	.set _ZL58rocblas_symv_kernel_upper_double_buffered_diagonal_genericILi32ELi8E24rocblas_internal_val_ptrIfEPKfPfEvbiT1_lT2_lllS6_lllS5_lT3_lllii.has_dyn_sized_stack, 0
	.set _ZL58rocblas_symv_kernel_upper_double_buffered_diagonal_genericILi32ELi8E24rocblas_internal_val_ptrIfEPKfPfEvbiT1_lT2_lllS6_lllS5_lT3_lllii.has_recursion, 0
	.set _ZL58rocblas_symv_kernel_upper_double_buffered_diagonal_genericILi32ELi8E24rocblas_internal_val_ptrIfEPKfPfEvbiT1_lT2_lllS6_lllS5_lT3_lllii.has_indirect_call, 0
	.section	.AMDGPU.csdata,"",@progbits
; Kernel info:
; codeLenInByte = 2348
; TotalNumSgprs: 60
; NumVgprs: 36
; ScratchSize: 0
; MemoryBound: 0
; FloatMode: 240
; IeeeMode: 1
; LDSByteSize: 10368 bytes/workgroup (compile time only)
; SGPRBlocks: 0
; VGPRBlocks: 2
; NumSGPRsForWavesPerEU: 60
; NumVGPRsForWavesPerEU: 36
; NamedBarCnt: 0
; Occupancy: 16
; WaveLimiterHint : 1
; COMPUTE_PGM_RSRC2:SCRATCH_EN: 0
; COMPUTE_PGM_RSRC2:USER_SGPR: 4
; COMPUTE_PGM_RSRC2:TRAP_HANDLER: 0
; COMPUTE_PGM_RSRC2:TGID_X_EN: 1
; COMPUTE_PGM_RSRC2:TGID_Y_EN: 0
; COMPUTE_PGM_RSRC2:TGID_Z_EN: 1
; COMPUTE_PGM_RSRC2:TIDIG_COMP_CNT: 2
	.section	.text._ZL62rocblas_symv_kernel_upper_double_buffered_non_diagonal_genericILi32ELi8ELi2ELi0E24rocblas_internal_val_ptrIfEPKfPfEvbiT3_lT4_lllS6_lllT5_lllii,"axG",@progbits,_ZL62rocblas_symv_kernel_upper_double_buffered_non_diagonal_genericILi32ELi8ELi2ELi0E24rocblas_internal_val_ptrIfEPKfPfEvbiT3_lT4_lllS6_lllT5_lllii,comdat
	.globl	_ZL62rocblas_symv_kernel_upper_double_buffered_non_diagonal_genericILi32ELi8ELi2ELi0E24rocblas_internal_val_ptrIfEPKfPfEvbiT3_lT4_lllS6_lllT5_lllii ; -- Begin function _ZL62rocblas_symv_kernel_upper_double_buffered_non_diagonal_genericILi32ELi8ELi2ELi0E24rocblas_internal_val_ptrIfEPKfPfEvbiT3_lT4_lllS6_lllT5_lllii
	.p2align	8
	.type	_ZL62rocblas_symv_kernel_upper_double_buffered_non_diagonal_genericILi32ELi8ELi2ELi0E24rocblas_internal_val_ptrIfEPKfPfEvbiT3_lT4_lllS6_lllT5_lllii,@function
_ZL62rocblas_symv_kernel_upper_double_buffered_non_diagonal_genericILi32ELi8ELi2ELi0E24rocblas_internal_val_ptrIfEPKfPfEvbiT3_lT4_lllS6_lllT5_lllii: ; @_ZL62rocblas_symv_kernel_upper_double_buffered_non_diagonal_genericILi32ELi8ELi2ELi0E24rocblas_internal_val_ptrIfEPKfPfEvbiT3_lT4_lllS6_lllT5_lllii
; %bb.0:
	s_load_b64 s[20:21], s[0:1], 0x4
	s_load_b512 s[4:19], s[2:3], 0x8
	v_bfe_u32 v1, v0, 10, 10
	s_load_b64 s[28:29], s[2:3], 0x78
	v_and_b32_e32 v2, 0x3ff, v0
	s_wait_xcnt 0x0
	s_lshr_b32 s1, ttmp7, 16
	v_bfe_u32 v0, v0, 20, 10
	s_wait_kmcnt 0x0
	v_mul_u32_u24_e32 v3, s21, v1
	s_lshr_b32 s0, s20, 16
	v_dual_mov_b32 v4, s4 :: v_dual_mov_b32 v5, s5
	s_mul_i32 s0, s0, s21
	s_bfe_u32 s5, ttmp6, 0x40008
	v_mad_u32 v3, s0, v2, v3
	s_bfe_u32 s0, ttmp6, 0x40014
	s_delay_alu instid0(SALU_CYCLE_1) | instskip(NEXT) | instid1(SALU_CYCLE_1)
	s_add_co_i32 s0, s0, 1
	s_mul_i32 s4, s1, s0
	s_getreg_b32 s0, hwreg(HW_REG_IB_STS2, 6, 4)
	s_add_co_i32 s5, s5, s4
	s_cmp_eq_u32 s0, 0
	s_cselect_b32 s4, s1, s5
	s_delay_alu instid0(VALU_DEP_1)
	v_add_lshl_u32 v0, v3, v0, 3
	s_cmp_ge_u32 s4, s29
	s_mov_b32 s5, 0
	ds_store_b64 v0, v[4:5] offset:4224
	s_cbranch_scc1 .LBB67_44
; %bb.1:
	s_clause 0x2
	s_load_b32 s1, s[2:3], 0x0
	s_load_b128 s[20:23], s[2:3], 0x60
	s_load_b64 s[34:35], s[2:3], 0x58
	v_add_nc_u32_e32 v33, 0x1080, v0
	v_lshl_add_u32 v0, v1, 5, v2
	v_dual_mov_b32 v3, 0 :: v_dual_bitop2_b32 v8, 15, v2 bitop3:0x40
	v_lshl_add_u32 v20, v2, 6, 0x800
	s_clause 0x1
	s_load_b128 s[24:27], s[2:3], 0x48
	s_load_b64 s[30:31], s[2:3], 0x70
	v_lshrrev_b32_e32 v12, 4, v0
	v_dual_lshlrev_b32 v0, 2, v8 :: v_dual_bitop2_b32 v10, 16, v8 bitop3:0x54
	v_dual_mov_b32 v9, v3 :: v_dual_mov_b32 v11, v3
	s_delay_alu instid0(VALU_DEP_3) | instskip(NEXT) | instid1(VALU_DEP_3)
	v_dual_lshlrev_b32 v48, 7, v12 :: v_dual_lshlrev_b32 v14, 3, v12
	v_dual_add_nc_u32 v16, 3, v2 :: v_dual_bitop2_b32 v53, v20, v0 bitop3:0x54
	v_dual_lshlrev_b32 v13, 1, v12 :: v_dual_lshlrev_b32 v43, 2, v2
	s_wait_kmcnt 0x0
	s_bitcmp1_b32 s1, 0
	v_add_nc_u32_e32 v24, 14, v2
	s_cselect_b32 s1, -1, 0
	s_bfe_u32 s37, ttmp6, 0x4000c
	s_bfe_u32 s39, ttmp6, 0x40010
	s_and_b32 s38, ttmp7, 0xffff
	s_add_co_i32 s37, s37, 1
	s_add_co_i32 s39, s39, 1
	s_and_b32 s36, ttmp6, 15
	s_bfe_u32 s40, ttmp6, 0x40004
	s_xor_b32 s33, s1, -1
	s_mul_i32 s1, ttmp9, s37
	s_mul_i32 s37, s38, s39
	s_lshl_b64 s[18:19], s[18:19], 2
	s_lshl_b64 s[20:21], s[20:21], 2
	;; [unrolled: 1-line block ×3, first 2 shown]
	s_add_co_i32 s36, s36, s1
	s_add_co_i32 s40, s40, s37
	s_cmp_eq_u32 s0, 0
	s_add_nc_u64 s[20:21], s[34:35], s[20:21]
	s_cselect_b32 s34, ttmp9, s36
	s_cselect_b32 s66, s38, s40
	s_lshl_b32 s42, s34, 5
	s_lshl_b32 s67, s66, 5
	s_ashr_i32 s43, s42, 31
	s_add_nc_u64 s[0:1], s[8:9], s[44:45]
	s_mul_u64 s[36:37], s[12:13], s[42:43]
	v_mad_nc_u64_u32 v[4:5], s12, v13, v[8:9]
	s_lshl_b64 s[46:47], s[36:37], 2
	s_cmp_lg_u32 s34, 0
	s_add_nc_u64 s[36:37], s[0:1], s[46:47]
	s_cselect_b32 s68, -1, 0
	s_lshr_b32 s0, s28, 31
	v_cmp_gt_i32_e64 s1, s28, v2
	s_add_co_i32 s0, s28, s0
	v_mul_u64_e32 v[6:7], s[24:25], v[2:3]
	s_ashr_i32 s35, s0, 1
	v_cmp_eq_u32_e64 s0, 0, v1
	v_or_b32_e32 v1, 0x800, v0
	v_or_b32_e32 v50, v0, v48
	v_mad_u32 v5, s13, v13, v5
	v_cmp_gt_i32_e64 s28, s35, v12
	v_mul_u64_e32 v[8:9], s[24:25], v[8:9]
	v_dual_add_nc_u32 v51, v1, v48 :: v_dual_add_nc_u32 v1, 1, v2
	v_add_nc_u32_e32 v15, 2, v2
	v_add_nc_u32_e32 v52, 0x1000, v14
	v_mul_u64_e32 v[10:11], s[24:25], v[10:11]
	v_mul_u64_e32 v[12:13], s[22:23], v[2:3]
	v_dual_add_nc_u32 v17, 4, v2 :: v_dual_bitop2_b32 v1, 15, v1 bitop3:0x40
	v_and_b32_e32 v15, 15, v15
	v_or_b32_e32 v49, 0x1000, v43
	s_mul_u64 s[48:49], s[24:25], s[42:43]
	s_delay_alu instid0(VALU_DEP_3) | instskip(SKIP_4) | instid1(VALU_DEP_4)
	v_lshl_or_b32 v54, v1, 2, v20
	v_dual_add_nc_u32 v16, 5, v2 :: v_dual_bitop2_b32 v1, 15, v16 bitop3:0x40
	v_and_b32_e32 v17, 15, v17
	v_lshl_or_b32 v55, v15, 2, v20
	v_add_nc_u32_e32 v15, 6, v2
	v_lshl_or_b32 v56, v1, 2, v20
	v_dual_add_nc_u32 v16, 7, v2 :: v_dual_bitop2_b32 v1, 15, v16 bitop3:0x40
	v_lshl_or_b32 v57, v17, 2, v20
	s_delay_alu instid0(VALU_DEP_4) | instskip(NEXT) | instid1(VALU_DEP_3)
	v_dual_mov_b32 v15, v3 :: v_dual_bitop2_b32 v17, 15, v15 bitop3:0x40
	v_lshl_or_b32 v58, v1, 2, v20
	s_delay_alu instid0(VALU_DEP_4) | instskip(NEXT) | instid1(VALU_DEP_3)
	v_dual_add_nc_u32 v1, 9, v2 :: v_dual_bitop2_b32 v16, 15, v16 bitop3:0x40
	v_lshl_or_b32 v59, v17, 2, v20
	s_delay_alu instid0(VALU_DEP_4) | instskip(SKIP_1) | instid1(VALU_DEP_4)
	v_lshl_add_u64 v[14:15], s[42:43], 2, v[14:15]
	v_bitop3_b32 v17, v2, 8, 15 bitop3:0x6c
	v_dual_add_nc_u32 v22, 12, v2 :: v_dual_bitop2_b32 v1, 15, v1 bitop3:0x40
	s_mul_u64 s[50:51], s[22:23], s[42:43]
	s_delay_alu instid0(VALU_DEP_3) | instskip(NEXT) | instid1(VALU_DEP_3)
	v_or_b32_e32 v18, 4, v14
	v_lshl_or_b32 v61, v17, 2, v20
	s_delay_alu instid0(VALU_DEP_3)
	v_lshl_or_b32 v62, v1, 2, v20
	v_add_nc_u32_e32 v1, 11, v2
	v_lshl_or_b32 v60, v16, 2, v20
	v_add_nc_u32_e32 v16, 10, v2
	v_mul_lo_u32 v23, s13, v14
	s_add_nc_u64 s[2:3], s[2:3], 0x80
	v_and_b32_e32 v1, 15, v1
	s_add_nc_u64 s[10:11], s[16:17], s[18:19]
	v_and_b32_e32 v19, 15, v16
	s_lshl_b64 s[38:39], s[24:25], 7
	s_lshl_b64 s[40:41], s[22:23], 7
	s_mov_b32 s35, s5
	s_lshl_b64 s[42:43], s[14:15], 2
	v_lshl_or_b32 v63, v19, 2, v20
	v_and_b32_e32 v19, 15, v22
	v_add_nc_u32_e32 v22, 13, v2
	v_lshl_or_b32 v64, v1, 2, v20
	v_mov_b32_e32 v1, v3
	v_mul_lo_u32 v21, s13, v18
	v_mad_nc_u64_u32 v[16:17], s12, v18, s[44:45]
	v_mul_lo_u32 v18, s12, v15
	v_mad_nc_u64_u32 v[14:15], s12, v14, s[44:45]
	v_add_nc_u32_e32 v2, -1, v2
	v_lshl_or_b32 v65, v19, 2, v20
	s_add_nc_u64 s[44:45], s[46:47], s[44:45]
	s_lshl_b64 s[46:47], s[24:25], 2
	s_lshl_b64 s[48:49], s[48:49], 2
	v_and_b32_e32 v2, 15, v2
	s_lshl_b64 s[50:51], s[50:51], 2
	v_add3_u32 v17, v21, v17, v18
	v_add3_u32 v15, v23, v15, v18
	v_and_b32_e32 v21, 15, v22
	v_and_b32_e32 v22, 15, v24
	v_lshl_or_b32 v67, v2, 2, v20
	v_add_nc_u64_e32 v[16:17], v[16:17], v[0:1]
	v_add_nc_u64_e32 v[18:19], v[14:15], v[0:1]
	v_or_b32_e32 v2, 64, v0
	v_lshl_or_b32 v1, v22, 2, v20
	s_delay_alu instid0(VALU_DEP_4) | instskip(NEXT) | instid1(VALU_DEP_4)
	v_add_nc_u64_e32 v[14:15], s[8:9], v[16:17]
	v_add_nc_u64_e32 v[16:17], s[8:9], v[18:19]
	v_or_b32_e32 v18, 0x80, v0
	v_mov_b32_e32 v19, v3
	v_lshl_or_b32 v66, v21, 2, v20
	s_add_nc_u64 s[8:9], s[8:9], s[44:45]
	s_lshl_b64 s[44:45], s[26:27], 2
	s_branch .LBB67_3
.LBB67_2:                               ;   in Loop: Header=BB67_3 Depth=1
	s_wait_xcnt 0x0
	s_or_b32 exec_lo, exec_lo, s69
	s_add_co_i32 s4, s4, 0x10000
	s_delay_alu instid0(SALU_CYCLE_1)
	s_cmp_lt_u32 s4, s29
	s_cbranch_scc0 .LBB67_44
.LBB67_3:                               ; =>This Loop Header: Depth=1
                                        ;     Child Loop BB67_27 Depth 2
	s_and_b32 vcc_lo, exec_lo, s33
	s_mov_b32 s52, -1
                                        ; implicit-def: $vgpr68
	s_cbranch_vccz .LBB67_5
; %bb.4:                                ;   in Loop: Header=BB67_3 Depth=1
	ds_load_b64 v[20:21], v33
	s_mul_u64 s[52:53], s[6:7], s[4:5]
	s_wait_dscnt 0x0
	v_lshl_add_u64 v[20:21], s[52:53], 2, v[20:21]
	s_mov_b32 s52, 0
	flat_load_b32 v68, v[20:21]
.LBB67_5:                               ;   in Loop: Header=BB67_3 Depth=1
	s_and_not1_b32 vcc_lo, exec_lo, s52
	s_cbranch_vccnz .LBB67_7
; %bb.6:                                ;   in Loop: Header=BB67_3 Depth=1
	s_wait_loadcnt_dscnt 0x0
	ds_load_b32 v68, v33
.LBB67_7:                               ;   in Loop: Header=BB67_3 Depth=1
	s_mov_b32 s69, exec_lo
	s_wait_loadcnt_dscnt 0x0
	s_wait_xcnt 0x0
	v_cmpx_neq_f32_e32 0, v68
	s_cbranch_execz .LBB67_2
; %bb.8:                                ;   in Loop: Header=BB67_3 Depth=1
	s_and_not1_b32 vcc_lo, exec_lo, s68
	s_cbranch_vccnz .LBB67_2
; %bb.9:                                ;   in Loop: Header=BB67_3 Depth=1
	s_load_b32 s52, s[2:3], 0x4
	s_mov_b32 s55, s5
	s_wait_kmcnt 0x0
	s_cvt_f32_u32 s53, s52
	s_sub_co_i32 s54, 0, s52
	s_delay_alu instid0(SALU_CYCLE_2) | instskip(SKIP_1) | instid1(TRANS32_DEP_1)
	v_rcp_iflag_f32_e32 v20, s53
	v_nop
	v_readfirstlane_b32 s53, v20
	s_mul_f32 s53, s53, 0x4f7ffffe
	s_delay_alu instid0(SALU_CYCLE_3) | instskip(NEXT) | instid1(SALU_CYCLE_3)
	s_cvt_u32_f32 s53, s53
	s_mul_i32 s54, s54, s53
	s_delay_alu instid0(SALU_CYCLE_1) | instskip(NEXT) | instid1(SALU_CYCLE_1)
	s_mul_hi_u32 s54, s53, s54
	s_add_co_i32 s54, s53, s54
	s_delay_alu instid0(SALU_CYCLE_1) | instskip(NEXT) | instid1(SALU_CYCLE_1)
	s_mul_u64 s[54:55], s[34:35], s[54:55]
	s_mul_i32 s53, s55, s52
	s_add_co_i32 s54, s55, 1
	s_sub_co_i32 s53, s34, s53
	s_delay_alu instid0(SALU_CYCLE_1)
	s_sub_co_i32 s56, s53, s52
	s_cmp_ge_u32 s53, s52
	s_cselect_b32 s54, s54, s55
	s_cselect_b32 s53, s56, s53
	s_add_co_i32 s55, s54, 1
	s_cmp_ge_u32 s53, s52
	s_cselect_b32 s54, s55, s54
	s_add_co_i32 s53, s52, -1
	s_mov_b32 s72, s54
	s_cmp_lg_u32 s66, s53
	s_cbranch_scc1 .LBB67_11
; %bb.10:                               ;   in Loop: Header=BB67_3 Depth=1
	s_mul_i32 s52, s54, s52
	s_delay_alu instid0(SALU_CYCLE_1) | instskip(NEXT) | instid1(SALU_CYCLE_1)
	s_sub_co_i32 s52, s34, s52
	s_add_co_i32 s72, s52, s54
.LBB67_11:                              ;   in Loop: Header=BB67_3 Depth=1
	s_delay_alu instid0(SALU_CYCLE_1)
	s_cmp_eq_u32 s72, 0
	s_cbranch_scc1 .LBB67_2
; %bb.12:                               ;   in Loop: Header=BB67_3 Depth=1
	s_load_b32 s70, s[2:3], 0x0
	s_mul_u64 s[52:53], s[26:27], s[4:5]
	s_mov_b32 s71, -1
	s_lshl_b64 s[52:53], s[52:53], 2
	s_mov_b32 s55, -1
	s_add_nc_u64 s[56:57], s[10:11], s[52:53]
	s_delay_alu instid0(SALU_CYCLE_1) | instskip(SKIP_2) | instid1(SALU_CYCLE_1)
	s_add_nc_u64 s[52:53], s[56:57], s[48:49]
	s_wait_kmcnt 0x0
	s_add_co_i32 s70, s70, -1
	s_cmp_lg_u32 s34, s70
	s_cbranch_scc0 .LBB67_16
; %bb.13:                               ;   in Loop: Header=BB67_3 Depth=1
	s_and_saveexec_b32 s55, s0
	s_cbranch_execz .LBB67_15
; %bb.14:                               ;   in Loop: Header=BB67_3 Depth=1
	v_lshl_add_u64 v[20:21], v[6:7], 2, s[52:53]
	global_load_b32 v20, v[20:21], off
	s_wait_loadcnt 0x0
	ds_store_b32 v49, v20
.LBB67_15:                              ;   in Loop: Header=BB67_3 Depth=1
	s_wait_xcnt 0x0
	s_or_b32 exec_lo, exec_lo, s55
	s_mov_b32 s55, 0
.LBB67_16:                              ;   in Loop: Header=BB67_3 Depth=1
	s_delay_alu instid0(SALU_CYCLE_1)
	s_and_not1_b32 vcc_lo, exec_lo, s55
	s_cbranch_vccnz .LBB67_22
; %bb.17:                               ;   in Loop: Header=BB67_3 Depth=1
	s_and_saveexec_b32 s55, s0
	s_cbranch_execz .LBB67_21
; %bb.18:                               ;   in Loop: Header=BB67_3 Depth=1
	v_mov_b32_e32 v20, 0
	s_and_saveexec_b32 s58, s1
	s_cbranch_execz .LBB67_20
; %bb.19:                               ;   in Loop: Header=BB67_3 Depth=1
	v_lshl_add_u64 v[20:21], v[6:7], 2, s[52:53]
	global_load_b32 v20, v[20:21], off
.LBB67_20:                              ;   in Loop: Header=BB67_3 Depth=1
	s_wait_xcnt 0x0
	s_or_b32 exec_lo, exec_lo, s58
	s_wait_loadcnt 0x0
	ds_store_b32 v49, v20
.LBB67_21:                              ;   in Loop: Header=BB67_3 Depth=1
	s_or_b32 exec_lo, exec_lo, s55
	s_mov_b32 s71, s28
	ds_store_2addr_b32 v50, v3, v3 offset1:16
	ds_store_2addr_b32 v51, v3, v3 offset1:16
.LBB67_22:                              ;   in Loop: Header=BB67_3 Depth=1
	s_mul_u64 s[52:53], s[14:15], s[4:5]
	s_mul_i32 s58, s67, s54
	v_mov_b64_e32 v[28:29], 0
	s_lshl_b64 s[52:53], s[52:53], 2
	s_ashr_i32 s59, s58, 31
	s_add_nc_u64 s[52:53], s[36:37], s[52:53]
	s_lshl_b64 s[54:55], s[58:59], 2
	s_wait_dscnt 0x0
	s_add_nc_u64 s[60:61], s[52:53], s[54:55]
	s_barrier_signal -1
	s_barrier_wait -1
	s_and_saveexec_b32 s52, s71
	s_cbranch_execz .LBB67_24
; %bb.23:                               ;   in Loop: Header=BB67_3 Depth=1
	v_lshl_add_u64 v[20:21], v[4:5], 2, s[60:61]
	s_delay_alu instid0(VALU_DEP_1)
	v_lshl_add_u64 v[22:23], s[12:13], 2, v[20:21]
	s_clause 0x1
	global_load_b32 v28, v[20:21], off
	global_load_b32 v29, v[22:23], off
.LBB67_24:                              ;   in Loop: Header=BB67_3 Depth=1
	s_wait_xcnt 0x0
	s_or_b32 exec_lo, exec_lo, s52
	s_mul_u64 s[52:53], s[30:31], s[4:5]
	s_delay_alu instid0(SALU_CYCLE_1)
	s_lshl_b64 s[52:53], s[52:53], 2
	s_cmp_lt_i32 s72, 1
	s_add_nc_u64 s[52:53], s[20:21], s[52:53]
	s_cbranch_scc1 .LBB67_35
; %bb.25:                               ;   in Loop: Header=BB67_3 Depth=1
	s_mul_u64 s[62:63], s[24:25], s[58:59]
	v_mov_b32_e32 v25, 0
	s_lshl_b64 s[62:63], s[62:63], 2
	s_delay_alu instid0(SALU_CYCLE_1)
	s_add_nc_u64 s[62:63], s[56:57], s[62:63]
	s_mul_u64 s[56:57], s[22:23], s[58:59]
	v_lshl_add_u64 v[20:21], v[8:9], 2, s[62:63]
	s_lshl_b64 s[56:57], s[56:57], 2
	s_cmp_eq_u32 s72, 1
	s_add_nc_u64 s[64:65], s[52:53], s[56:57]
	global_load_b32 v32, v[20:21], off
	s_cbranch_scc1 .LBB67_36
; %bb.26:                               ;   in Loop: Header=BB67_3 Depth=1
	s_wait_xcnt 0x0
	v_add_nc_u64_e32 v[20:21], s[54:55], v[2:3]
	v_add_nc_u64_e32 v[22:23], s[54:55], v[18:19]
	s_mul_u64 s[60:61], s[44:45], s[4:5]
	s_mul_u64 s[58:59], s[46:47], s[58:59]
	s_add_nc_u64 s[56:57], s[16:17], s[60:61]
	s_add_nc_u64 s[58:59], s[58:59], s[60:61]
	s_add_co_i32 s60, s72, -1
	v_mad_nc_u64_u32 v[34:35], s24, v20, s[56:57]
	v_mad_nc_u64_u32 v[36:37], s24, v22, s[56:57]
	s_mul_u64 s[56:57], s[42:43], s[4:5]
	s_add_nc_u64 s[58:59], s[16:17], s[58:59]
	v_add_nc_u64_e32 v[38:39], s[56:57], v[14:15]
	v_add_nc_u64_e32 v[40:41], s[56:57], v[16:17]
	s_add_nc_u64 s[56:57], s[8:9], s[56:57]
	s_delay_alu instid0(VALU_DEP_4) | instskip(NEXT) | instid1(VALU_DEP_4)
	v_mad_u32 v24, s25, v20, v35
	v_mad_u32 v22, s25, v22, v37
	v_mov_b32_e32 v20, 0
	s_delay_alu instid0(VALU_DEP_1) | instskip(NEXT) | instid1(VALU_DEP_4)
	v_mov_b32_e32 v25, v20
	v_mad_u32 v35, s24, v21, v24
	s_delay_alu instid0(VALU_DEP_4)
	v_mad_u32 v37, s24, v23, v22
	v_mov_b64_e32 v[22:23], s[64:65]
	v_dual_mov_b32 v21, v20 :: v_dual_mov_b32 v24, v20
.LBB67_27:                              ;   Parent Loop BB67_3 Depth=1
                                        ; =>  This Inner Loop Header: Depth=2
	s_delay_alu instid0(VALU_DEP_4)
	v_add_nc_u64_e32 v[26:27], s[18:19], v[34:35]
	v_add_nc_u64_e32 v[30:31], s[54:55], v[40:41]
	;; [unrolled: 1-line block ×3, first 2 shown]
	global_load_b32 v42, v[26:27], off
	s_wait_xcnt 0x0
	s_and_saveexec_b32 s61, s71
	s_cbranch_execz .LBB67_29
; %bb.28:                               ;   in Loop: Header=BB67_27 Depth=2
	global_load_b32 v24, v[30:31], off offset:64
	global_load_b32 v25, v[44:45], off offset:64
.LBB67_29:                              ;   in Loop: Header=BB67_27 Depth=2
	s_wait_xcnt 0x0
	s_or_b32 exec_lo, exec_lo, s61
	ds_load_b64 v[46:47], v52
	s_wait_loadcnt 0x2
	v_mov_b64_e32 v[26:27], v[28:29]
	s_and_saveexec_b32 s61, s71
	s_cbranch_execz .LBB67_31
; %bb.30:                               ;   in Loop: Header=BB67_27 Depth=2
	global_load_b32 v26, v[30:31], off offset:128
	global_load_b32 v27, v[44:45], off offset:128
.LBB67_31:                              ;   in Loop: Header=BB67_27 Depth=2
	s_wait_xcnt 0x0
	s_or_b32 exec_lo, exec_lo, s61
	v_add_nc_u64_e32 v[30:31], s[18:19], v[36:37]
	s_wait_loadcnt_dscnt 0x100
	v_fma_f32 v44, v24, v46, 0
	s_wait_loadcnt 0x0
	s_delay_alu instid0(VALU_DEP_1)
	v_dual_fmac_f32 v44, v25, v47 :: v_dual_add_nc_u32 v45, v0, v48
	global_load_b32 v30, v[30:31], off
	s_wait_xcnt 0x0
	v_fma_f32 v31, v28, v46, 0
	s_wait_loadcnt 0x0
	s_barrier_signal -1
	s_barrier_wait -1
	s_delay_alu instid0(VALU_DEP_1)
	v_fmac_f32_e32 v31, v29, v47
	ds_store_2addr_b32 v45, v31, v44 offset1:16
	s_wait_dscnt 0x0
	s_barrier_signal -1
	s_barrier_wait -1
	s_and_saveexec_b32 s61, s0
	s_cbranch_execz .LBB67_33
; %bb.32:                               ;   in Loop: Header=BB67_27 Depth=2
	ds_load_2addr_b32 v[44:45], v43 offset1:32
	ds_load_2addr_b32 v[46:47], v43 offset0:64 offset1:96
	ds_load_2addr_b32 v[70:71], v43 offset0:128 offset1:160
	v_add_nc_u32_e32 v69, 0x400, v43
	s_wait_dscnt 0x2
	v_add_f32_e32 v31, 0, v44
	s_delay_alu instid0(VALU_DEP_1) | instskip(SKIP_3) | instid1(VALU_DEP_1)
	v_add_f32_e32 v31, v31, v45
	ds_load_2addr_b32 v[44:45], v43 offset0:192 offset1:224
	s_wait_dscnt 0x2
	v_add_f32_e32 v31, v31, v46
	v_add_f32_e32 v31, v31, v47
	ds_load_2addr_b32 v[46:47], v69 offset1:32
	s_wait_dscnt 0x2
	v_add_f32_e32 v31, v31, v70
	s_delay_alu instid0(VALU_DEP_1) | instskip(SKIP_3) | instid1(VALU_DEP_1)
	v_add_f32_e32 v31, v31, v71
	ds_load_2addr_b32 v[70:71], v69 offset0:64 offset1:96
	s_wait_dscnt 0x2
	v_add_f32_e32 v31, v31, v44
	v_add_f32_e32 v31, v31, v45
	ds_load_2addr_b32 v[44:45], v69 offset0:128 offset1:160
	s_wait_dscnt 0x2
	v_add_f32_e32 v31, v31, v46
	s_delay_alu instid0(VALU_DEP_1) | instskip(SKIP_3) | instid1(VALU_DEP_1)
	v_add_f32_e32 v31, v31, v47
	ds_load_2addr_b32 v[46:47], v69 offset0:192 offset1:224
	s_wait_dscnt 0x2
	v_add_f32_e32 v31, v31, v70
	v_add_f32_e32 v31, v31, v71
	s_wait_dscnt 0x1
	s_delay_alu instid0(VALU_DEP_1) | instskip(NEXT) | instid1(VALU_DEP_1)
	v_add_f32_e32 v31, v31, v44
	v_add_f32_e32 v31, v31, v45
	v_lshl_add_u64 v[44:45], v[12:13], 2, v[22:23]
	v_add_nc_u64_e32 v[22:23], s[40:41], v[22:23]
	s_wait_dscnt 0x0
	s_delay_alu instid0(VALU_DEP_3) | instskip(NEXT) | instid1(VALU_DEP_1)
	v_add_f32_e32 v31, v31, v46
	v_add_f32_e32 v31, v31, v47
	s_delay_alu instid0(VALU_DEP_1)
	v_mul_f32_e32 v31, v68, v31
	global_atomic_add_f32 v[44:45], v31, off scope:SCOPE_DEV
.LBB67_33:                              ;   in Loop: Header=BB67_27 Depth=2
	s_wait_xcnt 0x0
	s_or_b32 exec_lo, exec_lo, s61
	v_pk_fma_f32 v[20:21], v[32:33], v[28:29], v[20:21] op_sel_hi:[0,1,1]
	v_add_nc_u64_e32 v[38:39], 0x80, v[38:39]
	v_add_nc_u64_e32 v[40:41], 0x80, v[40:41]
	;; [unrolled: 1-line block ×4, first 2 shown]
	v_pk_fma_f32 v[20:21], v[42:43], v[24:25], v[20:21] op_sel_hi:[0,1,1]
	s_add_co_i32 s60, s60, -1
	s_add_nc_u64 s[56:57], s[56:57], 0x80
	s_cmp_eq_u32 s60, 0
	s_add_nc_u64 s[58:59], s[58:59], s[38:39]
	s_cbranch_scc1 .LBB67_37
; %bb.34:                               ;   in Loop: Header=BB67_27 Depth=2
	v_mov_b32_e32 v32, v30
	v_mov_b64_e32 v[28:29], v[26:27]
	s_branch .LBB67_27
.LBB67_35:                              ;   in Loop: Header=BB67_3 Depth=1
	v_mov_b32_e32 v21, 0
	s_delay_alu instid0(VALU_DEP_1)
	v_mov_b32_e32 v20, v21
	s_branch .LBB67_42
.LBB67_36:                              ;   in Loop: Header=BB67_3 Depth=1
	v_mov_b64_e32 v[22:23], s[64:65]
	s_wait_loadcnt 0x1
	v_mov_b64_e32 v[26:27], v[28:29]
	s_wait_xcnt 0x0
	v_dual_mov_b32 v24, v25 :: v_dual_mov_b32 v21, v25
	s_wait_loadcnt 0x0
	v_dual_mov_b32 v20, v25 :: v_dual_mov_b32 v30, v32
	v_lshl_add_u64 v[28:29], v[10:11], 2, s[62:63]
	global_load_b32 v31, v[28:29], off
	s_wait_xcnt 0x0
	s_and_saveexec_b32 s54, s71
	s_cbranch_execnz .LBB67_38
	s_branch .LBB67_39
.LBB67_37:                              ;   in Loop: Header=BB67_3 Depth=1
	s_add_nc_u64 s[62:63], s[58:59], s[18:19]
	s_add_nc_u64 s[60:61], s[56:57], s[54:55]
	v_lshl_add_u64 v[28:29], v[10:11], 2, s[62:63]
	global_load_b32 v31, v[28:29], off
	s_wait_xcnt 0x0
	s_and_saveexec_b32 s54, s71
	s_cbranch_execz .LBB67_39
.LBB67_38:                              ;   in Loop: Header=BB67_3 Depth=1
	v_lshl_add_u64 v[24:25], v[4:5], 2, s[60:61]
	s_delay_alu instid0(VALU_DEP_1)
	v_lshl_add_u64 v[28:29], s[12:13], 2, v[24:25]
	s_clause 0x1
	global_load_b32 v24, v[24:25], off offset:64
	global_load_b32 v25, v[28:29], off offset:64
.LBB67_39:                              ;   in Loop: Header=BB67_3 Depth=1
	s_wait_xcnt 0x0
	s_or_b32 exec_lo, exec_lo, s54
	ds_load_b64 v[28:29], v52
	s_wait_storecnt 0x0
	s_wait_loadcnt_dscnt 0x0
	s_barrier_signal -1
	s_barrier_wait -1
	v_fma_f32 v32, v26, v28, 0
	v_fma_f32 v28, v24, v28, 0
	s_delay_alu instid0(VALU_DEP_2) | instskip(NEXT) | instid1(VALU_DEP_2)
	v_dual_add_nc_u32 v34, v0, v48 :: v_dual_fmac_f32 v32, v27, v29
	v_fmac_f32_e32 v28, v25, v29
	ds_store_2addr_b32 v34, v32, v28 offset1:16
	s_wait_dscnt 0x0
	s_barrier_signal -1
	s_barrier_wait -1
	s_and_saveexec_b32 s54, s0
	s_cbranch_execz .LBB67_41
; %bb.40:                               ;   in Loop: Header=BB67_3 Depth=1
	ds_load_2addr_b32 v[28:29], v43 offset1:32
	ds_load_2addr_b32 v[34:35], v43 offset0:64 offset1:96
	ds_load_2addr_b32 v[36:37], v43 offset0:128 offset1:160
	v_add_nc_u32_e32 v38, 0x400, v43
	v_lshl_add_u64 v[22:23], v[12:13], 2, v[22:23]
	s_wait_dscnt 0x2
	v_add_f32_e32 v28, 0, v28
	s_delay_alu instid0(VALU_DEP_1) | instskip(SKIP_3) | instid1(VALU_DEP_1)
	v_add_f32_e32 v32, v28, v29
	ds_load_2addr_b32 v[28:29], v43 offset0:192 offset1:224
	s_wait_dscnt 0x2
	v_add_f32_e32 v32, v32, v34
	v_add_f32_e32 v32, v32, v35
	ds_load_2addr_b32 v[34:35], v38 offset1:32
	s_wait_dscnt 0x2
	v_add_f32_e32 v32, v32, v36
	s_delay_alu instid0(VALU_DEP_1) | instskip(SKIP_3) | instid1(VALU_DEP_1)
	v_add_f32_e32 v32, v32, v37
	ds_load_2addr_b32 v[36:37], v38 offset0:64 offset1:96
	s_wait_dscnt 0x2
	v_add_f32_e32 v28, v32, v28
	v_add_f32_e32 v28, v28, v29
	s_wait_dscnt 0x1
	s_delay_alu instid0(VALU_DEP_1)
	v_add_f32_e32 v32, v28, v34
	ds_load_2addr_b32 v[28:29], v38 offset0:128 offset1:160
	v_add_f32_e32 v32, v32, v35
	ds_load_2addr_b32 v[34:35], v38 offset0:192 offset1:224
	s_wait_dscnt 0x2
	v_add_f32_e32 v32, v32, v36
	s_delay_alu instid0(VALU_DEP_1) | instskip(SKIP_1) | instid1(VALU_DEP_1)
	v_add_f32_e32 v32, v32, v37
	s_wait_dscnt 0x1
	v_add_f32_e32 v28, v32, v28
	s_delay_alu instid0(VALU_DEP_1) | instskip(SKIP_1) | instid1(VALU_DEP_1)
	v_add_f32_e32 v28, v28, v29
	s_wait_dscnt 0x0
	v_add_f32_e32 v28, v28, v34
	s_delay_alu instid0(VALU_DEP_1) | instskip(NEXT) | instid1(VALU_DEP_1)
	v_add_f32_e32 v28, v28, v35
	v_mul_f32_e32 v28, v68, v28
	global_atomic_add_f32 v[22:23], v28, off scope:SCOPE_DEV
.LBB67_41:                              ;   in Loop: Header=BB67_3 Depth=1
	s_wait_xcnt 0x0
	s_or_b32 exec_lo, exec_lo, s54
	v_dual_mul_f32 v22, v31, v24 :: v_dual_mul_f32 v26, v30, v26
	v_mov_b32_e32 v24, v27
	s_delay_alu instid0(VALU_DEP_1) | instskip(NEXT) | instid1(VALU_DEP_1)
	v_pk_mul_f32 v[24:25], v[30:31], v[24:25]
	v_dual_mov_b32 v27, v24 :: v_dual_mov_b32 v23, v25
	s_delay_alu instid0(VALU_DEP_1) | instskip(NEXT) | instid1(VALU_DEP_1)
	v_pk_add_f32 v[20:21], v[20:21], v[26:27]
	v_pk_add_f32 v[20:21], v[20:21], v[22:23]
.LBB67_42:                              ;   in Loop: Header=BB67_3 Depth=1
	s_cmp_lt_u32 s34, s70
	ds_store_2addr_b32 v51, v20, v21 offset1:16
	s_cselect_b32 s54, -1, 0
	s_wait_storecnt 0x0
	s_wait_loadcnt_dscnt 0x0
	s_or_b32 s54, s1, s54
	s_barrier_signal -1
	s_and_b32 s54, s0, s54
	s_barrier_wait -1
	s_and_b32 exec_lo, exec_lo, s54
	s_cbranch_execz .LBB67_2
; %bb.43:                               ;   in Loop: Header=BB67_3 Depth=1
	ds_load_b32 v20, v53
	ds_load_b32 v21, v54
	;; [unrolled: 1-line block ×8, first 2 shown]
	s_add_nc_u64 s[52:53], s[52:53], s[50:51]
	s_wait_dscnt 0x7
	v_add_f32_e32 v20, 0, v20
	s_wait_dscnt 0x6
	s_delay_alu instid0(VALU_DEP_1)
	v_add_f32_e32 v20, v20, v21
	ds_load_b32 v21, v61
	s_wait_dscnt 0x6
	v_add_f32_e32 v20, v20, v22
	ds_load_b32 v22, v62
	s_wait_dscnt 0x6
	;; [unrolled: 3-line block ×3, first 2 shown]
	v_add_f32_e32 v20, v20, v24
	s_wait_dscnt 0x5
	s_delay_alu instid0(VALU_DEP_1) | instskip(SKIP_1) | instid1(VALU_DEP_1)
	v_add_f32_e32 v20, v20, v25
	s_wait_dscnt 0x4
	v_add_f32_e32 v20, v20, v26
	s_wait_dscnt 0x3
	s_delay_alu instid0(VALU_DEP_1)
	v_add_f32_e32 v20, v20, v27
	ds_load_b32 v24, v64
	ds_load_b32 v25, v65
	;; [unrolled: 1-line block ×5, first 2 shown]
	s_wait_dscnt 0x7
	v_add_f32_e32 v20, v20, v21
	s_wait_dscnt 0x6
	s_delay_alu instid0(VALU_DEP_1) | instskip(SKIP_1) | instid1(VALU_DEP_1)
	v_add_f32_e32 v20, v20, v22
	s_wait_dscnt 0x5
	v_add_f32_e32 v20, v20, v23
	s_wait_dscnt 0x4
	s_delay_alu instid0(VALU_DEP_1) | instskip(SKIP_1) | instid1(VALU_DEP_1)
	v_add_f32_e32 v20, v20, v24
	;; [unrolled: 5-line block ×3, first 2 shown]
	s_wait_dscnt 0x1
	v_add_f32_e32 v20, v20, v27
	s_wait_dscnt 0x0
	s_delay_alu instid0(VALU_DEP_1) | instskip(SKIP_1) | instid1(VALU_DEP_2)
	v_add_f32_e32 v22, v20, v28
	v_lshl_add_u64 v[20:21], v[12:13], 2, s[52:53]
	v_mul_f32_e32 v22, v68, v22
	global_atomic_add_f32 v[20:21], v22, off scope:SCOPE_DEV
	s_branch .LBB67_2
.LBB67_44:
	s_sendmsg sendmsg(MSG_DEALLOC_VGPRS)
	s_endpgm
	.section	.rodata,"a",@progbits
	.p2align	6, 0x0
	.amdhsa_kernel _ZL62rocblas_symv_kernel_upper_double_buffered_non_diagonal_genericILi32ELi8ELi2ELi0E24rocblas_internal_val_ptrIfEPKfPfEvbiT3_lT4_lllS6_lllT5_lllii
		.amdhsa_group_segment_fixed_size 6272
		.amdhsa_private_segment_fixed_size 0
		.amdhsa_kernarg_size 384
		.amdhsa_user_sgpr_count 4
		.amdhsa_user_sgpr_dispatch_ptr 1
		.amdhsa_user_sgpr_queue_ptr 0
		.amdhsa_user_sgpr_kernarg_segment_ptr 1
		.amdhsa_user_sgpr_dispatch_id 0
		.amdhsa_user_sgpr_kernarg_preload_length 0
		.amdhsa_user_sgpr_kernarg_preload_offset 0
		.amdhsa_user_sgpr_private_segment_size 0
		.amdhsa_wavefront_size32 1
		.amdhsa_uses_dynamic_stack 0
		.amdhsa_enable_private_segment 0
		.amdhsa_system_sgpr_workgroup_id_x 1
		.amdhsa_system_sgpr_workgroup_id_y 1
		.amdhsa_system_sgpr_workgroup_id_z 1
		.amdhsa_system_sgpr_workgroup_info 0
		.amdhsa_system_vgpr_workitem_id 2
		.amdhsa_next_free_vgpr 72
		.amdhsa_next_free_sgpr 73
		.amdhsa_named_barrier_count 0
		.amdhsa_reserve_vcc 1
		.amdhsa_float_round_mode_32 0
		.amdhsa_float_round_mode_16_64 0
		.amdhsa_float_denorm_mode_32 3
		.amdhsa_float_denorm_mode_16_64 3
		.amdhsa_fp16_overflow 0
		.amdhsa_memory_ordered 1
		.amdhsa_forward_progress 1
		.amdhsa_inst_pref_size 26
		.amdhsa_round_robin_scheduling 0
		.amdhsa_exception_fp_ieee_invalid_op 0
		.amdhsa_exception_fp_denorm_src 0
		.amdhsa_exception_fp_ieee_div_zero 0
		.amdhsa_exception_fp_ieee_overflow 0
		.amdhsa_exception_fp_ieee_underflow 0
		.amdhsa_exception_fp_ieee_inexact 0
		.amdhsa_exception_int_div_zero 0
	.end_amdhsa_kernel
	.section	.text._ZL62rocblas_symv_kernel_upper_double_buffered_non_diagonal_genericILi32ELi8ELi2ELi0E24rocblas_internal_val_ptrIfEPKfPfEvbiT3_lT4_lllS6_lllT5_lllii,"axG",@progbits,_ZL62rocblas_symv_kernel_upper_double_buffered_non_diagonal_genericILi32ELi8ELi2ELi0E24rocblas_internal_val_ptrIfEPKfPfEvbiT3_lT4_lllS6_lllT5_lllii,comdat
.Lfunc_end67:
	.size	_ZL62rocblas_symv_kernel_upper_double_buffered_non_diagonal_genericILi32ELi8ELi2ELi0E24rocblas_internal_val_ptrIfEPKfPfEvbiT3_lT4_lllS6_lllT5_lllii, .Lfunc_end67-_ZL62rocblas_symv_kernel_upper_double_buffered_non_diagonal_genericILi32ELi8ELi2ELi0E24rocblas_internal_val_ptrIfEPKfPfEvbiT3_lT4_lllS6_lllT5_lllii
                                        ; -- End function
	.set _ZL62rocblas_symv_kernel_upper_double_buffered_non_diagonal_genericILi32ELi8ELi2ELi0E24rocblas_internal_val_ptrIfEPKfPfEvbiT3_lT4_lllS6_lllT5_lllii.num_vgpr, 72
	.set _ZL62rocblas_symv_kernel_upper_double_buffered_non_diagonal_genericILi32ELi8ELi2ELi0E24rocblas_internal_val_ptrIfEPKfPfEvbiT3_lT4_lllS6_lllT5_lllii.num_agpr, 0
	.set _ZL62rocblas_symv_kernel_upper_double_buffered_non_diagonal_genericILi32ELi8ELi2ELi0E24rocblas_internal_val_ptrIfEPKfPfEvbiT3_lT4_lllS6_lllT5_lllii.numbered_sgpr, 73
	.set _ZL62rocblas_symv_kernel_upper_double_buffered_non_diagonal_genericILi32ELi8ELi2ELi0E24rocblas_internal_val_ptrIfEPKfPfEvbiT3_lT4_lllS6_lllT5_lllii.num_named_barrier, 0
	.set _ZL62rocblas_symv_kernel_upper_double_buffered_non_diagonal_genericILi32ELi8ELi2ELi0E24rocblas_internal_val_ptrIfEPKfPfEvbiT3_lT4_lllS6_lllT5_lllii.private_seg_size, 0
	.set _ZL62rocblas_symv_kernel_upper_double_buffered_non_diagonal_genericILi32ELi8ELi2ELi0E24rocblas_internal_val_ptrIfEPKfPfEvbiT3_lT4_lllS6_lllT5_lllii.uses_vcc, 1
	.set _ZL62rocblas_symv_kernel_upper_double_buffered_non_diagonal_genericILi32ELi8ELi2ELi0E24rocblas_internal_val_ptrIfEPKfPfEvbiT3_lT4_lllS6_lllT5_lllii.uses_flat_scratch, 0
	.set _ZL62rocblas_symv_kernel_upper_double_buffered_non_diagonal_genericILi32ELi8ELi2ELi0E24rocblas_internal_val_ptrIfEPKfPfEvbiT3_lT4_lllS6_lllT5_lllii.has_dyn_sized_stack, 0
	.set _ZL62rocblas_symv_kernel_upper_double_buffered_non_diagonal_genericILi32ELi8ELi2ELi0E24rocblas_internal_val_ptrIfEPKfPfEvbiT3_lT4_lllS6_lllT5_lllii.has_recursion, 0
	.set _ZL62rocblas_symv_kernel_upper_double_buffered_non_diagonal_genericILi32ELi8ELi2ELi0E24rocblas_internal_val_ptrIfEPKfPfEvbiT3_lT4_lllS6_lllT5_lllii.has_indirect_call, 0
	.section	.AMDGPU.csdata,"",@progbits
; Kernel info:
; codeLenInByte = 3312
; TotalNumSgprs: 75
; NumVgprs: 72
; ScratchSize: 0
; MemoryBound: 0
; FloatMode: 240
; IeeeMode: 1
; LDSByteSize: 6272 bytes/workgroup (compile time only)
; SGPRBlocks: 0
; VGPRBlocks: 4
; NumSGPRsForWavesPerEU: 75
; NumVGPRsForWavesPerEU: 72
; NamedBarCnt: 0
; Occupancy: 12
; WaveLimiterHint : 1
; COMPUTE_PGM_RSRC2:SCRATCH_EN: 0
; COMPUTE_PGM_RSRC2:USER_SGPR: 4
; COMPUTE_PGM_RSRC2:TRAP_HANDLER: 0
; COMPUTE_PGM_RSRC2:TGID_X_EN: 1
; COMPUTE_PGM_RSRC2:TGID_Y_EN: 1
; COMPUTE_PGM_RSRC2:TGID_Z_EN: 1
; COMPUTE_PGM_RSRC2:TIDIG_COMP_CNT: 2
	.section	.text._ZL62rocblas_symv_kernel_upper_double_buffered_non_diagonal_genericILi32ELi8ELi2ELi1E24rocblas_internal_val_ptrIfEPKfPfEvbiT3_lT4_lllS6_lllT5_lllii,"axG",@progbits,_ZL62rocblas_symv_kernel_upper_double_buffered_non_diagonal_genericILi32ELi8ELi2ELi1E24rocblas_internal_val_ptrIfEPKfPfEvbiT3_lT4_lllS6_lllT5_lllii,comdat
	.globl	_ZL62rocblas_symv_kernel_upper_double_buffered_non_diagonal_genericILi32ELi8ELi2ELi1E24rocblas_internal_val_ptrIfEPKfPfEvbiT3_lT4_lllS6_lllT5_lllii ; -- Begin function _ZL62rocblas_symv_kernel_upper_double_buffered_non_diagonal_genericILi32ELi8ELi2ELi1E24rocblas_internal_val_ptrIfEPKfPfEvbiT3_lT4_lllS6_lllT5_lllii
	.p2align	8
	.type	_ZL62rocblas_symv_kernel_upper_double_buffered_non_diagonal_genericILi32ELi8ELi2ELi1E24rocblas_internal_val_ptrIfEPKfPfEvbiT3_lT4_lllS6_lllT5_lllii,@function
_ZL62rocblas_symv_kernel_upper_double_buffered_non_diagonal_genericILi32ELi8ELi2ELi1E24rocblas_internal_val_ptrIfEPKfPfEvbiT3_lT4_lllS6_lllT5_lllii: ; @_ZL62rocblas_symv_kernel_upper_double_buffered_non_diagonal_genericILi32ELi8ELi2ELi1E24rocblas_internal_val_ptrIfEPKfPfEvbiT3_lT4_lllS6_lllT5_lllii
; %bb.0:
	s_load_b64 s[20:21], s[0:1], 0x4
	s_load_b512 s[4:19], s[2:3], 0x8
	v_bfe_u32 v1, v0, 10, 10
	s_load_b64 s[28:29], s[2:3], 0x78
	v_and_b32_e32 v2, 0x3ff, v0
	s_wait_xcnt 0x0
	s_lshr_b32 s1, ttmp7, 16
	v_bfe_u32 v0, v0, 20, 10
	s_wait_kmcnt 0x0
	v_mul_u32_u24_e32 v3, s21, v1
	s_lshr_b32 s0, s20, 16
	v_dual_mov_b32 v4, s4 :: v_dual_mov_b32 v5, s5
	s_mul_i32 s0, s0, s21
	s_bfe_u32 s5, ttmp6, 0x40008
	v_mad_u32 v3, s0, v2, v3
	s_bfe_u32 s0, ttmp6, 0x40014
	s_delay_alu instid0(SALU_CYCLE_1) | instskip(NEXT) | instid1(SALU_CYCLE_1)
	s_add_co_i32 s0, s0, 1
	s_mul_i32 s4, s1, s0
	s_getreg_b32 s0, hwreg(HW_REG_IB_STS2, 6, 4)
	s_add_co_i32 s5, s5, s4
	s_cmp_eq_u32 s0, 0
	s_cselect_b32 s4, s1, s5
	s_delay_alu instid0(VALU_DEP_1)
	v_add_lshl_u32 v0, v3, v0, 3
	s_cmp_ge_u32 s4, s29
	s_mov_b32 s5, 0
	ds_store_b64 v0, v[4:5] offset:4224
	s_cbranch_scc1 .LBB68_77
; %bb.1:
	s_clause 0x4
	s_load_b32 s1, s[2:3], 0x0
	s_load_b128 s[20:23], s[2:3], 0x60
	s_load_b64 s[36:37], s[2:3], 0x58
	s_load_b128 s[24:27], s[2:3], 0x48
	s_load_b64 s[30:31], s[2:3], 0x70
	s_add_nc_u64 s[34:35], s[2:3], 0x80
	v_add_nc_u32_e32 v43, 0x1080, v0
	v_lshl_add_u32 v0, v1, 5, v2
	v_dual_mov_b32 v3, 0 :: v_dual_bitop2_b32 v8, 15, v2 bitop3:0x40
	v_lshl_add_u32 v20, v2, 6, 0x800
	s_delay_alu instid0(VALU_DEP_3) | instskip(NEXT) | instid1(VALU_DEP_3)
	v_dual_lshlrev_b32 v48, 2, v2 :: v_dual_lshrrev_b32 v12, 4, v0
	v_dual_mov_b32 v9, v3 :: v_dual_add_nc_u32 v22, 12, v2
	v_mov_b32_e32 v11, v3
	s_delay_alu instid0(VALU_DEP_3) | instskip(NEXT) | instid1(VALU_DEP_4)
	v_or_b32_e32 v50, 0x1000, v48
	v_dual_lshlrev_b32 v10, 1, v12 :: v_dual_lshlrev_b32 v49, 7, v12
	v_lshlrev_b32_e32 v0, 2, v8
	v_lshlrev_b32_e32 v14, 3, v12
	s_wait_kmcnt 0x0
	s_bitcmp1_b32 s1, 0
	v_mad_nc_u64_u32 v[4:5], s12, v10, v[8:9]
	s_cselect_b32 s1, -1, 0
	s_lshl_b64 s[2:3], s[20:21], 2
	s_bfe_u32 s21, ttmp6, 0x4000c
	s_bfe_u32 s39, ttmp6, 0x40010
	s_and_b32 s38, ttmp7, 0xffff
	s_add_co_i32 s21, s21, 1
	s_add_co_i32 s39, s39, 1
	s_and_b32 s20, ttmp6, 15
	s_bfe_u32 s40, ttmp6, 0x40004
	s_xor_b32 s33, s1, -1
	s_mul_i32 s1, ttmp9, s21
	s_mul_i32 s21, s38, s39
	s_lshl_b64 s[18:19], s[18:19], 2
	s_lshl_b64 s[46:47], s[10:11], 2
	s_add_co_i32 s1, s20, s1
	s_add_co_i32 s40, s40, s21
	s_cmp_eq_u32 s0, 0
	s_add_nc_u64 s[20:21], s[36:37], s[2:3]
	s_cselect_b32 s36, ttmp9, s1
	s_cselect_b32 s66, s38, s40
	s_lshl_b32 s44, s36, 5
	s_lshl_b32 s67, s66, 5
	s_ashr_i32 s45, s44, 31
	s_add_nc_u64 s[0:1], s[8:9], s[46:47]
	s_mul_u64 s[2:3], s[12:13], s[44:45]
	v_mad_u32 v5, s13, v10, v5
	s_lshl_b64 s[48:49], s[2:3], 2
	s_cmp_lg_u32 s36, 0
	s_add_nc_u64 s[38:39], s[0:1], s[48:49]
	s_cselect_b32 s68, -1, 0
	s_lshr_b32 s0, s28, 31
	v_or_b32_e32 v10, 16, v8
	s_add_co_i32 s0, s28, s0
	v_add_nc_u32_e32 v53, 0x1000, v14
	s_ashr_i32 s3, s0, 1
	v_cmp_eq_u32_e64 s0, 0, v1
	v_or_b32_e32 v1, 0x800, v0
	v_mul_u64_e32 v[6:7], s[24:25], v[2:3]
	v_cmp_le_i32_e64 s2, s3, v12
	v_cmp_eq_u32_e64 s3, s3, v12
	v_mul_u64_e32 v[8:9], s[24:25], v[8:9]
	v_dual_add_nc_u32 v52, v1, v49 :: v_dual_add_nc_u32 v1, 1, v2
	v_dual_add_nc_u32 v15, 2, v2 :: v_dual_add_nc_u32 v16, 3, v2
	v_or_b32_e32 v54, v20, v0
	v_or_b32_e32 v51, v0, v49
	s_delay_alu instid0(VALU_DEP_4) | instskip(NEXT) | instid1(VALU_DEP_4)
	v_dual_add_nc_u32 v17, 4, v2 :: v_dual_bitop2_b32 v1, 15, v1 bitop3:0x40
	v_and_b32_e32 v15, 15, v15
	v_mul_u64_e32 v[10:11], s[24:25], v[10:11]
	v_mul_u64_e32 v[12:13], s[22:23], v[2:3]
	s_delay_alu instid0(VALU_DEP_4) | instskip(SKIP_4) | instid1(VALU_DEP_4)
	v_lshl_or_b32 v55, v1, 2, v20
	v_dual_add_nc_u32 v16, 5, v2 :: v_dual_bitop2_b32 v1, 15, v16 bitop3:0x40
	v_and_b32_e32 v17, 15, v17
	v_lshl_or_b32 v56, v15, 2, v20
	v_add_nc_u32_e32 v15, 6, v2
	v_lshl_or_b32 v57, v1, 2, v20
	v_dual_add_nc_u32 v16, 7, v2 :: v_dual_bitop2_b32 v1, 15, v16 bitop3:0x40
	v_lshl_or_b32 v58, v17, 2, v20
	s_delay_alu instid0(VALU_DEP_4) | instskip(NEXT) | instid1(VALU_DEP_3)
	v_dual_mov_b32 v15, v3 :: v_dual_bitop2_b32 v17, 15, v15 bitop3:0x40
	v_lshl_or_b32 v59, v1, 2, v20
	s_delay_alu instid0(VALU_DEP_4) | instskip(NEXT) | instid1(VALU_DEP_3)
	v_dual_add_nc_u32 v1, 9, v2 :: v_dual_bitop2_b32 v16, 15, v16 bitop3:0x40
	v_lshl_or_b32 v60, v17, 2, v20
	s_delay_alu instid0(VALU_DEP_4) | instskip(SKIP_1) | instid1(VALU_DEP_4)
	v_lshl_add_u64 v[14:15], s[44:45], 2, v[14:15]
	v_bitop3_b32 v17, v2, 8, 15 bitop3:0x6c
	v_and_b32_e32 v1, 15, v1
	v_lshl_or_b32 v61, v16, 2, v20
	v_add_nc_u32_e32 v16, 10, v2
	v_or_b32_e32 v18, 4, v14
	v_lshl_or_b32 v62, v17, 2, v20
	v_lshl_or_b32 v63, v1, 2, v20
	s_delay_alu instid0(VALU_DEP_4) | instskip(SKIP_3) | instid1(VALU_DEP_4)
	v_dual_add_nc_u32 v1, 11, v2 :: v_dual_bitop2_b32 v19, 15, v16 bitop3:0x40
	v_mul_lo_u32 v23, s13, v14
	v_add_nc_u32_e32 v24, 14, v2
	v_cmp_gt_i32_e64 s1, s28, v2
	v_and_b32_e32 v1, 15, v1
	v_lshl_or_b32 v64, v19, 2, v20
	v_and_b32_e32 v19, 15, v22
	v_dual_add_nc_u32 v22, 13, v2 :: v_dual_add_nc_u32 v2, -1, v2
	s_delay_alu instid0(VALU_DEP_4)
	v_lshl_or_b32 v65, v1, 2, v20
	v_mov_b32_e32 v1, v3
	v_mul_lo_u32 v21, s13, v18
	v_mad_nc_u64_u32 v[16:17], s12, v18, s[46:47]
	v_mul_lo_u32 v18, s12, v15
	v_mad_nc_u64_u32 v[14:15], s12, v14, s[46:47]
	s_mul_u64 s[50:51], s[24:25], s[44:45]
	s_mul_u64 s[52:53], s[22:23], s[44:45]
	s_add_nc_u64 s[46:47], s[48:49], s[46:47]
	s_add_nc_u64 s[10:11], s[16:17], s[18:19]
	s_lshl_b64 s[40:41], s[24:25], 7
	s_lshl_b64 s[42:43], s[22:23], 7
	s_mov_b32 s37, s5
	s_lshl_b64 s[44:45], s[14:15], 2
	s_lshl_b64 s[48:49], s[24:25], 2
	v_add3_u32 v17, v21, v17, v18
	v_and_b32_e32 v21, 15, v22
	v_add3_u32 v15, v23, v15, v18
	v_and_b32_e32 v22, 15, v24
	v_and_b32_e32 v2, 15, v2
	v_add_nc_u64_e32 v[16:17], v[16:17], v[0:1]
	v_lshl_or_b32 v67, v21, 2, v20
	v_mov_b32_e32 v21, v3
	v_lshl_or_b32 v66, v19, 2, v20
	v_add_nc_u64_e32 v[18:19], v[14:15], v[0:1]
	v_lshl_or_b32 v68, v22, 2, v20
	v_lshl_or_b32 v69, v2, 2, v20
	v_add_nc_u64_e32 v[14:15], s[8:9], v[16:17]
	v_or_b32_e32 v20, 0x80, v0
	s_lshl_b64 s[50:51], s[50:51], 2
	s_lshl_b64 s[52:53], s[52:53], 2
	v_add_nc_u64_e32 v[16:17], s[8:9], v[18:19]
	v_dual_mov_b32 v19, v3 :: v_dual_bitop2_b32 v18, 64, v0 bitop3:0x54
	s_add_nc_u64 s[8:9], s[8:9], s[46:47]
	s_lshl_b64 s[46:47], s[26:27], 2
	s_branch .LBB68_3
.LBB68_2:                               ;   in Loop: Header=BB68_3 Depth=1
	s_wait_xcnt 0x0
	s_or_b32 exec_lo, exec_lo, s28
	s_add_co_i32 s4, s4, 0x10000
	s_delay_alu instid0(SALU_CYCLE_1)
	s_cmp_lt_u32 s4, s29
	s_cbranch_scc0 .LBB68_77
.LBB68_3:                               ; =>This Loop Header: Depth=1
                                        ;     Child Loop BB68_35 Depth 2
	s_and_b32 vcc_lo, exec_lo, s33
	s_mov_b32 s28, -1
                                        ; implicit-def: $vgpr70
	s_cbranch_vccz .LBB68_5
; %bb.4:                                ;   in Loop: Header=BB68_3 Depth=1
	ds_load_b64 v[22:23], v43
	s_mul_u64 s[54:55], s[6:7], s[4:5]
	s_mov_b32 s28, 0
	s_wait_dscnt 0x0
	v_lshl_add_u64 v[22:23], s[54:55], 2, v[22:23]
	flat_load_b32 v70, v[22:23]
.LBB68_5:                               ;   in Loop: Header=BB68_3 Depth=1
	s_and_not1_b32 vcc_lo, exec_lo, s28
	s_cbranch_vccnz .LBB68_7
; %bb.6:                                ;   in Loop: Header=BB68_3 Depth=1
	s_wait_loadcnt_dscnt 0x0
	ds_load_b32 v70, v43
.LBB68_7:                               ;   in Loop: Header=BB68_3 Depth=1
	s_mov_b32 s28, exec_lo
	s_wait_loadcnt_dscnt 0x0
	s_wait_xcnt 0x0
	v_cmpx_neq_f32_e32 0, v70
	s_cbranch_execz .LBB68_2
; %bb.8:                                ;   in Loop: Header=BB68_3 Depth=1
	s_and_not1_b32 vcc_lo, exec_lo, s68
	s_cbranch_vccnz .LBB68_2
; %bb.9:                                ;   in Loop: Header=BB68_3 Depth=1
	s_load_b32 s54, s[34:35], 0x4
	s_mov_b32 s57, s5
	s_wait_kmcnt 0x0
	s_cvt_f32_u32 s55, s54
	s_sub_co_i32 s56, 0, s54
	s_delay_alu instid0(SALU_CYCLE_2) | instskip(SKIP_1) | instid1(TRANS32_DEP_1)
	v_rcp_iflag_f32_e32 v1, s55
	v_nop
	v_readfirstlane_b32 s55, v1
	s_mul_f32 s55, s55, 0x4f7ffffe
	s_delay_alu instid0(SALU_CYCLE_3) | instskip(NEXT) | instid1(SALU_CYCLE_3)
	s_cvt_u32_f32 s55, s55
	s_mul_i32 s56, s56, s55
	s_delay_alu instid0(SALU_CYCLE_1) | instskip(NEXT) | instid1(SALU_CYCLE_1)
	s_mul_hi_u32 s56, s55, s56
	s_add_co_i32 s56, s55, s56
	s_delay_alu instid0(SALU_CYCLE_1) | instskip(NEXT) | instid1(SALU_CYCLE_1)
	s_mul_u64 s[56:57], s[36:37], s[56:57]
	s_mul_i32 s55, s57, s54
	s_add_co_i32 s56, s57, 1
	s_sub_co_i32 s55, s36, s55
	s_delay_alu instid0(SALU_CYCLE_1)
	s_sub_co_i32 s58, s55, s54
	s_cmp_ge_u32 s55, s54
	s_cselect_b32 s56, s56, s57
	s_cselect_b32 s55, s58, s55
	s_add_co_i32 s57, s56, 1
	s_cmp_ge_u32 s55, s54
	s_cselect_b32 s56, s57, s56
	s_add_co_i32 s55, s54, -1
	s_mov_b32 s70, s56
	s_cmp_lg_u32 s66, s55
	s_cbranch_scc1 .LBB68_11
; %bb.10:                               ;   in Loop: Header=BB68_3 Depth=1
	s_mul_i32 s54, s56, s54
	s_delay_alu instid0(SALU_CYCLE_1) | instskip(NEXT) | instid1(SALU_CYCLE_1)
	s_sub_co_i32 s54, s36, s54
	s_add_co_i32 s70, s54, s56
.LBB68_11:                              ;   in Loop: Header=BB68_3 Depth=1
	s_delay_alu instid0(SALU_CYCLE_1)
	s_cmp_eq_u32 s70, 0
	s_cbranch_scc1 .LBB68_2
; %bb.12:                               ;   in Loop: Header=BB68_3 Depth=1
	s_load_b32 s69, s[34:35], 0x0
	s_mul_u64 s[54:55], s[26:27], s[4:5]
	s_mov_b32 s57, -1
	s_lshl_b64 s[54:55], s[54:55], 2
	s_delay_alu instid0(SALU_CYCLE_1) | instskip(NEXT) | instid1(SALU_CYCLE_1)
	s_add_nc_u64 s[60:61], s[10:11], s[54:55]
	s_add_nc_u64 s[54:55], s[60:61], s[50:51]
	s_wait_kmcnt 0x0
	s_add_co_i32 s69, s69, -1
	s_delay_alu instid0(SALU_CYCLE_1) | instskip(SKIP_1) | instid1(SALU_CYCLE_1)
	s_cmp_lg_u32 s36, s69
	s_cselect_b32 s64, -1, 0
	s_and_b32 vcc_lo, exec_lo, s64
	s_cbranch_vccz .LBB68_16
; %bb.13:                               ;   in Loop: Header=BB68_3 Depth=1
	s_and_saveexec_b32 s57, s0
	s_cbranch_execz .LBB68_15
; %bb.14:                               ;   in Loop: Header=BB68_3 Depth=1
	v_lshl_add_u64 v[22:23], v[6:7], 2, s[54:55]
	global_load_b32 v1, v[22:23], off
	s_wait_loadcnt 0x0
	ds_store_b32 v50, v1
.LBB68_15:                              ;   in Loop: Header=BB68_3 Depth=1
	s_wait_xcnt 0x0
	s_or_b32 exec_lo, exec_lo, s57
	s_mov_b32 s57, 0
.LBB68_16:                              ;   in Loop: Header=BB68_3 Depth=1
	s_delay_alu instid0(SALU_CYCLE_1)
	s_and_not1_b32 vcc_lo, exec_lo, s57
	s_cbranch_vccnz .LBB68_22
; %bb.17:                               ;   in Loop: Header=BB68_3 Depth=1
	s_and_saveexec_b32 s57, s0
	s_cbranch_execz .LBB68_21
; %bb.18:                               ;   in Loop: Header=BB68_3 Depth=1
	v_mov_b32_e32 v1, 0
	s_and_saveexec_b32 s58, s1
	s_cbranch_execz .LBB68_20
; %bb.19:                               ;   in Loop: Header=BB68_3 Depth=1
	v_lshl_add_u64 v[22:23], v[6:7], 2, s[54:55]
	global_load_b32 v1, v[22:23], off
.LBB68_20:                              ;   in Loop: Header=BB68_3 Depth=1
	s_wait_xcnt 0x0
	s_or_b32 exec_lo, exec_lo, s58
	s_wait_loadcnt 0x0
	ds_store_b32 v50, v1
.LBB68_21:                              ;   in Loop: Header=BB68_3 Depth=1
	s_or_b32 exec_lo, exec_lo, s57
	ds_store_2addr_b32 v51, v3, v3 offset1:16
	ds_store_2addr_b32 v52, v3, v3 offset1:16
.LBB68_22:                              ;   in Loop: Header=BB68_3 Depth=1
	s_mul_u64 s[54:55], s[14:15], s[4:5]
	s_mul_i32 s62, s67, s56
	s_lshl_b64 s[54:55], s[54:55], 2
	s_ashr_i32 s63, s62, 31
	v_cndmask_b32_e64 v1, 0, 1, s64
	s_add_nc_u64 s[54:55], s[38:39], s[54:55]
	s_lshl_b64 s[56:57], s[62:63], 2
	s_and_not1_b32 vcc_lo, exec_lo, s64
	s_add_nc_u64 s[58:59], s[54:55], s[56:57]
	s_mov_b32 s54, -1
	s_wait_dscnt 0x0
	s_barrier_signal -1
	s_barrier_wait -1
                                        ; implicit-def: $vgpr26_vgpr27
	s_cbranch_vccnz .LBB68_24
; %bb.23:                               ;   in Loop: Header=BB68_3 Depth=1
	v_lshl_add_u64 v[22:23], v[4:5], 2, s[58:59]
	s_mov_b32 s54, 0
	s_delay_alu instid0(VALU_DEP_1)
	v_lshl_add_u64 v[24:25], s[12:13], 2, v[22:23]
	s_clause 0x1
	global_load_b32 v26, v[22:23], off
	global_load_b32 v27, v[24:25], off
.LBB68_24:                              ;   in Loop: Header=BB68_3 Depth=1
	s_and_not1_b32 vcc_lo, exec_lo, s54
	s_cbranch_vccnz .LBB68_32
; %bb.25:                               ;   in Loop: Header=BB68_3 Depth=1
                                        ; implicit-def: $vgpr26_vgpr27
	s_wait_xcnt 0x0
	s_and_saveexec_b32 s54, s2
	s_delay_alu instid0(SALU_CYCLE_1)
	s_xor_b32 s54, exec_lo, s54
	s_cbranch_execz .LBB68_29
; %bb.26:                               ;   in Loop: Header=BB68_3 Depth=1
	s_wait_loadcnt 0x0
	v_mov_b64_e32 v[26:27], 0
	s_and_saveexec_b32 s55, s3
	s_cbranch_execz .LBB68_28
; %bb.27:                               ;   in Loop: Header=BB68_3 Depth=1
	v_lshl_add_u64 v[22:23], v[4:5], 2, s[58:59]
	global_load_b32 v2, v[22:23], off
	s_wait_loadcnt 0x0
	v_mov_b64_e32 v[26:27], v[2:3]
.LBB68_28:                              ;   in Loop: Header=BB68_3 Depth=1
	s_wait_xcnt 0x0
	s_or_b32 exec_lo, exec_lo, s55
.LBB68_29:                              ;   in Loop: Header=BB68_3 Depth=1
	s_and_not1_saveexec_b32 s54, s54
	s_cbranch_execz .LBB68_31
; %bb.30:                               ;   in Loop: Header=BB68_3 Depth=1
	v_lshl_add_u64 v[22:23], v[4:5], 2, s[58:59]
	s_delay_alu instid0(VALU_DEP_1)
	v_lshl_add_u64 v[24:25], s[12:13], 2, v[22:23]
	s_wait_loadcnt 0x1
	global_load_b32 v26, v[22:23], off
	s_wait_loadcnt 0x1
	global_load_b32 v27, v[24:25], off
.LBB68_31:                              ;   in Loop: Header=BB68_3 Depth=1
	s_wait_xcnt 0x0
	s_or_b32 exec_lo, exec_lo, s54
.LBB68_32:                              ;   in Loop: Header=BB68_3 Depth=1
	s_mul_u64 s[54:55], s[30:31], s[4:5]
	s_delay_alu instid0(SALU_CYCLE_1)
	s_lshl_b64 s[54:55], s[54:55], 2
	s_cmp_lt_i32 s70, 1
	s_add_nc_u64 s[54:55], s[20:21], s[54:55]
	s_cbranch_scc1 .LBB68_59
; %bb.33:                               ;   in Loop: Header=BB68_3 Depth=1
	s_mul_u64 s[64:65], s[24:25], s[62:63]
	v_mov_b32_e32 v31, 0
	s_lshl_b64 s[64:65], s[64:65], 2
	s_delay_alu instid0(SALU_CYCLE_1)
	s_add_nc_u64 s[60:61], s[60:61], s[64:65]
	s_mul_u64 s[64:65], s[22:23], s[62:63]
	s_wait_xcnt 0x0
	v_lshl_add_u64 v[22:23], v[8:9], 2, s[60:61]
	s_lshl_b64 s[64:65], s[64:65], 2
	s_cmp_eq_u32 s70, 1
	s_add_nc_u64 s[64:65], s[54:55], s[64:65]
	global_load_b32 v2, v[22:23], off
	s_cbranch_scc1 .LBB68_60
; %bb.34:                               ;   in Loop: Header=BB68_3 Depth=1
	s_wait_xcnt 0x0
	v_add_nc_u64_e32 v[22:23], s[56:57], v[18:19]
	v_add_nc_u64_e32 v[24:25], s[56:57], v[20:21]
	s_mul_u64 s[60:61], s[46:47], s[4:5]
	s_mul_u64 s[62:63], s[48:49], s[62:63]
	s_add_nc_u64 s[58:59], s[16:17], s[60:61]
	s_add_nc_u64 s[60:61], s[62:63], s[60:61]
	s_add_co_i32 s62, s70, -1
	v_mad_nc_u64_u32 v[32:33], s24, v22, s[58:59]
	v_mad_nc_u64_u32 v[34:35], s24, v24, s[58:59]
	s_mul_u64 s[58:59], s[44:45], s[4:5]
	s_add_nc_u64 s[60:61], s[16:17], s[60:61]
	v_add_nc_u64_e32 v[36:37], s[58:59], v[14:15]
	v_add_nc_u64_e32 v[38:39], s[58:59], v[16:17]
	s_add_nc_u64 s[58:59], s[8:9], s[58:59]
	s_delay_alu instid0(VALU_DEP_4) | instskip(NEXT) | instid1(VALU_DEP_4)
	v_mad_u32 v28, s25, v22, v33
	v_mad_u32 v24, s25, v24, v35
	v_mov_b32_e32 v22, 0
	s_delay_alu instid0(VALU_DEP_1) | instskip(NEXT) | instid1(VALU_DEP_4)
	v_mov_b32_e32 v29, v22
	v_mad_u32 v33, s24, v23, v28
	s_delay_alu instid0(VALU_DEP_4)
	v_mad_u32 v35, s24, v25, v24
	v_mov_b64_e32 v[24:25], s[64:65]
	v_dual_mov_b32 v23, v22 :: v_dual_mov_b32 v28, v22
.LBB68_35:                              ;   Parent Loop BB68_3 Depth=1
                                        ; =>  This Inner Loop Header: Depth=2
	s_delay_alu instid0(VALU_DEP_4)
	v_add_nc_u64_e32 v[30:31], s[18:19], v[32:33]
	v_cmp_ne_u32_e32 vcc_lo, 1, v1
	s_mov_b32 s63, -1
                                        ; implicit-def: $vgpr44_vgpr45
	global_load_b32 v42, v[30:31], off
                                        ; implicit-def: $vgpr31
	s_cbranch_vccnz .LBB68_37
; %bb.36:                               ;   in Loop: Header=BB68_35 Depth=2
	s_wait_xcnt 0x0
	v_add_nc_u64_e32 v[30:31], s[56:57], v[38:39]
	v_add_nc_u64_e32 v[40:41], s[56:57], v[36:37]
	s_mov_b32 s63, 0
	global_load_b32 v30, v[30:31], off offset:64
	global_load_b32 v31, v[40:41], off offset:64
	s_wait_loadcnt 0x0
	v_mov_b64_e32 v[44:45], v[30:31]
.LBB68_37:                              ;   in Loop: Header=BB68_35 Depth=2
	s_and_not1_b32 vcc_lo, exec_lo, s63
	s_cbranch_vccnz .LBB68_45
; %bb.38:                               ;   in Loop: Header=BB68_35 Depth=2
                                        ; implicit-def: $vgpr44_vgpr45
	s_wait_xcnt 0x0
	s_and_saveexec_b32 s63, s2
	s_delay_alu instid0(SALU_CYCLE_1)
	s_xor_b32 s63, exec_lo, s63
	s_cbranch_execz .LBB68_42
; %bb.39:                               ;   in Loop: Header=BB68_35 Depth=2
	v_mov_b64_e32 v[44:45], v[28:29]
	s_and_saveexec_b32 s64, s3
	s_cbranch_execz .LBB68_41
; %bb.40:                               ;   in Loop: Header=BB68_35 Depth=2
	v_add_nc_u64_e32 v[30:31], s[56:57], v[38:39]
	global_load_b32 v28, v[30:31], off offset:64
	s_wait_loadcnt 0x0
	v_mov_b64_e32 v[44:45], v[28:29]
.LBB68_41:                              ;   in Loop: Header=BB68_35 Depth=2
	s_wait_xcnt 0x0
	s_or_b32 exec_lo, exec_lo, s64
.LBB68_42:                              ;   in Loop: Header=BB68_35 Depth=2
	s_and_not1_saveexec_b32 s63, s63
	s_cbranch_execz .LBB68_44
; %bb.43:                               ;   in Loop: Header=BB68_35 Depth=2
	v_add_nc_u64_e32 v[28:29], s[56:57], v[38:39]
	v_add_nc_u64_e32 v[30:31], s[56:57], v[36:37]
	global_load_b32 v28, v[28:29], off offset:64
	global_load_b32 v29, v[30:31], off offset:64
	s_wait_loadcnt 0x0
	v_mov_b64_e32 v[44:45], v[28:29]
.LBB68_44:                              ;   in Loop: Header=BB68_35 Depth=2
	s_wait_xcnt 0x0
	s_or_b32 exec_lo, exec_lo, s63
	v_dual_mov_b32 v30, v28 :: v_dual_mov_b32 v31, v29
.LBB68_45:                              ;   in Loop: Header=BB68_35 Depth=2
	ds_load_b64 v[46:47], v53
	v_cmp_ne_u32_e32 vcc_lo, 1, v1
	s_mov_b32 s63, -1
                                        ; implicit-def: $vgpr28_vgpr29
	s_cbranch_vccnz .LBB68_47
; %bb.46:                               ;   in Loop: Header=BB68_35 Depth=2
	v_add_nc_u64_e32 v[28:29], s[56:57], v[38:39]
	s_wait_xcnt 0x0
	v_add_nc_u64_e32 v[40:41], s[56:57], v[36:37]
	s_mov_b32 s63, 0
	global_load_b32 v28, v[28:29], off offset:128
	global_load_b32 v29, v[40:41], off offset:128
.LBB68_47:                              ;   in Loop: Header=BB68_35 Depth=2
	s_and_not1_b32 vcc_lo, exec_lo, s63
	s_cbranch_vccnz .LBB68_55
; %bb.48:                               ;   in Loop: Header=BB68_35 Depth=2
                                        ; implicit-def: $vgpr28_vgpr29
	s_wait_xcnt 0x0
	s_and_saveexec_b32 s63, s2
	s_delay_alu instid0(SALU_CYCLE_1)
	s_xor_b32 s63, exec_lo, s63
	s_cbranch_execz .LBB68_52
; %bb.49:                               ;   in Loop: Header=BB68_35 Depth=2
	s_wait_loadcnt 0x0
	v_mov_b64_e32 v[28:29], v[26:27]
	s_and_saveexec_b32 s64, s3
	s_cbranch_execz .LBB68_51
; %bb.50:                               ;   in Loop: Header=BB68_35 Depth=2
	v_add_nc_u64_e32 v[28:29], s[56:57], v[38:39]
	global_load_b32 v28, v[28:29], off offset:128
	s_wait_xcnt 0x0
	v_mov_b32_e32 v29, v27
.LBB68_51:                              ;   in Loop: Header=BB68_35 Depth=2
	s_or_b32 exec_lo, exec_lo, s64
.LBB68_52:                              ;   in Loop: Header=BB68_35 Depth=2
	s_and_not1_saveexec_b32 s63, s63
	s_cbranch_execz .LBB68_54
; %bb.53:                               ;   in Loop: Header=BB68_35 Depth=2
	s_wait_loadcnt 0x0
	v_add_nc_u64_e32 v[28:29], s[56:57], v[38:39]
	v_add_nc_u64_e32 v[40:41], s[56:57], v[36:37]
	global_load_b32 v28, v[28:29], off offset:128
	global_load_b32 v29, v[40:41], off offset:128
.LBB68_54:                              ;   in Loop: Header=BB68_35 Depth=2
	s_wait_xcnt 0x0
	s_or_b32 exec_lo, exec_lo, s63
.LBB68_55:                              ;   in Loop: Header=BB68_35 Depth=2
	s_wait_xcnt 0x0
	v_add_nc_u64_e32 v[40:41], s[18:19], v[34:35]
	global_load_b32 v40, v[40:41], off
	s_wait_loadcnt_dscnt 0x400
	s_wait_xcnt 0x0
	v_fma_f32 v41, v26, v46, 0
	v_fma_f32 v46, v30, v46, 0
	s_wait_loadcnt 0x0
	s_barrier_signal -1
	s_barrier_wait -1
	v_fmac_f32_e32 v41, v27, v47
	v_dual_fmac_f32 v46, v31, v47 :: v_dual_add_nc_u32 v47, v0, v49
	ds_store_2addr_b32 v47, v41, v46 offset1:16
	s_wait_dscnt 0x0
	s_barrier_signal -1
	s_barrier_wait -1
	s_and_saveexec_b32 s63, s0
	s_cbranch_execz .LBB68_57
; %bb.56:                               ;   in Loop: Header=BB68_35 Depth=2
	ds_load_2addr_b32 v[46:47], v48 offset1:32
	ds_load_2addr_b32 v[72:73], v48 offset0:64 offset1:96
	ds_load_2addr_b32 v[74:75], v48 offset0:128 offset1:160
	v_add_nc_u32_e32 v71, 0x400, v48
	s_wait_dscnt 0x2
	v_add_f32_e32 v41, 0, v46
	s_delay_alu instid0(VALU_DEP_1) | instskip(SKIP_3) | instid1(VALU_DEP_1)
	v_add_f32_e32 v41, v41, v47
	ds_load_2addr_b32 v[46:47], v48 offset0:192 offset1:224
	s_wait_dscnt 0x2
	v_add_f32_e32 v41, v41, v72
	v_add_f32_e32 v41, v41, v73
	ds_load_2addr_b32 v[72:73], v71 offset1:32
	s_wait_dscnt 0x2
	v_add_f32_e32 v41, v41, v74
	s_delay_alu instid0(VALU_DEP_1) | instskip(SKIP_3) | instid1(VALU_DEP_1)
	v_add_f32_e32 v41, v41, v75
	ds_load_2addr_b32 v[74:75], v71 offset0:64 offset1:96
	s_wait_dscnt 0x2
	v_add_f32_e32 v41, v41, v46
	v_add_f32_e32 v41, v41, v47
	ds_load_2addr_b32 v[46:47], v71 offset0:128 offset1:160
	s_wait_dscnt 0x2
	v_add_f32_e32 v41, v41, v72
	s_delay_alu instid0(VALU_DEP_1) | instskip(SKIP_3) | instid1(VALU_DEP_1)
	v_add_f32_e32 v41, v41, v73
	ds_load_2addr_b32 v[72:73], v71 offset0:192 offset1:224
	s_wait_dscnt 0x2
	v_add_f32_e32 v41, v41, v74
	v_add_f32_e32 v41, v41, v75
	s_wait_dscnt 0x1
	s_delay_alu instid0(VALU_DEP_1) | instskip(NEXT) | instid1(VALU_DEP_1)
	v_add_f32_e32 v41, v41, v46
	v_add_f32_e32 v41, v41, v47
	v_lshl_add_u64 v[46:47], v[12:13], 2, v[24:25]
	v_add_nc_u64_e32 v[24:25], s[42:43], v[24:25]
	s_wait_dscnt 0x0
	s_delay_alu instid0(VALU_DEP_3) | instskip(NEXT) | instid1(VALU_DEP_1)
	v_add_f32_e32 v41, v41, v72
	v_add_f32_e32 v41, v41, v73
	s_delay_alu instid0(VALU_DEP_1)
	v_mul_f32_e32 v41, v70, v41
	global_atomic_add_f32 v[46:47], v41, off scope:SCOPE_DEV
.LBB68_57:                              ;   in Loop: Header=BB68_35 Depth=2
	s_wait_xcnt 0x0
	s_or_b32 exec_lo, exec_lo, s63
	v_pk_fma_f32 v[22:23], v[2:3], v[26:27], v[22:23] op_sel_hi:[0,1,1]
	v_add_nc_u64_e32 v[36:37], 0x80, v[36:37]
	v_add_nc_u64_e32 v[38:39], 0x80, v[38:39]
	;; [unrolled: 1-line block ×4, first 2 shown]
	v_pk_fma_f32 v[22:23], v[42:43], v[44:45], v[22:23] op_sel_hi:[0,1,1]
	s_add_co_i32 s62, s62, -1
	s_add_nc_u64 s[58:59], s[58:59], 0x80
	s_cmp_eq_u32 s62, 0
	s_add_nc_u64 s[60:61], s[60:61], s[40:41]
	s_cbranch_scc1 .LBB68_61
; %bb.58:                               ;   in Loop: Header=BB68_35 Depth=2
	v_mov_b32_e32 v2, v40
	v_mov_b64_e32 v[26:27], v[28:29]
	v_dual_mov_b32 v28, v30 :: v_dual_mov_b32 v29, v31
	s_branch .LBB68_35
.LBB68_59:                              ;   in Loop: Header=BB68_3 Depth=1
	s_wait_xcnt 0x0
	v_mov_b32_e32 v23, 0
	s_delay_alu instid0(VALU_DEP_1)
	v_mov_b32_e32 v22, v23
	s_branch .LBB68_75
.LBB68_60:                              ;   in Loop: Header=BB68_3 Depth=1
	s_wait_xcnt 0x1
	v_mov_b64_e32 v[24:25], s[64:65]
	s_wait_loadcnt 0x1
	v_mov_b64_e32 v[28:29], v[26:27]
	s_wait_xcnt 0x0
	v_dual_mov_b32 v30, v31 :: v_dual_mov_b32 v23, v31
	s_wait_loadcnt 0x0
	v_dual_mov_b32 v22, v31 :: v_dual_mov_b32 v40, v2
	s_branch .LBB68_62
.LBB68_61:                              ;   in Loop: Header=BB68_3 Depth=1
	s_add_nc_u64 s[60:61], s[60:61], s[18:19]
	s_add_nc_u64 s[58:59], s[58:59], s[56:57]
.LBB68_62:                              ;   in Loop: Header=BB68_3 Depth=1
	v_lshl_add_u64 v[26:27], v[10:11], 2, s[60:61]
	v_cmp_ne_u32_e32 vcc_lo, 1, v1
	s_mov_b32 s56, -1
                                        ; implicit-def: $vgpr1
                                        ; implicit-def: $vgpr2
	global_load_b32 v41, v[26:27], off
                                        ; implicit-def: $vgpr26_vgpr27
	s_cbranch_vccnz .LBB68_64
; %bb.63:                               ;   in Loop: Header=BB68_3 Depth=1
	s_wait_xcnt 0x0
	v_lshl_add_u64 v[26:27], v[4:5], 2, s[58:59]
	s_mov_b32 s56, 0
	s_delay_alu instid0(VALU_DEP_1)
	v_lshl_add_u64 v[32:33], s[12:13], 2, v[26:27]
	s_clause 0x1
	global_load_b32 v1, v[32:33], off offset:64
	global_load_b32 v2, v[26:27], off offset:64
	s_wait_loadcnt 0x1
	s_wait_xcnt 0x0
	v_mov_b64_e32 v[26:27], v[0:1]
.LBB68_64:                              ;   in Loop: Header=BB68_3 Depth=1
	s_and_not1_b32 vcc_lo, exec_lo, s56
	s_cbranch_vccnz .LBB68_72
; %bb.65:                               ;   in Loop: Header=BB68_3 Depth=1
                                        ; implicit-def: $vgpr26_vgpr27
	s_wait_xcnt 0x0
	s_and_saveexec_b32 s56, s2
	s_delay_alu instid0(SALU_CYCLE_1)
	s_xor_b32 s56, exec_lo, s56
	s_cbranch_execz .LBB68_69
; %bb.66:                               ;   in Loop: Header=BB68_3 Depth=1
	v_mov_b64_e32 v[26:27], v[30:31]
	s_and_saveexec_b32 s57, s3
	s_cbranch_execz .LBB68_68
; %bb.67:                               ;   in Loop: Header=BB68_3 Depth=1
	v_lshl_add_u64 v[26:27], v[4:5], 2, s[58:59]
	global_load_b32 v30, v[26:27], off offset:64
	s_wait_loadcnt 0x0
	s_wait_xcnt 0x0
	v_mov_b64_e32 v[26:27], v[30:31]
.LBB68_68:                              ;   in Loop: Header=BB68_3 Depth=1
	s_or_b32 exec_lo, exec_lo, s57
.LBB68_69:                              ;   in Loop: Header=BB68_3 Depth=1
	s_and_not1_saveexec_b32 s56, s56
	s_cbranch_execz .LBB68_71
; %bb.70:                               ;   in Loop: Header=BB68_3 Depth=1
	v_lshl_add_u64 v[26:27], v[4:5], 2, s[58:59]
	s_delay_alu instid0(VALU_DEP_1)
	v_lshl_add_u64 v[32:33], s[12:13], 2, v[26:27]
	s_clause 0x1
	global_load_b32 v30, v[26:27], off offset:64
	global_load_b32 v31, v[32:33], off offset:64
	s_wait_loadcnt 0x0
	s_wait_xcnt 0x1
	v_mov_b64_e32 v[26:27], v[30:31]
.LBB68_71:                              ;   in Loop: Header=BB68_3 Depth=1
	s_wait_xcnt 0x0
	s_or_b32 exec_lo, exec_lo, s56
	s_wait_loadcnt 0x0
	v_dual_mov_b32 v2, v30 :: v_dual_mov_b32 v1, v31
.LBB68_72:                              ;   in Loop: Header=BB68_3 Depth=1
	ds_load_b64 v[30:31], v53
	s_wait_storecnt 0x0
	s_wait_loadcnt_dscnt 0x0
	s_barrier_signal -1
	s_barrier_wait -1
	s_wait_xcnt 0x0
	v_fma_f32 v26, v28, v30, 0
	v_fma_f32 v30, v2, v30, 0
	s_delay_alu instid0(VALU_DEP_2) | instskip(NEXT) | instid1(VALU_DEP_2)
	v_dual_add_nc_u32 v32, v0, v49 :: v_dual_fmac_f32 v26, v29, v31
	v_fmac_f32_e32 v30, v1, v31
	ds_store_2addr_b32 v32, v26, v30 offset1:16
	s_wait_dscnt 0x0
	s_barrier_signal -1
	s_barrier_wait -1
	s_and_saveexec_b32 s56, s0
	s_cbranch_execz .LBB68_74
; %bb.73:                               ;   in Loop: Header=BB68_3 Depth=1
	ds_load_2addr_b32 v[30:31], v48 offset1:32
	ds_load_2addr_b32 v[32:33], v48 offset0:64 offset1:96
	ds_load_2addr_b32 v[34:35], v48 offset0:128 offset1:160
	v_lshl_add_u64 v[24:25], v[12:13], 2, v[24:25]
	s_wait_dscnt 0x2
	v_dual_add_f32 v1, 0, v30 :: v_dual_add_nc_u32 v26, 0x400, v48
	s_delay_alu instid0(VALU_DEP_1) | instskip(SKIP_3) | instid1(VALU_DEP_1)
	v_add_f32_e32 v1, v1, v31
	ds_load_2addr_b32 v[30:31], v48 offset0:192 offset1:224
	s_wait_dscnt 0x2
	v_add_f32_e32 v1, v1, v32
	v_add_f32_e32 v1, v1, v33
	ds_load_2addr_b32 v[32:33], v26 offset1:32
	s_wait_dscnt 0x2
	v_add_f32_e32 v1, v1, v34
	s_delay_alu instid0(VALU_DEP_1) | instskip(SKIP_3) | instid1(VALU_DEP_1)
	v_add_f32_e32 v1, v1, v35
	ds_load_2addr_b32 v[34:35], v26 offset0:64 offset1:96
	s_wait_dscnt 0x2
	v_add_f32_e32 v1, v1, v30
	v_add_f32_e32 v1, v1, v31
	ds_load_2addr_b32 v[30:31], v26 offset0:128 offset1:160
	s_wait_dscnt 0x2
	v_add_f32_e32 v1, v1, v32
	s_delay_alu instid0(VALU_DEP_1) | instskip(SKIP_3) | instid1(VALU_DEP_1)
	v_add_f32_e32 v1, v1, v33
	ds_load_2addr_b32 v[32:33], v26 offset0:192 offset1:224
	s_wait_dscnt 0x2
	v_add_f32_e32 v1, v1, v34
	v_add_f32_e32 v1, v1, v35
	s_wait_dscnt 0x1
	s_delay_alu instid0(VALU_DEP_1) | instskip(NEXT) | instid1(VALU_DEP_1)
	v_add_f32_e32 v1, v1, v30
	v_add_f32_e32 v1, v1, v31
	s_wait_dscnt 0x0
	s_delay_alu instid0(VALU_DEP_1) | instskip(NEXT) | instid1(VALU_DEP_1)
	v_add_f32_e32 v1, v1, v32
	v_add_f32_e32 v1, v1, v33
	s_delay_alu instid0(VALU_DEP_1)
	v_mul_f32_e32 v1, v70, v1
	global_atomic_add_f32 v[24:25], v1, off scope:SCOPE_DEV
.LBB68_74:                              ;   in Loop: Header=BB68_3 Depth=1
	s_wait_xcnt 0x0
	s_or_b32 exec_lo, exec_lo, s56
	v_mov_b32_e32 v26, v29
	s_delay_alu instid0(VALU_DEP_1) | instskip(SKIP_1) | instid1(VALU_DEP_2)
	v_pk_mul_f32 v[24:25], v[40:41], v[26:27]
	v_mul_f32_e32 v26, v40, v28
	v_dual_mov_b32 v27, v24 :: v_dual_mul_f32 v24, v41, v2
	s_delay_alu instid0(VALU_DEP_1) | instskip(NEXT) | instid1(VALU_DEP_1)
	v_pk_add_f32 v[22:23], v[22:23], v[26:27]
	v_pk_add_f32 v[22:23], v[22:23], v[24:25]
.LBB68_75:                              ;   in Loop: Header=BB68_3 Depth=1
	s_cmp_lt_u32 s36, s69
	ds_store_2addr_b32 v52, v22, v23 offset1:16
	s_cselect_b32 s56, -1, 0
	s_wait_storecnt 0x0
	s_wait_loadcnt_dscnt 0x0
	s_or_b32 s56, s1, s56
	s_barrier_signal -1
	s_and_b32 s56, s0, s56
	s_barrier_wait -1
	s_and_b32 exec_lo, exec_lo, s56
	s_cbranch_execz .LBB68_2
; %bb.76:                               ;   in Loop: Header=BB68_3 Depth=1
	ds_load_b32 v1, v54
	ds_load_b32 v2, v55
	;; [unrolled: 1-line block ×8, first 2 shown]
	s_add_nc_u64 s[54:55], s[54:55], s[52:53]
	s_wait_dscnt 0x7
	v_add_f32_e32 v1, 0, v1
	s_wait_dscnt 0x6
	s_delay_alu instid0(VALU_DEP_1)
	v_add_f32_e32 v1, v1, v2
	ds_load_b32 v2, v62
	s_wait_dscnt 0x6
	v_add_f32_e32 v1, v1, v22
	ds_load_b32 v22, v63
	s_wait_dscnt 0x6
	;; [unrolled: 3-line block ×3, first 2 shown]
	v_add_f32_e32 v1, v1, v24
	s_wait_dscnt 0x5
	s_delay_alu instid0(VALU_DEP_1) | instskip(SKIP_1) | instid1(VALU_DEP_1)
	v_add_f32_e32 v1, v1, v25
	s_wait_dscnt 0x4
	v_add_f32_e32 v1, v1, v26
	s_wait_dscnt 0x3
	s_delay_alu instid0(VALU_DEP_1)
	v_add_f32_e32 v1, v1, v27
	ds_load_b32 v24, v65
	ds_load_b32 v25, v66
	;; [unrolled: 1-line block ×5, first 2 shown]
	s_wait_dscnt 0x7
	v_add_f32_e32 v1, v1, v2
	s_wait_dscnt 0x6
	s_delay_alu instid0(VALU_DEP_1) | instskip(SKIP_1) | instid1(VALU_DEP_1)
	v_add_f32_e32 v1, v1, v22
	s_wait_dscnt 0x5
	v_add_f32_e32 v1, v1, v23
	v_lshl_add_u64 v[22:23], v[12:13], 2, s[54:55]
	s_wait_dscnt 0x4
	s_delay_alu instid0(VALU_DEP_2) | instskip(SKIP_1) | instid1(VALU_DEP_1)
	v_add_f32_e32 v1, v1, v24
	s_wait_dscnt 0x3
	v_add_f32_e32 v1, v1, v25
	s_wait_dscnt 0x2
	s_delay_alu instid0(VALU_DEP_1) | instskip(SKIP_1) | instid1(VALU_DEP_1)
	v_add_f32_e32 v1, v1, v26
	s_wait_dscnt 0x1
	v_add_f32_e32 v1, v1, v27
	s_wait_dscnt 0x0
	s_delay_alu instid0(VALU_DEP_1) | instskip(NEXT) | instid1(VALU_DEP_1)
	v_add_f32_e32 v1, v1, v28
	v_mul_f32_e32 v1, v70, v1
	global_atomic_add_f32 v[22:23], v1, off scope:SCOPE_DEV
	s_branch .LBB68_2
.LBB68_77:
	s_sendmsg sendmsg(MSG_DEALLOC_VGPRS)
	s_endpgm
	.section	.rodata,"a",@progbits
	.p2align	6, 0x0
	.amdhsa_kernel _ZL62rocblas_symv_kernel_upper_double_buffered_non_diagonal_genericILi32ELi8ELi2ELi1E24rocblas_internal_val_ptrIfEPKfPfEvbiT3_lT4_lllS6_lllT5_lllii
		.amdhsa_group_segment_fixed_size 6272
		.amdhsa_private_segment_fixed_size 0
		.amdhsa_kernarg_size 384
		.amdhsa_user_sgpr_count 4
		.amdhsa_user_sgpr_dispatch_ptr 1
		.amdhsa_user_sgpr_queue_ptr 0
		.amdhsa_user_sgpr_kernarg_segment_ptr 1
		.amdhsa_user_sgpr_dispatch_id 0
		.amdhsa_user_sgpr_kernarg_preload_length 0
		.amdhsa_user_sgpr_kernarg_preload_offset 0
		.amdhsa_user_sgpr_private_segment_size 0
		.amdhsa_wavefront_size32 1
		.amdhsa_uses_dynamic_stack 0
		.amdhsa_enable_private_segment 0
		.amdhsa_system_sgpr_workgroup_id_x 1
		.amdhsa_system_sgpr_workgroup_id_y 1
		.amdhsa_system_sgpr_workgroup_id_z 1
		.amdhsa_system_sgpr_workgroup_info 0
		.amdhsa_system_vgpr_workitem_id 2
		.amdhsa_next_free_vgpr 76
		.amdhsa_next_free_sgpr 71
		.amdhsa_named_barrier_count 0
		.amdhsa_reserve_vcc 1
		.amdhsa_float_round_mode_32 0
		.amdhsa_float_round_mode_16_64 0
		.amdhsa_float_denorm_mode_32 3
		.amdhsa_float_denorm_mode_16_64 3
		.amdhsa_fp16_overflow 0
		.amdhsa_memory_ordered 1
		.amdhsa_forward_progress 1
		.amdhsa_inst_pref_size 31
		.amdhsa_round_robin_scheduling 0
		.amdhsa_exception_fp_ieee_invalid_op 0
		.amdhsa_exception_fp_denorm_src 0
		.amdhsa_exception_fp_ieee_div_zero 0
		.amdhsa_exception_fp_ieee_overflow 0
		.amdhsa_exception_fp_ieee_underflow 0
		.amdhsa_exception_fp_ieee_inexact 0
		.amdhsa_exception_int_div_zero 0
	.end_amdhsa_kernel
	.section	.text._ZL62rocblas_symv_kernel_upper_double_buffered_non_diagonal_genericILi32ELi8ELi2ELi1E24rocblas_internal_val_ptrIfEPKfPfEvbiT3_lT4_lllS6_lllT5_lllii,"axG",@progbits,_ZL62rocblas_symv_kernel_upper_double_buffered_non_diagonal_genericILi32ELi8ELi2ELi1E24rocblas_internal_val_ptrIfEPKfPfEvbiT3_lT4_lllS6_lllT5_lllii,comdat
.Lfunc_end68:
	.size	_ZL62rocblas_symv_kernel_upper_double_buffered_non_diagonal_genericILi32ELi8ELi2ELi1E24rocblas_internal_val_ptrIfEPKfPfEvbiT3_lT4_lllS6_lllT5_lllii, .Lfunc_end68-_ZL62rocblas_symv_kernel_upper_double_buffered_non_diagonal_genericILi32ELi8ELi2ELi1E24rocblas_internal_val_ptrIfEPKfPfEvbiT3_lT4_lllS6_lllT5_lllii
                                        ; -- End function
	.set _ZL62rocblas_symv_kernel_upper_double_buffered_non_diagonal_genericILi32ELi8ELi2ELi1E24rocblas_internal_val_ptrIfEPKfPfEvbiT3_lT4_lllS6_lllT5_lllii.num_vgpr, 76
	.set _ZL62rocblas_symv_kernel_upper_double_buffered_non_diagonal_genericILi32ELi8ELi2ELi1E24rocblas_internal_val_ptrIfEPKfPfEvbiT3_lT4_lllS6_lllT5_lllii.num_agpr, 0
	.set _ZL62rocblas_symv_kernel_upper_double_buffered_non_diagonal_genericILi32ELi8ELi2ELi1E24rocblas_internal_val_ptrIfEPKfPfEvbiT3_lT4_lllS6_lllT5_lllii.numbered_sgpr, 71
	.set _ZL62rocblas_symv_kernel_upper_double_buffered_non_diagonal_genericILi32ELi8ELi2ELi1E24rocblas_internal_val_ptrIfEPKfPfEvbiT3_lT4_lllS6_lllT5_lllii.num_named_barrier, 0
	.set _ZL62rocblas_symv_kernel_upper_double_buffered_non_diagonal_genericILi32ELi8ELi2ELi1E24rocblas_internal_val_ptrIfEPKfPfEvbiT3_lT4_lllS6_lllT5_lllii.private_seg_size, 0
	.set _ZL62rocblas_symv_kernel_upper_double_buffered_non_diagonal_genericILi32ELi8ELi2ELi1E24rocblas_internal_val_ptrIfEPKfPfEvbiT3_lT4_lllS6_lllT5_lllii.uses_vcc, 1
	.set _ZL62rocblas_symv_kernel_upper_double_buffered_non_diagonal_genericILi32ELi8ELi2ELi1E24rocblas_internal_val_ptrIfEPKfPfEvbiT3_lT4_lllS6_lllT5_lllii.uses_flat_scratch, 0
	.set _ZL62rocblas_symv_kernel_upper_double_buffered_non_diagonal_genericILi32ELi8ELi2ELi1E24rocblas_internal_val_ptrIfEPKfPfEvbiT3_lT4_lllS6_lllT5_lllii.has_dyn_sized_stack, 0
	.set _ZL62rocblas_symv_kernel_upper_double_buffered_non_diagonal_genericILi32ELi8ELi2ELi1E24rocblas_internal_val_ptrIfEPKfPfEvbiT3_lT4_lllS6_lllT5_lllii.has_recursion, 0
	.set _ZL62rocblas_symv_kernel_upper_double_buffered_non_diagonal_genericILi32ELi8ELi2ELi1E24rocblas_internal_val_ptrIfEPKfPfEvbiT3_lT4_lllS6_lllT5_lllii.has_indirect_call, 0
	.section	.AMDGPU.csdata,"",@progbits
; Kernel info:
; codeLenInByte = 3900
; TotalNumSgprs: 73
; NumVgprs: 76
; ScratchSize: 0
; MemoryBound: 0
; FloatMode: 240
; IeeeMode: 1
; LDSByteSize: 6272 bytes/workgroup (compile time only)
; SGPRBlocks: 0
; VGPRBlocks: 4
; NumSGPRsForWavesPerEU: 73
; NumVGPRsForWavesPerEU: 76
; NamedBarCnt: 0
; Occupancy: 12
; WaveLimiterHint : 1
; COMPUTE_PGM_RSRC2:SCRATCH_EN: 0
; COMPUTE_PGM_RSRC2:USER_SGPR: 4
; COMPUTE_PGM_RSRC2:TRAP_HANDLER: 0
; COMPUTE_PGM_RSRC2:TGID_X_EN: 1
; COMPUTE_PGM_RSRC2:TGID_Y_EN: 1
; COMPUTE_PGM_RSRC2:TGID_Z_EN: 1
; COMPUTE_PGM_RSRC2:TIDIG_COMP_CNT: 2
	.section	.text._ZL26rocblas_hemvn_kernel_upperILb0ELi64ELi4ELi33ELi32ELi16ElPKfS1_PfEviT6_lT7_lT5_lS4_lS5_lS3_lT8_i,"axG",@progbits,_ZL26rocblas_hemvn_kernel_upperILb0ELi64ELi4ELi33ELi32ELi16ElPKfS1_PfEviT6_lT7_lT5_lS4_lS5_lS3_lT8_i,comdat
	.globl	_ZL26rocblas_hemvn_kernel_upperILb0ELi64ELi4ELi33ELi32ELi16ElPKfS1_PfEviT6_lT7_lT5_lS4_lS5_lS3_lT8_i ; -- Begin function _ZL26rocblas_hemvn_kernel_upperILb0ELi64ELi4ELi33ELi32ELi16ElPKfS1_PfEviT6_lT7_lT5_lS4_lS5_lS3_lT8_i
	.p2align	8
	.type	_ZL26rocblas_hemvn_kernel_upperILb0ELi64ELi4ELi33ELi32ELi16ElPKfS1_PfEviT6_lT7_lT5_lS4_lS5_lS3_lT8_i,@function
_ZL26rocblas_hemvn_kernel_upperILb0ELi64ELi4ELi33ELi32ELi16ElPKfS1_PfEviT6_lT7_lT5_lS4_lS5_lS3_lT8_i: ; @_ZL26rocblas_hemvn_kernel_upperILb0ELi64ELi4ELi33ELi32ELi16ElPKfS1_PfEviT6_lT7_lT5_lS4_lS5_lS3_lT8_i
; %bb.0:
	s_clause 0x1
	s_load_b64 s[4:5], s[0:1], 0x84
	s_load_b32 s33, s[0:1], 0x70
	s_bfe_u32 s2, ttmp6, 0x40014
	s_lshr_b32 s3, ttmp7, 16
	s_add_co_i32 s2, s2, 1
	s_bfe_u32 s6, ttmp6, 0x40008
	s_mul_i32 s7, s3, s2
	s_getreg_b32 s2, hwreg(HW_REG_IB_STS2, 6, 4)
	s_add_co_i32 s6, s6, s7
	s_mov_b32 s29, 0
	s_wait_kmcnt 0x0
	s_lshr_b32 s7, s4, 16
	s_and_b32 s4, s4, 0xffff
	s_and_b32 s5, s5, 0xffff
	s_mul_i32 s4, s7, s4
	s_cmp_eq_u32 s2, 0
	s_mul_i32 s4, s4, s5
	s_cselect_b32 s28, s3, s6
	s_cmp_lg_u32 s4, 0x100
	s_cselect_b32 s3, -1, 0
	s_cmp_ge_u32 s28, s33
	s_cselect_b32 s4, -1, 0
	s_delay_alu instid0(SALU_CYCLE_1) | instskip(NEXT) | instid1(SALU_CYCLE_1)
	s_or_b32 s3, s3, s4
	s_and_b32 vcc_lo, exec_lo, s3
	s_cbranch_vccnz .LBB69_129
; %bb.1:
	s_load_b32 s4, s[0:1], 0x0
	s_add_nc_u64 s[8:9], s[0:1], 0x78
	s_clause 0x2
	s_load_b512 s[36:51], s[0:1], 0x8
	s_load_b64 s[6:7], s[0:1], 0x68
	s_load_b256 s[20:27], s[0:1], 0x48
	s_wait_xcnt 0x0
	s_bfe_u32 s0, ttmp6, 0x4000c
	v_and_b32_e32 v106, 0x3ff, v0
	s_add_co_i32 s0, s0, 1
	v_bfe_u32 v1, v0, 10, 10
	s_and_b32 s1, ttmp6, 15
	s_mul_i32 s3, ttmp9, s0
	v_dual_mov_b32 v19, 0 :: v_dual_bitop2_b32 v16, 31, v0 bitop3:0x40
	s_add_co_i32 s1, s1, s3
	v_lshl_add_u32 v21, v1, 6, v106
	s_load_b32 s30, s[8:9], 0x0
	s_delay_alu instid0(VALU_DEP_2) | instskip(NEXT) | instid1(VALU_DEP_2)
	v_dual_mov_b32 v17, v19 :: v_dual_lshlrev_b32 v20, 2, v106
	v_dual_lshlrev_b32 v107, 2, v16 :: v_dual_lshrrev_b32 v62, 5, v21
	s_mov_b32 s31, s29
	v_cmp_eq_u32_e64 s0, 0, v1
	s_wait_kmcnt 0x0
	s_ashr_i32 s5, s4, 31
	s_cmp_eq_u32 s2, 0
	v_dual_lshlrev_b32 v65, 2, v62 :: v_dual_add_nc_u32 v66, 24, v62
	s_cselect_b32 s34, ttmp9, s1
	v_mad_nc_u64_u32 v[2:3], s44, v62, v[16:17]
	s_lshl_b32 s18, s34, 6
	s_delay_alu instid0(SALU_CYCLE_1) | instskip(SKIP_3) | instid1(VALU_DEP_1)
	v_dual_lshlrev_b32 v18, 4, v1 :: v_dual_add_nc_u32 v22, s18, v106
	s_lshr_b32 s1, s5, 26
	s_lshl_b64 s[2:3], s[50:51], 2
	s_add_co_i32 s1, s4, s1
	v_dual_ashrrev_i32 v23, 31, v22 :: v_dual_bitop2_b32 v8, 2, v65 bitop3:0x54
	s_and_not1_b32 s1, s1, 63
	s_add_co_i32 s10, s30, -1
	s_delay_alu instid0(VALU_DEP_3)
	v_mad_u32 v3, s45, v62, v3
	s_mul_u64 s[52:53], s[30:31], s[4:5]
	v_mul_u64_e32 v[4:5], s[20:21], v[22:23]
	s_lshl_b64 s[8:9], s[42:43], 2
	s_sub_co_i32 s31, s4, s1
	s_cmp_eq_u32 s34, s10
	s_add_nc_u64 s[8:9], s[40:41], s[8:9]
	s_cselect_b32 s42, s31, 0
	v_add_nc_u64_e32 v[28:29], 0xc8, v[18:19]
	s_cmp_lg_u32 s42, 0
	v_add_nc_u64_e32 v[30:31], 0xcc, v[18:19]
	s_cselect_b32 s66, -1, 0
	s_cmp_eq_u32 s42, 0
	v_lshlrev_b64_e32 v[2:3], 2, v[2:3]
	s_cselect_b32 s14, -1, 0
	s_ashr_i32 s19, s18, 31
	v_add_nc_u64_e32 v[32:33], 0x100, v[18:19]
	s_lshl_b64 s[12:13], s[18:19], 2
	s_ashr_i32 s35, s34, 31
	s_add_nc_u64 s[8:9], s[8:9], s[12:13]
	s_mul_u64 s[4:5], s[4:5], s[34:35]
	v_add_nc_u64_e32 v[6:7], s[8:9], v[2:3]
	s_add_nc_u64 s[10:11], s[48:49], s[2:3]
	s_lshl_b64 s[4:5], s[4:5], 2
	s_mul_u64 s[8:9], s[44:45], s[18:19]
	s_add_nc_u64 s[40:41], s[6:7], s[4:5]
	v_cmp_gt_u32_e64 s6, v8, v16
	v_add_nc_u64_e32 v[8:9], 0x8c, v[18:19]
	v_lshl_add_u64 v[24:25], s[8:9], 2, v[6:7]
	v_add_nc_u64_e32 v[6:7], 0x88, v[18:19]
	v_add_nc_u64_e32 v[10:11], 0x84, v[18:19]
	v_add_nc_u64_e32 v[12:13], 0xc0, v[18:19]
	v_add_nc_u64_e32 v[14:15], 0xc4, v[18:19]
	v_mul_u64_e32 v[40:41], s[44:45], v[28:29]
	v_lshl_add_u64 v[26:27], v[4:5], 2, s[10:11]
	v_add_nc_u64_e32 v[4:5], 0x80, v[18:19]
	v_mul_u64_e32 v[42:43], s[44:45], v[30:31]
	v_mul_u64_e32 v[44:45], s[44:45], v[32:33]
	v_add_nc_u64_e32 v[28:29], 0x104, v[18:19]
	v_add_nc_u64_e32 v[30:31], 0x108, v[18:19]
	;; [unrolled: 1-line block ×7, first 2 shown]
	v_mul_u64_e32 v[4:5], s[44:45], v[4:5]
	v_mul_u64_e32 v[6:7], s[44:45], v[6:7]
	v_mul_u64_e32 v[8:9], s[44:45], v[8:9]
	v_mul_u64_e32 v[10:11], s[44:45], v[10:11]
	v_mul_u64_e32 v[12:13], s[44:45], v[12:13]
	v_mul_u64_e32 v[14:15], s[44:45], v[14:15]
	v_mul_u64_e32 v[48:49], s[44:45], v[28:29]
	v_mul_u64_e32 v[50:51], s[44:45], v[30:31]
	v_mul_u64_e32 v[52:53], s[44:45], v[32:33]
	v_mul_u64_e32 v[54:55], s[44:45], v[34:35]
	v_mul_u64_e32 v[56:57], s[44:45], v[36:37]
	v_mul_u64_e32 v[58:59], s[44:45], v[38:39]
	v_mul_u64_e32 v[60:61], s[44:45], v[46:47]
	v_dual_add_nc_u32 v63, 8, v62 :: v_dual_add_nc_u32 v64, 16, v62
	s_sub_co_i32 s16, s42, 32
	v_cmp_gt_i32_e64 s5, s42, v66
	v_lshl_or_b32 v109, v16, 7, v107
	v_or_b32_e32 v28, 32, v16
	v_cmp_gt_i32_e64 s4, s42, v64
	v_cmp_gt_i32_e64 s12, s16, v64
	v_and_b32_e32 v64, 15, v0
	v_and_b32_e32 v0, 48, v0
	v_or_b32_e32 v67, 3, v65
	v_cmp_gt_i32_e64 s13, s16, v66
	v_lshrrev_b32_e32 v66, 2, v21
	v_cmp_gt_i32_e64 s3, s42, v63
	v_lshlrev_b32_e32 v0, 2, v0
	v_cmp_gt_u32_e64 s7, v67, v16
	v_lshlrev_b32_e32 v67, 4, v62
	v_cmp_gt_i32_e64 s9, s42, v28
	v_cmp_gt_i32_e64 s10, s16, v63
	v_or_b32_e32 v63, 1, v65
	v_sub_nc_u64_e32 v[28:29], v[4:5], v[2:3]
	v_add_nc_u32_e32 v110, v109, v67
	v_sub_nc_u64_e32 v[30:31], v[6:7], v[2:3]
	v_sub_nc_u64_e32 v[32:33], v[8:9], v[2:3]
	;; [unrolled: 1-line block ×15, first 2 shown]
	v_mul_u32_u24_e32 v2, 0x10c, v64
	v_and_b32_e32 v3, 0x1ffc, v66
	v_and_b32_e32 v5, 0x7ff0, v21
	v_cmp_gt_i32_e32 vcc_lo, s42, v106
	v_dual_lshlrev_b32 v118, 2, v1 :: v_dual_bitop2_b32 v4, 60, v20 bitop3:0x54
	s_delay_alu instid0(VALU_DEP_4)
	v_mad_u32_u24 v111, 0x10c, v64, v3
	v_mad_u32_u24 v112, 0x10c, v64, v0
	v_mul_u32_u24_e32 v0, 33, v16
	v_add_nc_u32_e32 v114, v2, v5
	v_mul_u32_u24_e32 v2, 0x210, v62
	v_mul_u32_u24_e32 v3, 0x84, v63
	v_sub_nc_u64_e32 v[60:61], 0, v[16:17]
	s_add_co_i32 s58, s34, 1
	v_mul_u32_u24_e32 v108, 0x84, v62
	v_cmp_gt_i32_e64 s1, s42, v16
	v_cmp_gt_i32_e64 s2, s42, v62
	s_ashr_i32 s43, s42, 31
	s_or_b32 s35, s14, vcc_lo
	s_lshl_b64 s[48:49], s[44:45], 5
	s_lshl_b64 s[50:51], s[44:45], 6
	v_cmp_gt_u32_e64 s8, v65, v16
	v_cmp_gt_u32_e64 s11, 32, v21
	v_cmp_gt_u32_e64 s14, 64, v21
	v_mad_u32_u24 v113, 0x10c, v64, v4
	v_cmp_ge_u32_e64 s15, v65, v16
	v_add_nc_u32_e32 v115, 0x11c0, v67
	v_lshl_add_u32 v116, v0, 2, v65
	v_cmp_gt_i32_e64 s16, s16, v62
	v_cmp_eq_u32_e64 s17, 1, v62
	v_mul_i32_i24_e32 v117, -12, v62
	v_mad_u32_u24 v119, 0x430, v1, v20
	v_mad_u32_u24 v120, 0x10c, v1, v20
	v_dual_add_nc_u32 v121, v109, v65 :: v_dual_mov_b32 v21, v19
	v_add_nc_u32_e32 v122, 0x11c0, v65
	v_dual_add_nc_u32 v123, v107, v2 :: v_dual_add_nc_u32 v124, v107, v3
	v_add_nc_u32_e32 v17, 0x11c0, v20
	v_add_nc_u32_e32 v125, 0x10c0, v18
	s_mul_u64 s[56:57], s[20:21], s[18:19]
	s_cmp_lt_u32 s58, s30
	s_mul_u64 s[54:55], s[44:45], 0x60
	s_sub_nc_u64 s[56:57], 0, s[56:57]
	s_cselect_b32 s67, -1, 0
	s_add_co_i32 s68, s30, -2
	s_and_b32 s69, s0, s35
	s_mov_b64 s[58:59], 0xffffffffffffff80
	s_mov_b64 s[60:61], 0xffffffffffffff7c
	s_sub_nc_u64 s[62:63], 0, s[42:43]
	s_add_co_i32 s70, s18, 64
	s_lshl_b64 s[44:45], s[44:45], 8
	s_branch .LBB69_4
.LBB69_2:                               ;   in Loop: Header=BB69_4 Depth=1
	s_wait_xcnt 0x0
	s_or_b32 exec_lo, exec_lo, s64
.LBB69_3:                               ;   in Loop: Header=BB69_4 Depth=1
	s_add_co_i32 s28, s28, 0x10000
	s_delay_alu instid0(SALU_CYCLE_1)
	s_cmp_lt_u32 s28, s33
	s_cbranch_scc0 .LBB69_129
.LBB69_4:                               ; =>This Loop Header: Depth=1
                                        ;     Child Loop BB69_69 Depth 2
	s_mul_u64 s[18:19], s[38:39], s[28:29]
	s_wait_xcnt 0x0
	s_mul_u64 s[64:65], s[26:27], s[28:29]
	s_lshl_b64 s[18:19], s[18:19], 2
	s_lshl_b64 s[64:65], s[64:65], 2
	s_add_nc_u64 s[18:19], s[36:37], s[18:19]
	s_add_nc_u64 s[64:65], s[24:25], s[64:65]
	s_clause 0x1
	global_load_b32 v0, v19, s[18:19]
	global_load_b32 v1, v19, s[64:65]
	s_wait_loadcnt 0x1
	s_wait_xcnt 0x1
	v_cmp_eq_f32_e64 s18, 0, v0
	s_wait_loadcnt 0x0
	v_cmp_eq_f32_e32 vcc_lo, 1.0, v1
	s_and_b32 s19, s18, vcc_lo
	s_delay_alu instid0(SALU_CYCLE_1)
	s_and_b32 vcc_lo, exec_lo, s19
	s_cbranch_vccnz .LBB69_3
; %bb.5:                                ;   in Loop: Header=BB69_4 Depth=1
	s_and_b32 vcc_lo, exec_lo, s18
	s_cbranch_vccnz .LBB69_3
; %bb.6:                                ;   in Loop: Header=BB69_4 Depth=1
	s_mul_u64 s[18:19], s[22:23], s[28:29]
	s_delay_alu instid0(SALU_CYCLE_1)
	v_lshl_add_u64 v[4:5], s[18:19], 2, v[26:27]
	s_wait_xcnt 0x0
	s_and_saveexec_b32 s18, s0
	s_cbranch_execz .LBB69_10
; %bb.7:                                ;   in Loop: Header=BB69_4 Depth=1
	v_mov_b32_e32 v0, 0
	s_and_saveexec_b32 s19, s35
	s_cbranch_execz .LBB69_9
; %bb.8:                                ;   in Loop: Header=BB69_4 Depth=1
	global_load_b32 v0, v[4:5], off
.LBB69_9:                               ;   in Loop: Header=BB69_4 Depth=1
	s_wait_xcnt 0x0
	s_or_b32 exec_lo, exec_lo, s19
	s_wait_loadcnt 0x0
	ds_store_b32 v17, v0
.LBB69_10:                              ;   in Loop: Header=BB69_4 Depth=1
	s_or_b32 exec_lo, exec_lo, s18
	s_mul_u64 s[18:19], s[46:47], s[28:29]
	s_and_b32 vcc_lo, exec_lo, s66
	v_lshl_add_u64 v[2:3], s[18:19], 2, v[24:25]
	s_mov_b32 s18, -1
                                        ; implicit-def: $vgpr0_vgpr1
	s_cbranch_vccz .LBB69_20
; %bb.11:                               ;   in Loop: Header=BB69_4 Depth=1
	s_delay_alu instid0(VALU_DEP_1) | instskip(SKIP_1) | instid1(VALU_DEP_2)
	v_lshl_add_u64 v[0:1], v[60:61], 2, v[2:3]
	v_mov_b32_e32 v7, 0
	v_lshl_add_u64 v[0:1], s[42:43], 2, v[0:1]
	s_delay_alu instid0(VALU_DEP_1) | instskip(NEXT) | instid1(VALU_DEP_1)
	v_add_nc_u64_e32 v[0:1], -4, v[0:1]
	v_dual_mov_b32 v8, 0 :: v_dual_cndmask_b32 v1, v1, v3, s1
	s_delay_alu instid0(VALU_DEP_2)
	v_cndmask_b32_e64 v0, v0, v2, s1
	s_and_saveexec_b32 s18, s2
	s_cbranch_execz .LBB69_13
; %bb.12:                               ;   in Loop: Header=BB69_4 Depth=1
	global_load_b32 v7, v[0:1], off
.LBB69_13:                              ;   in Loop: Header=BB69_4 Depth=1
	s_wait_xcnt 0x0
	s_or_b32 exec_lo, exec_lo, s18
	v_add_nc_u32_e32 v6, v107, v108
	s_wait_loadcnt 0x0
	ds_store_b32 v6, v7
	s_and_saveexec_b32 s18, s3
	s_cbranch_execz .LBB69_15
; %bb.14:                               ;   in Loop: Header=BB69_4 Depth=1
	v_add_nc_u64_e32 v[8:9], s[48:49], v[0:1]
	global_load_b32 v8, v[8:9], off
.LBB69_15:                              ;   in Loop: Header=BB69_4 Depth=1
	s_wait_xcnt 0x0
	s_or_b32 exec_lo, exec_lo, s18
	v_dual_mov_b32 v7, 0 :: v_dual_mov_b32 v9, 0
	s_wait_loadcnt 0x0
	ds_store_b32 v6, v8 offset:1056
	s_and_saveexec_b32 s18, s4
	s_cbranch_execz .LBB69_17
; %bb.16:                               ;   in Loop: Header=BB69_4 Depth=1
	v_add_nc_u64_e32 v[8:9], s[50:51], v[0:1]
	global_load_b32 v9, v[8:9], off
.LBB69_17:                              ;   in Loop: Header=BB69_4 Depth=1
	s_wait_xcnt 0x0
	s_or_b32 exec_lo, exec_lo, s18
	s_wait_loadcnt 0x0
	ds_store_b32 v6, v9 offset:2112
	s_and_saveexec_b32 s18, s5
	s_cbranch_execz .LBB69_19
; %bb.18:                               ;   in Loop: Header=BB69_4 Depth=1
	v_add_nc_u64_e32 v[8:9], s[54:55], v[0:1]
	global_load_b32 v7, v[8:9], off
.LBB69_19:                              ;   in Loop: Header=BB69_4 Depth=1
	s_wait_xcnt 0x0
	s_or_b32 exec_lo, exec_lo, s18
	v_lshlrev_b32_e32 v18, 2, v16
	s_mov_b32 s18, 0
	s_wait_loadcnt 0x0
	ds_store_b32 v6, v7 offset:3168
	v_add_nc_u64_e32 v[0:1], v[0:1], v[18:19]
	s_delay_alu instid0(VALU_DEP_1) | instskip(NEXT) | instid1(VALU_DEP_1)
	v_lshl_add_u64 v[0:1], s[62:63], 2, v[0:1]
	v_add_nc_u64_e32 v[0:1], 4, v[0:1]
	s_delay_alu instid0(VALU_DEP_1)
	v_dual_cndmask_b32 v1, v1, v3, s1 :: v_dual_cndmask_b32 v0, v0, v2, s1
.LBB69_20:                              ;   in Loop: Header=BB69_4 Depth=1
	v_add_nc_u32_e32 v8, v107, v108
	s_and_b32 vcc_lo, exec_lo, s18
	s_cbranch_vccz .LBB69_22
; %bb.21:                               ;   in Loop: Header=BB69_4 Depth=1
	v_add_nc_u64_e32 v[0:1], s[48:49], v[2:3]
	s_delay_alu instid0(VALU_DEP_1) | instskip(NEXT) | instid1(VALU_DEP_1)
	v_add_nc_u64_e32 v[6:7], s[48:49], v[0:1]
	v_add_nc_u64_e32 v[10:11], s[48:49], v[6:7]
	s_clause 0x3
	global_load_b32 v9, v[2:3], off
	global_load_b32 v12, v[0:1], off
	;; [unrolled: 1-line block ×4, first 2 shown]
	v_mov_b64_e32 v[0:1], v[2:3]
	s_wait_loadcnt 0x3
	ds_store_b32 v8, v9
	s_wait_loadcnt 0x2
	ds_store_b32 v8, v12 offset:1056
	s_wait_loadcnt 0x1
	ds_store_b32 v8, v6 offset:2112
	;; [unrolled: 2-line block ×3, first 2 shown]
.LBB69_22:                              ;   in Loop: Header=BB69_4 Depth=1
	s_wait_dscnt 0x0
	s_barrier_signal -1
	s_barrier_wait -1
	s_wait_xcnt 0x0
	s_and_saveexec_b32 s18, s8
	s_cbranch_execnz .LBB69_123
; %bb.23:                               ;   in Loop: Header=BB69_4 Depth=1
	s_or_b32 exec_lo, exec_lo, s18
	s_and_saveexec_b32 s18, s15
	s_cbranch_execnz .LBB69_124
.LBB69_24:                              ;   in Loop: Header=BB69_4 Depth=1
	s_or_b32 exec_lo, exec_lo, s18
	s_and_saveexec_b32 s18, s6
	s_cbranch_execnz .LBB69_125
.LBB69_25:                              ;   in Loop: Header=BB69_4 Depth=1
	s_or_b32 exec_lo, exec_lo, s18
	s_and_saveexec_b32 s18, s7
	s_cbranch_execz .LBB69_27
.LBB69_26:                              ;   in Loop: Header=BB69_4 Depth=1
	ds_load_b32 v2, v124 offset:264
	s_wait_dscnt 0x0
	ds_store_b32 v110, v2 offset:12
.LBB69_27:                              ;   in Loop: Header=BB69_4 Depth=1
	s_or_b32 exec_lo, exec_lo, s18
	s_wait_dscnt 0x0
	s_barrier_signal -1
	s_barrier_wait -1
	ds_load_2addr_b32 v[2:3], v124 offset1:33
	ds_load_b32 v6, v123
	ds_load_b128 v[10:13], v115
	ds_load_b32 v15, v124 offset:264
	s_wait_dscnt 0x0
	s_barrier_signal -1
	s_barrier_wait -1
	v_dual_mov_b32 v126, 0 :: v_dual_mov_b32 v7, v2
	v_mov_b32_e32 v14, v3
	s_delay_alu instid0(VALU_DEP_2) | instskip(NEXT) | instid1(VALU_DEP_2)
	v_pk_mul_f32 v[6:7], v[6:7], v[10:11]
	v_pk_mul_f32 v[2:3], v[14:15], v[12:13]
	s_delay_alu instid0(VALU_DEP_2) | instskip(NEXT) | instid1(VALU_DEP_1)
	v_add_f32_e32 v6, 0, v6
	v_add_f32_e32 v6, v6, v7
	s_delay_alu instid0(VALU_DEP_1) | instskip(NEXT) | instid1(VALU_DEP_1)
	v_add_f32_e32 v2, v6, v2
	v_add_f32_e32 v2, v2, v3
	ds_store_b32 v116, v2
	s_wait_dscnt 0x0
	s_barrier_signal -1
	s_barrier_wait -1
	s_and_saveexec_b32 s18, s11
	s_cbranch_execz .LBB69_29
; %bb.28:                               ;   in Loop: Header=BB69_4 Depth=1
	ds_load_2addr_b32 v[2:3], v109 offset1:1
	ds_load_2addr_b32 v[6:7], v109 offset0:2 offset1:3
	ds_load_2addr_b32 v[10:11], v109 offset0:4 offset1:5
	;; [unrolled: 1-line block ×3, first 2 shown]
	s_wait_dscnt 0x3
	v_add_f32_e32 v2, v2, v3
	s_wait_dscnt 0x2
	s_delay_alu instid0(VALU_DEP_1) | instskip(NEXT) | instid1(VALU_DEP_1)
	v_add_f32_e32 v2, v2, v6
	v_add_f32_e32 v2, v2, v7
	s_wait_dscnt 0x1
	s_delay_alu instid0(VALU_DEP_1) | instskip(NEXT) | instid1(VALU_DEP_1)
	v_add_f32_e32 v2, v2, v10
	;; [unrolled: 4-line block ×3, first 2 shown]
	v_add_f32_e32 v126, v2, v13
.LBB69_29:                              ;   in Loop: Header=BB69_4 Depth=1
	s_or_b32 exec_lo, exec_lo, s18
	v_lshl_add_u64 v[6:7], s[48:49], 2, v[0:1]
	s_and_b32 vcc_lo, exec_lo, s66
	s_mov_b32 s18, -1
	s_barrier_signal -1
	s_delay_alu instid0(VALU_DEP_1)
	v_add_nc_u64_e32 v[2:3], 0x80, v[6:7]
	s_barrier_wait -1
                                        ; implicit-def: $vgpr0_vgpr1
	s_cbranch_vccz .LBB69_39
; %bb.30:                               ;   in Loop: Header=BB69_4 Depth=1
	v_lshl_add_u64 v[0:1], v[60:61], 2, v[6:7]
	v_mov_b32_e32 v9, 0
	s_delay_alu instid0(VALU_DEP_2) | instskip(NEXT) | instid1(VALU_DEP_1)
	v_lshl_add_u64 v[0:1], s[42:43], 2, v[0:1]
	v_add_nc_u64_e32 v[0:1], -4, v[0:1]
	s_delay_alu instid0(VALU_DEP_1) | instskip(NEXT) | instid1(VALU_DEP_2)
	v_dual_mov_b32 v10, 0 :: v_dual_cndmask_b32 v1, v1, v3, s9
	v_cndmask_b32_e64 v0, v0, v2, s9
	s_and_saveexec_b32 s18, s16
	s_cbranch_execz .LBB69_32
; %bb.31:                               ;   in Loop: Header=BB69_4 Depth=1
	global_load_b32 v9, v[0:1], off
.LBB69_32:                              ;   in Loop: Header=BB69_4 Depth=1
	s_wait_xcnt 0x0
	s_or_b32 exec_lo, exec_lo, s18
	s_wait_loadcnt 0x0
	ds_store_b32 v8, v9
	s_and_saveexec_b32 s18, s10
	s_cbranch_execz .LBB69_34
; %bb.33:                               ;   in Loop: Header=BB69_4 Depth=1
	v_add_nc_u64_e32 v[10:11], s[48:49], v[0:1]
	global_load_b32 v10, v[10:11], off
.LBB69_34:                              ;   in Loop: Header=BB69_4 Depth=1
	s_wait_xcnt 0x0
	s_or_b32 exec_lo, exec_lo, s18
	v_dual_mov_b32 v9, 0 :: v_dual_mov_b32 v11, 0
	s_wait_loadcnt 0x0
	ds_store_b32 v8, v10 offset:1056
	s_and_saveexec_b32 s18, s12
	s_cbranch_execz .LBB69_36
; %bb.35:                               ;   in Loop: Header=BB69_4 Depth=1
	v_add_nc_u64_e32 v[10:11], s[50:51], v[0:1]
	global_load_b32 v11, v[10:11], off
.LBB69_36:                              ;   in Loop: Header=BB69_4 Depth=1
	s_wait_xcnt 0x0
	s_or_b32 exec_lo, exec_lo, s18
	s_wait_loadcnt 0x0
	ds_store_b32 v8, v11 offset:2112
	s_and_saveexec_b32 s18, s13
	s_cbranch_execz .LBB69_38
; %bb.37:                               ;   in Loop: Header=BB69_4 Depth=1
	v_add_nc_u64_e32 v[10:11], s[54:55], v[0:1]
	global_load_b32 v9, v[10:11], off
.LBB69_38:                              ;   in Loop: Header=BB69_4 Depth=1
	s_wait_xcnt 0x0
	s_or_b32 exec_lo, exec_lo, s18
	v_lshlrev_b32_e32 v18, 2, v16
	s_mov_b32 s18, 0
	s_wait_loadcnt 0x0
	ds_store_b32 v8, v9 offset:3168
	v_add_nc_u64_e32 v[0:1], v[0:1], v[18:19]
	s_delay_alu instid0(VALU_DEP_1) | instskip(NEXT) | instid1(VALU_DEP_1)
	v_lshl_add_u64 v[0:1], s[62:63], 2, v[0:1]
	v_add_nc_u64_e32 v[0:1], 0x84, v[0:1]
	s_delay_alu instid0(VALU_DEP_1)
	v_dual_cndmask_b32 v1, v1, v3, s9 :: v_dual_cndmask_b32 v0, v0, v2, s9
.LBB69_39:                              ;   in Loop: Header=BB69_4 Depth=1
	s_and_b32 vcc_lo, exec_lo, s18
	s_cbranch_vccz .LBB69_41
; %bb.40:                               ;   in Loop: Header=BB69_4 Depth=1
	v_add_nc_u64_e32 v[0:1], s[48:49], v[6:7]
	s_delay_alu instid0(VALU_DEP_1) | instskip(NEXT) | instid1(VALU_DEP_1)
	v_add_nc_u64_e32 v[10:11], s[48:49], v[0:1]
	v_add_nc_u64_e32 v[12:13], s[48:49], v[10:11]
	s_clause 0x3
	global_load_b32 v6, v[6:7], off offset:128
	global_load_b32 v7, v[0:1], off offset:128
	;; [unrolled: 1-line block ×4, first 2 shown]
	v_mov_b64_e32 v[0:1], v[2:3]
	s_wait_loadcnt 0x3
	ds_store_b32 v8, v6
	s_wait_loadcnt 0x2
	ds_store_b32 v8, v7 offset:1056
	s_wait_loadcnt 0x1
	ds_store_b32 v8, v9 offset:2112
	;; [unrolled: 2-line block ×3, first 2 shown]
.LBB69_41:                              ;   in Loop: Header=BB69_4 Depth=1
	s_wait_dscnt 0x0
	s_barrier_signal -1
	s_barrier_wait -1
	s_wait_xcnt 0x0
	s_and_saveexec_b32 s18, s8
	s_cbranch_execnz .LBB69_126
; %bb.42:                               ;   in Loop: Header=BB69_4 Depth=1
	s_or_b32 exec_lo, exec_lo, s18
	s_and_saveexec_b32 s18, s15
	s_cbranch_execnz .LBB69_127
.LBB69_43:                              ;   in Loop: Header=BB69_4 Depth=1
	s_or_b32 exec_lo, exec_lo, s18
	s_and_saveexec_b32 s18, s6
	s_cbranch_execnz .LBB69_128
.LBB69_44:                              ;   in Loop: Header=BB69_4 Depth=1
	s_or_b32 exec_lo, exec_lo, s18
	s_and_saveexec_b32 s18, s7
	s_cbranch_execz .LBB69_46
.LBB69_45:                              ;   in Loop: Header=BB69_4 Depth=1
	ds_load_b32 v2, v124 offset:264
	s_wait_dscnt 0x0
	ds_store_b32 v110, v2 offset:12
.LBB69_46:                              ;   in Loop: Header=BB69_4 Depth=1
	s_or_b32 exec_lo, exec_lo, s18
	s_wait_dscnt 0x0
	s_barrier_signal -1
	s_barrier_wait -1
	ds_load_2addr_b32 v[2:3], v124 offset1:33
	ds_load_b32 v6, v123
	ds_load_b128 v[10:13], v115 offset:128
	ds_load_b32 v15, v124 offset:264
	s_wait_dscnt 0x0
	s_barrier_signal -1
	s_barrier_wait -1
	v_dual_mov_b32 v7, v2 :: v_dual_mov_b32 v14, v3
	s_delay_alu instid0(VALU_DEP_1) | instskip(NEXT) | instid1(VALU_DEP_2)
	v_pk_mul_f32 v[6:7], v[6:7], v[10:11]
	v_pk_mul_f32 v[2:3], v[14:15], v[12:13]
	s_delay_alu instid0(VALU_DEP_2) | instskip(NEXT) | instid1(VALU_DEP_1)
	v_add_f32_e32 v6, 0, v6
	v_add_f32_e32 v6, v6, v7
	s_delay_alu instid0(VALU_DEP_1) | instskip(NEXT) | instid1(VALU_DEP_1)
	v_add_f32_e32 v2, v6, v2
	v_add_f32_e32 v2, v2, v3
	ds_store_b32 v116, v2
	s_wait_dscnt 0x0
	s_barrier_signal -1
	s_barrier_wait -1
	s_and_saveexec_b32 s18, s17
	s_cbranch_execz .LBB69_48
; %bb.47:                               ;   in Loop: Header=BB69_4 Depth=1
	ds_load_2addr_b32 v[2:3], v109 offset1:1
	ds_load_2addr_b32 v[6:7], v109 offset0:2 offset1:3
	ds_load_2addr_b32 v[10:11], v109 offset0:4 offset1:5
	ds_load_2addr_b32 v[12:13], v109 offset0:6 offset1:7
	s_wait_dscnt 0x3
	v_add_f32_e32 v2, v2, v3
	s_wait_dscnt 0x2
	s_delay_alu instid0(VALU_DEP_1) | instskip(NEXT) | instid1(VALU_DEP_1)
	v_add_f32_e32 v2, v2, v6
	v_add_f32_e32 v2, v2, v7
	s_wait_dscnt 0x1
	s_delay_alu instid0(VALU_DEP_1) | instskip(NEXT) | instid1(VALU_DEP_1)
	v_add_f32_e32 v2, v2, v10
	v_add_f32_e32 v2, v2, v11
	s_wait_dscnt 0x0
	s_delay_alu instid0(VALU_DEP_1) | instskip(NEXT) | instid1(VALU_DEP_1)
	v_add_f32_e32 v2, v2, v12
	v_add_f32_e32 v126, v2, v13
.LBB69_48:                              ;   in Loop: Header=BB69_4 Depth=1
	s_or_b32 exec_lo, exec_lo, s18
	v_add_nc_u64_e32 v[2:3], s[58:59], v[0:1]
	s_and_b32 vcc_lo, exec_lo, s66
	s_mov_b32 s18, -1
	s_barrier_signal -1
	s_barrier_wait -1
                                        ; implicit-def: $vgpr6_vgpr7
	s_cbranch_vccz .LBB69_58
; %bb.49:                               ;   in Loop: Header=BB69_4 Depth=1
	v_lshl_add_u64 v[6:7], v[60:61], 2, v[0:1]
	v_mov_b32_e32 v9, 0
	s_delay_alu instid0(VALU_DEP_2) | instskip(NEXT) | instid1(VALU_DEP_1)
	v_lshl_add_u64 v[6:7], s[42:43], 2, v[6:7]
	v_add_nc_u64_e32 v[6:7], s[60:61], v[6:7]
	s_delay_alu instid0(VALU_DEP_1) | instskip(NEXT) | instid1(VALU_DEP_2)
	v_dual_mov_b32 v10, 0 :: v_dual_cndmask_b32 v7, v7, v3, s1
	v_cndmask_b32_e64 v6, v6, v2, s1
	s_and_saveexec_b32 s18, s16
	s_cbranch_execz .LBB69_51
; %bb.50:                               ;   in Loop: Header=BB69_4 Depth=1
	global_load_b32 v9, v[6:7], off
.LBB69_51:                              ;   in Loop: Header=BB69_4 Depth=1
	s_wait_xcnt 0x0
	s_or_b32 exec_lo, exec_lo, s18
	s_wait_loadcnt 0x0
	ds_store_b32 v8, v9
	s_and_saveexec_b32 s18, s10
	s_cbranch_execz .LBB69_53
; %bb.52:                               ;   in Loop: Header=BB69_4 Depth=1
	v_add_nc_u64_e32 v[10:11], s[48:49], v[6:7]
	global_load_b32 v10, v[10:11], off
.LBB69_53:                              ;   in Loop: Header=BB69_4 Depth=1
	s_wait_xcnt 0x0
	s_or_b32 exec_lo, exec_lo, s18
	v_dual_mov_b32 v9, 0 :: v_dual_mov_b32 v11, 0
	s_wait_loadcnt 0x0
	ds_store_b32 v8, v10 offset:1056
	s_and_saveexec_b32 s18, s12
	s_cbranch_execz .LBB69_55
; %bb.54:                               ;   in Loop: Header=BB69_4 Depth=1
	v_add_nc_u64_e32 v[10:11], s[50:51], v[6:7]
	global_load_b32 v11, v[10:11], off
.LBB69_55:                              ;   in Loop: Header=BB69_4 Depth=1
	s_wait_xcnt 0x0
	s_or_b32 exec_lo, exec_lo, s18
	s_wait_loadcnt 0x0
	ds_store_b32 v8, v11 offset:2112
	s_and_saveexec_b32 s18, s13
	s_cbranch_execz .LBB69_57
; %bb.56:                               ;   in Loop: Header=BB69_4 Depth=1
	v_add_nc_u64_e32 v[10:11], s[54:55], v[6:7]
	global_load_b32 v9, v[10:11], off
.LBB69_57:                              ;   in Loop: Header=BB69_4 Depth=1
	s_wait_xcnt 0x0
	s_or_b32 exec_lo, exec_lo, s18
	v_lshlrev_b32_e32 v18, 2, v16
	s_mov_b32 s18, 0
	s_wait_loadcnt 0x0
	ds_store_b32 v8, v9 offset:3168
	v_add_nc_u64_e32 v[6:7], v[6:7], v[18:19]
	s_delay_alu instid0(VALU_DEP_1) | instskip(NEXT) | instid1(VALU_DEP_1)
	v_lshl_add_u64 v[6:7], s[62:63], 2, v[6:7]
	v_add_nc_u64_e32 v[6:7], 4, v[6:7]
	s_delay_alu instid0(VALU_DEP_1)
	v_dual_cndmask_b32 v7, v7, v3, s1 :: v_dual_cndmask_b32 v6, v6, v2, s1
.LBB69_58:                              ;   in Loop: Header=BB69_4 Depth=1
	s_and_b32 vcc_lo, exec_lo, s18
	s_cbranch_vccz .LBB69_60
; %bb.59:                               ;   in Loop: Header=BB69_4 Depth=1
	v_add_nc_u64_e32 v[6:7], s[48:49], v[0:1]
	s_delay_alu instid0(VALU_DEP_1) | instskip(NEXT) | instid1(VALU_DEP_1)
	v_add_nc_u64_e32 v[10:11], s[48:49], v[6:7]
	v_add_nc_u64_e32 v[12:13], s[48:49], v[10:11]
	s_clause 0x3
	global_load_b32 v0, v[0:1], off offset:-128
	global_load_b32 v1, v[6:7], off offset:-128
	global_load_b32 v9, v[10:11], off offset:-128
	global_load_b32 v10, v[12:13], off offset:-128
	v_mov_b64_e32 v[6:7], v[2:3]
	s_wait_loadcnt 0x3
	ds_store_b32 v8, v0
	s_wait_loadcnt 0x2
	ds_store_b32 v8, v1 offset:1056
	s_wait_loadcnt 0x1
	ds_store_b32 v8, v9 offset:2112
	;; [unrolled: 2-line block ×3, first 2 shown]
.LBB69_60:                              ;   in Loop: Header=BB69_4 Depth=1
	v_dual_add_nc_u32 v9, v110, v117 :: v_dual_add_nc_u32 v8, v115, v117
	s_wait_dscnt 0x0
	s_barrier_signal -1
	s_barrier_wait -1
	ds_load_2addr_b32 v[0:1], v121 offset0:8 offset1:16
	ds_load_2addr_b32 v[2:3], v122 offset0:8 offset1:16
	ds_load_b32 v8, v8
	s_wait_xcnt 0x0
	ds_load_b32 v12, v9
	ds_load_b32 v15, v121 offset:96
	ds_load_b32 v63, v122 offset:96
	;; [unrolled: 1-line block ×3, first 2 shown]
	ds_load_b32 v11, v123
	s_wait_dscnt 0x6
	v_dual_mov_b32 v13, v0 :: v_dual_mov_b32 v9, v2
	v_dual_mov_b32 v14, v1 :: v_dual_mov_b32 v62, v3
	s_wait_dscnt 0x4
	s_delay_alu instid0(VALU_DEP_2)
	v_pk_mul_f32 v[12:13], v[12:13], v[8:9]
	ds_load_2addr_b32 v[8:9], v124 offset1:33
	ds_load_b128 v[0:3], v115 offset:128
	s_wait_dscnt 0x4
	v_pk_mul_f32 v[14:15], v[14:15], v[62:63]
	s_wait_dscnt 0x0
	s_barrier_signal -1
	v_add_f32_e32 v12, 0, v12
	s_barrier_wait -1
	s_delay_alu instid0(VALU_DEP_1) | instskip(NEXT) | instid1(VALU_DEP_1)
	v_add_f32_e32 v12, v12, v13
	v_add_f32_e32 v12, v12, v14
	s_delay_alu instid0(VALU_DEP_1)
	v_add_f32_e32 v12, v12, v15
	ds_store_b32 v116, v12
	s_wait_dscnt 0x0
	s_barrier_signal -1
	s_barrier_wait -1
	s_and_saveexec_b32 s18, s17
	s_cbranch_execz .LBB69_62
; %bb.61:                               ;   in Loop: Header=BB69_4 Depth=1
	ds_load_2addr_b32 v[12:13], v109 offset1:1
	ds_load_2addr_b32 v[14:15], v109 offset0:2 offset1:3
	ds_load_2addr_b32 v[62:63], v109 offset0:4 offset1:5
	;; [unrolled: 1-line block ×3, first 2 shown]
	s_wait_dscnt 0x3
	v_add_f32_e32 v12, v126, v12
	s_delay_alu instid0(VALU_DEP_1) | instskip(SKIP_1) | instid1(VALU_DEP_1)
	v_add_f32_e32 v12, v12, v13
	s_wait_dscnt 0x2
	v_add_f32_e32 v12, v12, v14
	s_delay_alu instid0(VALU_DEP_1) | instskip(SKIP_1) | instid1(VALU_DEP_1)
	v_add_f32_e32 v12, v12, v15
	;; [unrolled: 4-line block ×3, first 2 shown]
	s_wait_dscnt 0x0
	v_add_f32_e32 v12, v12, v64
	s_delay_alu instid0(VALU_DEP_1)
	v_add_f32_e32 v126, v12, v65
.LBB69_62:                              ;   in Loop: Header=BB69_4 Depth=1
	s_or_b32 exec_lo, exec_lo, s18
	v_fma_f32 v0, v11, v0, 0
	s_barrier_signal -1
	s_barrier_wait -1
	s_delay_alu instid0(VALU_DEP_1) | instskip(NEXT) | instid1(VALU_DEP_1)
	v_fmac_f32_e32 v0, v8, v1
	v_fmac_f32_e32 v0, v9, v2
	s_delay_alu instid0(VALU_DEP_1)
	v_fmac_f32_e32 v0, v10, v3
	ds_store_b32 v116, v0
	s_wait_dscnt 0x0
	s_barrier_signal -1
	s_barrier_wait -1
	s_and_saveexec_b32 s18, s11
	s_cbranch_execz .LBB69_64
; %bb.63:                               ;   in Loop: Header=BB69_4 Depth=1
	ds_load_2addr_b32 v[0:1], v109 offset1:1
	ds_load_2addr_b32 v[2:3], v109 offset0:2 offset1:3
	ds_load_2addr_b32 v[8:9], v109 offset0:4 offset1:5
	;; [unrolled: 1-line block ×3, first 2 shown]
	s_wait_dscnt 0x3
	v_add_f32_e32 v0, v126, v0
	s_delay_alu instid0(VALU_DEP_1) | instskip(SKIP_1) | instid1(VALU_DEP_1)
	v_add_f32_e32 v0, v0, v1
	s_wait_dscnt 0x2
	v_add_f32_e32 v0, v0, v2
	s_delay_alu instid0(VALU_DEP_1) | instskip(SKIP_1) | instid1(VALU_DEP_1)
	v_add_f32_e32 v0, v0, v3
	s_wait_dscnt 0x1
	v_add_f32_e32 v0, v0, v8
	s_delay_alu instid0(VALU_DEP_1) | instskip(SKIP_1) | instid1(VALU_DEP_1)
	v_add_f32_e32 v0, v0, v9
	s_wait_dscnt 0x0
	v_add_f32_e32 v0, v0, v10
	s_delay_alu instid0(VALU_DEP_1)
	v_add_f32_e32 v126, v0, v11
.LBB69_64:                              ;   in Loop: Header=BB69_4 Depth=1
	s_or_b32 exec_lo, exec_lo, s18
	s_mul_u64 s[18:19], s[52:53], s[28:29]
	s_and_not1_b32 vcc_lo, exec_lo, s67
	s_lshl_b64 s[18:19], s[18:19], 2
	s_delay_alu instid0(SALU_CYCLE_1)
	s_add_nc_u64 s[18:19], s[40:41], s[18:19]
	s_barrier_signal -1
	s_barrier_wait -1
	s_cbranch_vccnz .LBB69_121
; %bb.65:                               ;   in Loop: Header=BB69_4 Depth=1
	v_add_nc_u64_e32 v[62:63], v[6:7], v[28:29]
	v_add_nc_u64_e32 v[64:65], v[6:7], v[30:31]
	;; [unrolled: 1-line block ×16, first 2 shown]
	v_lshl_add_u64 v[94:95], s[56:57], 2, v[4:5]
	s_mov_b32 s64, s70
	s_mov_b32 s71, s34
	s_delay_alu instid0(SALU_CYCLE_1)
	s_cmp_eq_u32 s68, s71
	s_cselect_b32 s72, s31, 0
	s_and_saveexec_b32 s73, s0
	s_cbranch_execz .LBB69_69
.LBB69_66:                              ;   in Loop: Header=BB69_4 Depth=1
	v_cmp_gt_i32_e32 vcc_lo, s72, v106
	s_cmp_eq_u32 s72, 0
	v_mov_b32_e32 v0, 0
	s_cselect_b32 s65, -1, 0
	s_delay_alu instid0(SALU_CYCLE_1) | instskip(NEXT) | instid1(SALU_CYCLE_1)
	s_or_b32 s65, s65, vcc_lo
	s_and_saveexec_b32 s74, s65
	s_cbranch_execz .LBB69_68
; %bb.67:                               ;   in Loop: Header=BB69_4 Depth=1
	s_ashr_i32 s65, s64, 31
	s_delay_alu instid0(SALU_CYCLE_1) | instskip(NEXT) | instid1(SALU_CYCLE_1)
	s_mul_u64 s[76:77], s[20:21], s[64:65]
	v_lshl_add_u64 v[0:1], s[76:77], 2, v[94:95]
	global_load_b32 v0, v[0:1], off
.LBB69_68:                              ;   in Loop: Header=BB69_4 Depth=1
	s_wait_xcnt 0x0
	s_or_b32 exec_lo, exec_lo, s74
	v_add_nc_u32_e32 v1, 0x10c0, v20
	s_wait_loadcnt 0x0
	ds_store_b32 v1, v0
.LBB69_69:                              ;   Parent Loop BB69_4 Depth=1
                                        ; =>  This Inner Loop Header: Depth=2
	s_or_b32 exec_lo, exec_lo, s73
	s_cmp_eq_u32 s72, 0
	v_add_nc_u64_e32 v[0:1], v[62:63], v[20:21]
	s_cselect_b32 s65, -1, 0
	s_cmp_lg_u32 s72, 0
	s_mov_b32 s74, -1
	s_cselect_b32 s73, -1, 0
	s_wait_dscnt 0x0
	s_and_b32 vcc_lo, exec_lo, s73
	s_barrier_signal -1
	s_barrier_wait -1
                                        ; implicit-def: $vgpr128
                                        ; implicit-def: $vgpr129
                                        ; implicit-def: $vgpr18
                                        ; implicit-def: $vgpr127
	s_cbranch_vccz .LBB69_79
; %bb.70:                               ;   in Loop: Header=BB69_69 Depth=2
	v_dual_mov_b32 v18, 0 :: v_dual_mov_b32 v127, 0
	s_mov_b32 s74, exec_lo
	v_cmpx_gt_i32_e64 s72, v118
	s_cbranch_execz .LBB69_72
; %bb.71:                               ;   in Loop: Header=BB69_69 Depth=2
	global_load_b32 v127, v[0:1], off
.LBB69_72:                              ;   in Loop: Header=BB69_69 Depth=2
	s_wait_xcnt 0x0
	s_or_b32 exec_lo, exec_lo, s74
	v_or_b32_e32 v2, 1, v118
	s_mov_b32 s74, exec_lo
	s_delay_alu instid0(VALU_DEP_1)
	v_cmpx_gt_i32_e64 s72, v2
	s_cbranch_execz .LBB69_74
; %bb.73:                               ;   in Loop: Header=BB69_69 Depth=2
	v_add_nc_u64_e32 v[2:3], v[68:69], v[20:21]
	global_load_b32 v18, v[2:3], off
.LBB69_74:                              ;   in Loop: Header=BB69_69 Depth=2
	s_wait_xcnt 0x0
	s_or_b32 exec_lo, exec_lo, s74
	v_dual_mov_b32 v128, 0 :: v_dual_bitop2_b32 v2, 2, v118 bitop3:0x54
	v_mov_b32_e32 v129, 0
	s_mov_b32 s74, exec_lo
	s_delay_alu instid0(VALU_DEP_2)
	v_cmpx_gt_i32_e64 s72, v2
	s_cbranch_execz .LBB69_76
; %bb.75:                               ;   in Loop: Header=BB69_69 Depth=2
	v_add_nc_u64_e32 v[2:3], v[64:65], v[20:21]
	global_load_b32 v129, v[2:3], off
.LBB69_76:                              ;   in Loop: Header=BB69_69 Depth=2
	s_wait_xcnt 0x0
	s_or_b32 exec_lo, exec_lo, s74
	v_or_b32_e32 v2, 3, v118
	s_mov_b32 s74, exec_lo
	s_delay_alu instid0(VALU_DEP_1)
	v_cmpx_gt_i32_e64 s72, v2
	s_cbranch_execz .LBB69_78
; %bb.77:                               ;   in Loop: Header=BB69_69 Depth=2
	v_add_nc_u64_e32 v[2:3], v[66:67], v[20:21]
	global_load_b32 v128, v[2:3], off
.LBB69_78:                              ;   in Loop: Header=BB69_69 Depth=2
	s_wait_xcnt 0x0
	s_or_b32 exec_lo, exec_lo, s74
	s_mov_b32 s74, 0
.LBB69_79:                              ;   in Loop: Header=BB69_69 Depth=2
	s_delay_alu instid0(SALU_CYCLE_1)
	s_and_b32 vcc_lo, exec_lo, s74
	s_cbranch_vccz .LBB69_81
; %bb.80:                               ;   in Loop: Header=BB69_69 Depth=2
	v_add_nc_u64_e32 v[2:3], v[68:69], v[20:21]
	v_add_nc_u64_e32 v[4:5], v[64:65], v[20:21]
	;; [unrolled: 1-line block ×3, first 2 shown]
	s_wait_loadcnt 0x0
	global_load_b32 v127, v[0:1], off
	global_load_b32 v18, v[2:3], off
	;; [unrolled: 1-line block ×4, first 2 shown]
.LBB69_81:                              ;   in Loop: Header=BB69_69 Depth=2
	s_wait_xcnt 0x1
	ds_load_b32 v4, v17
	ds_load_b128 v[0:3], v125
	v_cndmask_b32_e64 v104, 0, 1, s73
	s_and_not1_b32 vcc_lo, exec_lo, s73
	s_mov_b32 s73, -1
                                        ; implicit-def: $vgpr132
                                        ; implicit-def: $vgpr133
                                        ; implicit-def: $vgpr130
                                        ; implicit-def: $vgpr131
	s_wait_loadcnt_dscnt 0x1
	s_wait_xcnt 0x0
	v_dual_mul_f32 v5, v127, v4 :: v_dual_mul_f32 v6, v18, v4
	v_dual_mul_f32 v7, v129, v4 :: v_dual_mul_f32 v4, v128, v4
	ds_store_2addr_b32 v119, v5, v6 offset1:67
	ds_store_2addr_b32 v119, v7, v4 offset0:134 offset1:201
	s_wait_dscnt 0x0
	s_barrier_signal -1
	s_barrier_wait -1
	ds_load_2addr_b32 v[14:15], v114 offset1:1
	ds_load_2addr_b32 v[12:13], v114 offset0:2 offset1:3
	v_add_nc_u64_e32 v[4:5], v[70:71], v[20:21]
	s_wait_dscnt 0x0
	s_barrier_signal -1
	s_barrier_wait -1
	s_cbranch_vccnz .LBB69_91
; %bb.82:                               ;   in Loop: Header=BB69_69 Depth=2
	v_dual_add_nc_u32 v6, 16, v118 :: v_dual_mov_b32 v130, 0
	v_mov_b32_e32 v131, 0
	s_mov_b32 s73, exec_lo
	s_delay_alu instid0(VALU_DEP_2)
	v_cmpx_gt_i32_e64 s72, v6
	s_cbranch_execz .LBB69_84
; %bb.83:                               ;   in Loop: Header=BB69_69 Depth=2
	global_load_b32 v131, v[4:5], off
.LBB69_84:                              ;   in Loop: Header=BB69_69 Depth=2
	s_wait_xcnt 0x0
	s_or_b32 exec_lo, exec_lo, s73
	v_add_nc_u32_e32 v6, 17, v118
	s_mov_b32 s73, exec_lo
	s_delay_alu instid0(VALU_DEP_1)
	v_cmpx_gt_i32_e64 s72, v6
	s_cbranch_execz .LBB69_86
; %bb.85:                               ;   in Loop: Header=BB69_69 Depth=2
	v_add_nc_u64_e32 v[6:7], v[72:73], v[20:21]
	global_load_b32 v130, v[6:7], off
.LBB69_86:                              ;   in Loop: Header=BB69_69 Depth=2
	s_wait_xcnt 0x0
	s_or_b32 exec_lo, exec_lo, s73
	v_dual_add_nc_u32 v6, 18, v118 :: v_dual_mov_b32 v132, 0
	v_mov_b32_e32 v133, 0
	s_mov_b32 s73, exec_lo
	s_delay_alu instid0(VALU_DEP_2)
	v_cmpx_gt_i32_e64 s72, v6
	s_cbranch_execz .LBB69_88
; %bb.87:                               ;   in Loop: Header=BB69_69 Depth=2
	v_add_nc_u64_e32 v[6:7], v[74:75], v[20:21]
	global_load_b32 v133, v[6:7], off
.LBB69_88:                              ;   in Loop: Header=BB69_69 Depth=2
	s_wait_xcnt 0x0
	s_or_b32 exec_lo, exec_lo, s73
	v_add_nc_u32_e32 v6, 19, v118
	s_mov_b32 s73, exec_lo
	s_delay_alu instid0(VALU_DEP_1)
	v_cmpx_gt_i32_e64 s72, v6
	s_cbranch_execz .LBB69_90
; %bb.89:                               ;   in Loop: Header=BB69_69 Depth=2
	v_add_nc_u64_e32 v[6:7], v[76:77], v[20:21]
	global_load_b32 v132, v[6:7], off
.LBB69_90:                              ;   in Loop: Header=BB69_69 Depth=2
	s_wait_xcnt 0x0
	s_or_b32 exec_lo, exec_lo, s73
	s_mov_b32 s73, 0
.LBB69_91:                              ;   in Loop: Header=BB69_69 Depth=2
	s_delay_alu instid0(SALU_CYCLE_1)
	s_and_b32 vcc_lo, exec_lo, s73
	s_cbranch_vccz .LBB69_93
; %bb.92:                               ;   in Loop: Header=BB69_69 Depth=2
	v_add_nc_u64_e32 v[6:7], v[72:73], v[20:21]
	v_add_nc_u64_e32 v[8:9], v[74:75], v[20:21]
	;; [unrolled: 1-line block ×3, first 2 shown]
	s_wait_loadcnt 0x0
	global_load_b32 v131, v[4:5], off
	global_load_b32 v130, v[6:7], off
	;; [unrolled: 1-line block ×4, first 2 shown]
.LBB69_93:                              ;   in Loop: Header=BB69_69 Depth=2
	s_wait_xcnt 0x1
	ds_load_b32 v8, v17
	ds_load_b128 v[4:7], v125 offset:64
	v_cmp_ne_u32_e32 vcc_lo, 1, v104
	s_mov_b32 s73, -1
                                        ; implicit-def: $vgpr136
                                        ; implicit-def: $vgpr137
                                        ; implicit-def: $vgpr134
                                        ; implicit-def: $vgpr135
	s_and_b32 vcc_lo, exec_lo, vcc_lo
	s_wait_loadcnt_dscnt 0x1
	s_wait_xcnt 0x0
	v_dual_mul_f32 v9, v131, v8 :: v_dual_mul_f32 v10, v130, v8
	v_dual_mul_f32 v11, v133, v8 :: v_dual_mul_f32 v8, v132, v8
	ds_store_2addr_b32 v119, v9, v10 offset1:67
	ds_store_2addr_b32 v119, v11, v8 offset0:134 offset1:201
	s_wait_dscnt 0x0
	s_barrier_signal -1
	s_barrier_wait -1
	ds_load_2addr_b32 v[98:99], v114 offset1:1
	ds_load_2addr_b32 v[96:97], v114 offset0:2 offset1:3
	v_add_nc_u64_e32 v[8:9], v[78:79], v[20:21]
	s_wait_dscnt 0x0
	s_barrier_signal -1
	s_barrier_wait -1
	s_cbranch_vccnz .LBB69_103
; %bb.94:                               ;   in Loop: Header=BB69_69 Depth=2
	v_dual_add_nc_u32 v10, 32, v118 :: v_dual_mov_b32 v134, 0
	v_mov_b32_e32 v135, 0
	s_mov_b32 s73, exec_lo
	s_delay_alu instid0(VALU_DEP_2)
	v_cmpx_gt_i32_e64 s72, v10
	s_cbranch_execz .LBB69_96
; %bb.95:                               ;   in Loop: Header=BB69_69 Depth=2
	global_load_b32 v135, v[8:9], off
.LBB69_96:                              ;   in Loop: Header=BB69_69 Depth=2
	s_wait_xcnt 0x0
	s_or_b32 exec_lo, exec_lo, s73
	v_add_nc_u32_e32 v10, 33, v118
	s_mov_b32 s73, exec_lo
	s_delay_alu instid0(VALU_DEP_1)
	v_cmpx_gt_i32_e64 s72, v10
	s_cbranch_execz .LBB69_98
; %bb.97:                               ;   in Loop: Header=BB69_69 Depth=2
	v_add_nc_u64_e32 v[10:11], v[80:81], v[20:21]
	global_load_b32 v134, v[10:11], off
.LBB69_98:                              ;   in Loop: Header=BB69_69 Depth=2
	s_wait_xcnt 0x0
	s_or_b32 exec_lo, exec_lo, s73
	v_dual_add_nc_u32 v10, 34, v118 :: v_dual_mov_b32 v136, 0
	v_mov_b32_e32 v137, 0
	s_mov_b32 s73, exec_lo
	s_delay_alu instid0(VALU_DEP_2)
	v_cmpx_gt_i32_e64 s72, v10
	s_cbranch_execz .LBB69_100
; %bb.99:                               ;   in Loop: Header=BB69_69 Depth=2
	v_add_nc_u64_e32 v[10:11], v[82:83], v[20:21]
	global_load_b32 v137, v[10:11], off
.LBB69_100:                             ;   in Loop: Header=BB69_69 Depth=2
	s_wait_xcnt 0x0
	s_or_b32 exec_lo, exec_lo, s73
	v_add_nc_u32_e32 v10, 35, v118
	s_mov_b32 s73, exec_lo
	s_delay_alu instid0(VALU_DEP_1)
	v_cmpx_gt_i32_e64 s72, v10
	s_cbranch_execz .LBB69_102
; %bb.101:                              ;   in Loop: Header=BB69_69 Depth=2
	v_add_nc_u64_e32 v[10:11], v[84:85], v[20:21]
	global_load_b32 v136, v[10:11], off
.LBB69_102:                             ;   in Loop: Header=BB69_69 Depth=2
	s_wait_xcnt 0x0
	s_or_b32 exec_lo, exec_lo, s73
	s_mov_b32 s73, 0
.LBB69_103:                             ;   in Loop: Header=BB69_69 Depth=2
	s_delay_alu instid0(SALU_CYCLE_1)
	s_and_b32 vcc_lo, exec_lo, s73
	s_cbranch_vccz .LBB69_105
; %bb.104:                              ;   in Loop: Header=BB69_69 Depth=2
	v_add_nc_u64_e32 v[10:11], v[80:81], v[20:21]
	v_add_nc_u64_e32 v[100:101], v[82:83], v[20:21]
	;; [unrolled: 1-line block ×3, first 2 shown]
	s_wait_loadcnt 0x0
	global_load_b32 v135, v[8:9], off
	global_load_b32 v134, v[10:11], off
	;; [unrolled: 1-line block ×4, first 2 shown]
.LBB69_105:                             ;   in Loop: Header=BB69_69 Depth=2
	s_wait_xcnt 0x1
	ds_load_b32 v100, v17
	ds_load_b128 v[8:11], v125 offset:128
	v_cmp_ne_u32_e32 vcc_lo, 1, v104
	v_add_nc_u64_e32 v[104:105], v[86:87], v[20:21]
	s_mov_b32 s73, -1
                                        ; implicit-def: $vgpr141
                                        ; implicit-def: $vgpr140
                                        ; implicit-def: $vgpr138
                                        ; implicit-def: $vgpr139
	s_and_b32 vcc_lo, exec_lo, vcc_lo
	s_wait_loadcnt_dscnt 0x1
	s_wait_xcnt 0x0
	v_dual_mul_f32 v101, v135, v100 :: v_dual_mul_f32 v102, v134, v100
	v_dual_mul_f32 v103, v137, v100 :: v_dual_mul_f32 v100, v136, v100
	ds_store_2addr_b32 v119, v101, v102 offset1:67
	ds_store_2addr_b32 v119, v103, v100 offset0:134 offset1:201
	s_wait_dscnt 0x0
	s_barrier_signal -1
	s_barrier_wait -1
	ds_load_2addr_b32 v[102:103], v114 offset1:1
	ds_load_2addr_b32 v[100:101], v114 offset0:2 offset1:3
	s_wait_dscnt 0x0
	s_barrier_signal -1
	s_barrier_wait -1
	s_cbranch_vccnz .LBB69_115
; %bb.106:                              ;   in Loop: Header=BB69_69 Depth=2
	v_dual_mov_b32 v138, 0 :: v_dual_add_nc_u32 v139, 48, v118
	s_delay_alu instid0(VALU_DEP_1)
	v_cmp_gt_i32_e32 vcc_lo, s72, v139
	v_mov_b32_e32 v139, 0
	s_and_saveexec_b32 s73, vcc_lo
	s_cbranch_execz .LBB69_108
; %bb.107:                              ;   in Loop: Header=BB69_69 Depth=2
	global_load_b32 v139, v[104:105], off
.LBB69_108:                             ;   in Loop: Header=BB69_69 Depth=2
	s_wait_xcnt 0x0
	s_or_b32 exec_lo, exec_lo, s73
	v_add_nc_u32_e32 v140, 49, v118
	s_mov_b32 s73, exec_lo
	s_delay_alu instid0(VALU_DEP_1)
	v_cmpx_gt_i32_e64 s72, v140
	s_cbranch_execz .LBB69_110
; %bb.109:                              ;   in Loop: Header=BB69_69 Depth=2
	v_add_nc_u64_e32 v[140:141], v[88:89], v[20:21]
	global_load_b32 v138, v[140:141], off
.LBB69_110:                             ;   in Loop: Header=BB69_69 Depth=2
	s_wait_xcnt 0x0
	s_or_b32 exec_lo, exec_lo, s73
	v_dual_mov_b32 v141, 0 :: v_dual_add_nc_u32 v140, 50, v118
	s_delay_alu instid0(VALU_DEP_1)
	v_cmp_gt_i32_e32 vcc_lo, s72, v140
	v_mov_b32_e32 v140, 0
	s_and_saveexec_b32 s73, vcc_lo
	s_cbranch_execz .LBB69_112
; %bb.111:                              ;   in Loop: Header=BB69_69 Depth=2
	v_add_nc_u64_e32 v[142:143], v[90:91], v[20:21]
	global_load_b32 v140, v[142:143], off
.LBB69_112:                             ;   in Loop: Header=BB69_69 Depth=2
	s_wait_xcnt 0x0
	s_or_b32 exec_lo, exec_lo, s73
	v_add_nc_u32_e32 v142, 51, v118
	s_mov_b32 s73, exec_lo
	s_delay_alu instid0(VALU_DEP_1)
	v_cmpx_gt_i32_e64 s72, v142
	s_cbranch_execz .LBB69_114
; %bb.113:                              ;   in Loop: Header=BB69_69 Depth=2
	v_add_nc_u64_e32 v[142:143], v[92:93], v[20:21]
	global_load_b32 v141, v[142:143], off
.LBB69_114:                             ;   in Loop: Header=BB69_69 Depth=2
	s_wait_xcnt 0x0
	s_or_b32 exec_lo, exec_lo, s73
	s_mov_b32 s73, 0
.LBB69_115:                             ;   in Loop: Header=BB69_69 Depth=2
	s_delay_alu instid0(SALU_CYCLE_1)
	s_and_b32 vcc_lo, exec_lo, s73
	s_cbranch_vccz .LBB69_117
; %bb.116:                              ;   in Loop: Header=BB69_69 Depth=2
	s_wait_loadcnt 0x0
	global_load_b32 v139, v[104:105], off
	s_wait_xcnt 0x0
	v_add_nc_u64_e32 v[104:105], v[88:89], v[20:21]
	global_load_b32 v138, v[104:105], off
	s_wait_xcnt 0x0
	v_add_nc_u64_e32 v[104:105], v[90:91], v[20:21]
	;; [unrolled: 3-line block ×3, first 2 shown]
	global_load_b32 v141, v[104:105], off
.LBB69_117:                             ;   in Loop: Header=BB69_69 Depth=2
	v_add_f32_e32 v102, 0, v102
	v_cmp_gt_i32_e32 vcc_lo, s72, v106
	v_add_f32_e32 v98, 0, v98
	s_delay_alu instid0(VALU_DEP_3) | instskip(SKIP_1) | instid1(VALU_DEP_2)
	v_dual_add_f32 v14, 0, v14 :: v_dual_add_f32 v102, v102, v103
	s_or_b32 s65, s65, vcc_lo
	v_add_f32_e32 v98, v98, v99
	s_and_b32 s72, s14, s65
	s_delay_alu instid0(VALU_DEP_2) | instskip(NEXT) | instid1(VALU_DEP_1)
	v_add_f32_e32 v14, v14, v15
	v_add_f32_e32 v12, v14, v12
	s_delay_alu instid0(VALU_DEP_1) | instskip(NEXT) | instid1(VALU_DEP_1)
	v_dual_add_f32 v96, v98, v96 :: v_dual_add_f32 v99, v12, v13
	v_dual_add_f32 v100, v102, v100 :: v_dual_add_f32 v98, v96, v97
	ds_load_b32 v96, v17
	ds_load_b128 v[12:15], v125 offset:192
	s_wait_loadcnt_dscnt 0x1
	v_dual_add_f32 v100, v100, v101 :: v_dual_mul_f32 v97, v139, v96
	v_mul_f32_e32 v101, v138, v96
	ds_store_2addr_b32 v119, v97, v101 offset1:67
	v_dual_mul_f32 v97, v140, v96 :: v_dual_mul_f32 v96, v141, v96
	ds_store_2addr_b32 v119, v97, v96 offset0:134 offset1:201
	s_wait_dscnt 0x0
	s_barrier_signal -1
	s_barrier_wait -1
	ds_load_2addr_b32 v[96:97], v114 offset1:1
	s_wait_dscnt 0x0
	v_add_f32_e32 v96, 0, v96
	s_delay_alu instid0(VALU_DEP_1)
	v_add_f32_e32 v101, v96, v97
	ds_load_2addr_b32 v[96:97], v114 offset0:2 offset1:3
	s_wait_dscnt 0x0
	s_barrier_signal -1
	s_barrier_wait -1
	v_add_f32_e32 v96, v101, v96
	s_delay_alu instid0(VALU_DEP_1)
	v_add_f32_e32 v96, v96, v97
	ds_store_2addr_b32 v111, v99, v98 offset1:16
	ds_store_2addr_b32 v111, v100, v96 offset0:32 offset1:48
	s_wait_dscnt 0x0
	s_barrier_signal -1
	s_barrier_wait -1
	s_wait_xcnt 0x0
	s_and_saveexec_b32 s65, s72
	s_cbranch_execz .LBB69_119
; %bb.118:                              ;   in Loop: Header=BB69_69 Depth=2
	ds_load_2addr_b32 v[96:97], v112 offset1:1
	ds_load_2addr_b32 v[98:99], v112 offset0:2 offset1:3
	ds_load_2addr_b32 v[100:101], v112 offset0:4 offset1:5
	;; [unrolled: 1-line block ×3, first 2 shown]
	s_wait_dscnt 0x3
	v_add_f32_e32 v96, v96, v97
	s_wait_dscnt 0x2
	s_delay_alu instid0(VALU_DEP_1) | instskip(NEXT) | instid1(VALU_DEP_1)
	v_add_f32_e32 v96, v96, v98
	v_add_f32_e32 v98, v96, v99
	ds_load_2addr_b32 v[96:97], v112 offset0:8 offset1:9
	s_wait_dscnt 0x2
	v_add_f32_e32 v98, v98, v100
	s_delay_alu instid0(VALU_DEP_1) | instskip(SKIP_3) | instid1(VALU_DEP_1)
	v_add_f32_e32 v100, v98, v101
	ds_load_2addr_b32 v[98:99], v112 offset0:10 offset1:11
	s_wait_dscnt 0x2
	v_add_f32_e32 v100, v100, v102
	v_add_f32_e32 v102, v100, v103
	ds_load_2addr_b32 v[100:101], v112 offset0:12 offset1:13
	ds_load_b32 v103, v112 offset:56
	s_wait_dscnt 0x3
	v_add_f32_e32 v96, v102, v96
	s_delay_alu instid0(VALU_DEP_1) | instskip(SKIP_3) | instid1(VALU_DEP_1)
	v_add_f32_e32 v96, v96, v97
	ds_load_b32 v97, v113
	s_wait_dscnt 0x3
	v_add_f32_e32 v96, v96, v98
	v_add_f32_e32 v96, v96, v99
	s_wait_dscnt 0x2
	s_delay_alu instid0(VALU_DEP_1) | instskip(NEXT) | instid1(VALU_DEP_1)
	v_add_f32_e32 v96, v96, v100
	v_add_f32_e32 v96, v96, v101
	s_wait_dscnt 0x1
	s_delay_alu instid0(VALU_DEP_1) | instskip(SKIP_1) | instid1(VALU_DEP_1)
	v_add_f32_e32 v96, v96, v103
	s_wait_dscnt 0x0
	v_dual_add_f32 v96, v96, v97 :: v_dual_add_nc_u32 v97, s64, v106
	global_store_b32 v97, v96, s[18:19] scale_offset
.LBB69_119:                             ;   in Loop: Header=BB69_69 Depth=2
	s_wait_xcnt 0x0
	s_or_b32 exec_lo, exec_lo, s65
	v_fmac_f32_e32 v126, v127, v0
	v_add_nc_u64_e32 v[62:63], s[44:45], v[62:63]
	v_add_nc_u64_e32 v[64:65], s[44:45], v[64:65]
	v_add_nc_u64_e32 v[66:67], s[44:45], v[66:67]
	v_add_nc_u64_e32 v[68:69], s[44:45], v[68:69]
	v_fmac_f32_e32 v126, v18, v1
	v_add_nc_u64_e32 v[70:71], s[44:45], v[70:71]
	v_add_nc_u64_e32 v[72:73], s[44:45], v[72:73]
	v_add_nc_u64_e32 v[74:75], s[44:45], v[74:75]
	v_add_nc_u64_e32 v[76:77], s[44:45], v[76:77]
	;; [unrolled: 5-line block ×4, first 2 shown]
	v_fmac_f32_e32 v126, v131, v4
	s_add_co_i32 s65, s71, 1
	s_add_co_i32 s71, s71, 2
	s_add_co_i32 s64, s64, 64
	s_cmp_ge_u32 s71, s30
	v_fmac_f32_e32 v126, v130, v5
	s_wait_storecnt 0x0
	s_barrier_signal -1
	s_barrier_wait -1
	s_delay_alu instid0(VALU_DEP_1) | instskip(NEXT) | instid1(VALU_DEP_1)
	v_fmac_f32_e32 v126, v133, v6
	v_fmac_f32_e32 v126, v132, v7
	s_delay_alu instid0(VALU_DEP_1) | instskip(NEXT) | instid1(VALU_DEP_1)
	v_fmac_f32_e32 v126, v135, v8
	v_fmac_f32_e32 v126, v134, v9
	;; [unrolled: 3-line block ×5, first 2 shown]
	s_cbranch_scc1 .LBB69_121
; %bb.120:                              ;   in Loop: Header=BB69_69 Depth=2
	s_mov_b32 s71, s65
	s_delay_alu instid0(SALU_CYCLE_1)
	s_cmp_eq_u32 s68, s71
	s_cselect_b32 s72, s31, 0
	s_and_saveexec_b32 s73, s0
	s_cbranch_execnz .LBB69_66
	s_branch .LBB69_69
.LBB69_121:                             ;   in Loop: Header=BB69_4 Depth=1
	ds_store_b32 v120, v126
	s_wait_dscnt 0x0
	s_barrier_signal -1
	s_barrier_wait -1
	s_and_saveexec_b32 s64, s69
	s_cbranch_execz .LBB69_2
; %bb.122:                              ;   in Loop: Header=BB69_4 Depth=1
	ds_load_2addr_b32 v[0:1], v20 offset1:67
	ds_load_2addr_b32 v[2:3], v20 offset0:134 offset1:201
	s_wait_dscnt 0x1
	v_add_f32_e32 v0, v0, v1
	s_wait_dscnt 0x0
	s_delay_alu instid0(VALU_DEP_1) | instskip(NEXT) | instid1(VALU_DEP_1)
	v_add_f32_e32 v0, v0, v2
	v_add_f32_e32 v2, v0, v3
	v_lshl_add_u64 v[0:1], v[22:23], 2, s[18:19]
	global_store_b32 v[0:1], v2, off
	s_branch .LBB69_2
.LBB69_123:                             ;   in Loop: Header=BB69_4 Depth=1
	ds_load_b32 v2, v123
	s_wait_dscnt 0x0
	ds_store_b32 v110, v2
	s_or_b32 exec_lo, exec_lo, s18
	s_and_saveexec_b32 s18, s15
	s_cbranch_execz .LBB69_24
.LBB69_124:                             ;   in Loop: Header=BB69_4 Depth=1
	ds_load_b32 v2, v124
	s_wait_dscnt 0x0
	ds_store_b32 v110, v2 offset:4
	s_or_b32 exec_lo, exec_lo, s18
	s_and_saveexec_b32 s18, s6
	s_cbranch_execz .LBB69_25
.LBB69_125:                             ;   in Loop: Header=BB69_4 Depth=1
	ds_load_b32 v2, v124 offset:132
	s_wait_dscnt 0x0
	ds_store_b32 v110, v2 offset:8
	s_or_b32 exec_lo, exec_lo, s18
	s_and_saveexec_b32 s18, s7
	s_cbranch_execnz .LBB69_26
	s_branch .LBB69_27
.LBB69_126:                             ;   in Loop: Header=BB69_4 Depth=1
	ds_load_b32 v2, v123
	s_wait_dscnt 0x0
	ds_store_b32 v110, v2
	s_or_b32 exec_lo, exec_lo, s18
	s_and_saveexec_b32 s18, s15
	s_cbranch_execz .LBB69_43
.LBB69_127:                             ;   in Loop: Header=BB69_4 Depth=1
	ds_load_b32 v2, v124
	s_wait_dscnt 0x0
	ds_store_b32 v110, v2 offset:4
	s_or_b32 exec_lo, exec_lo, s18
	s_and_saveexec_b32 s18, s6
	s_cbranch_execz .LBB69_44
.LBB69_128:                             ;   in Loop: Header=BB69_4 Depth=1
	ds_load_b32 v2, v124 offset:132
	s_wait_dscnt 0x0
	ds_store_b32 v110, v2 offset:8
	s_or_b32 exec_lo, exec_lo, s18
	s_and_saveexec_b32 s18, s7
	s_cbranch_execnz .LBB69_45
	s_branch .LBB69_46
.LBB69_129:
	s_sendmsg sendmsg(MSG_DEALLOC_VGPRS)
	s_endpgm
	.section	.rodata,"a",@progbits
	.p2align	6, 0x0
	.amdhsa_kernel _ZL26rocblas_hemvn_kernel_upperILb0ELi64ELi4ELi33ELi32ELi16ElPKfS1_PfEviT6_lT7_lT5_lS4_lS5_lS3_lT8_i
		.amdhsa_group_segment_fixed_size 4800
		.amdhsa_private_segment_fixed_size 0
		.amdhsa_kernarg_size 376
		.amdhsa_user_sgpr_count 2
		.amdhsa_user_sgpr_dispatch_ptr 0
		.amdhsa_user_sgpr_queue_ptr 0
		.amdhsa_user_sgpr_kernarg_segment_ptr 1
		.amdhsa_user_sgpr_dispatch_id 0
		.amdhsa_user_sgpr_kernarg_preload_length 0
		.amdhsa_user_sgpr_kernarg_preload_offset 0
		.amdhsa_user_sgpr_private_segment_size 0
		.amdhsa_wavefront_size32 1
		.amdhsa_uses_dynamic_stack 0
		.amdhsa_enable_private_segment 0
		.amdhsa_system_sgpr_workgroup_id_x 1
		.amdhsa_system_sgpr_workgroup_id_y 0
		.amdhsa_system_sgpr_workgroup_id_z 1
		.amdhsa_system_sgpr_workgroup_info 0
		.amdhsa_system_vgpr_workitem_id 1
		.amdhsa_next_free_vgpr 144
		.amdhsa_next_free_sgpr 78
		.amdhsa_named_barrier_count 0
		.amdhsa_reserve_vcc 1
		.amdhsa_float_round_mode_32 0
		.amdhsa_float_round_mode_16_64 0
		.amdhsa_float_denorm_mode_32 3
		.amdhsa_float_denorm_mode_16_64 3
		.amdhsa_fp16_overflow 0
		.amdhsa_memory_ordered 1
		.amdhsa_forward_progress 1
		.amdhsa_inst_pref_size 52
		.amdhsa_round_robin_scheduling 0
		.amdhsa_exception_fp_ieee_invalid_op 0
		.amdhsa_exception_fp_denorm_src 0
		.amdhsa_exception_fp_ieee_div_zero 0
		.amdhsa_exception_fp_ieee_overflow 0
		.amdhsa_exception_fp_ieee_underflow 0
		.amdhsa_exception_fp_ieee_inexact 0
		.amdhsa_exception_int_div_zero 0
	.end_amdhsa_kernel
	.section	.text._ZL26rocblas_hemvn_kernel_upperILb0ELi64ELi4ELi33ELi32ELi16ElPKfS1_PfEviT6_lT7_lT5_lS4_lS5_lS3_lT8_i,"axG",@progbits,_ZL26rocblas_hemvn_kernel_upperILb0ELi64ELi4ELi33ELi32ELi16ElPKfS1_PfEviT6_lT7_lT5_lS4_lS5_lS3_lT8_i,comdat
.Lfunc_end69:
	.size	_ZL26rocblas_hemvn_kernel_upperILb0ELi64ELi4ELi33ELi32ELi16ElPKfS1_PfEviT6_lT7_lT5_lS4_lS5_lS3_lT8_i, .Lfunc_end69-_ZL26rocblas_hemvn_kernel_upperILb0ELi64ELi4ELi33ELi32ELi16ElPKfS1_PfEviT6_lT7_lT5_lS4_lS5_lS3_lT8_i
                                        ; -- End function
	.set _ZL26rocblas_hemvn_kernel_upperILb0ELi64ELi4ELi33ELi32ELi16ElPKfS1_PfEviT6_lT7_lT5_lS4_lS5_lS3_lT8_i.num_vgpr, 144
	.set _ZL26rocblas_hemvn_kernel_upperILb0ELi64ELi4ELi33ELi32ELi16ElPKfS1_PfEviT6_lT7_lT5_lS4_lS5_lS3_lT8_i.num_agpr, 0
	.set _ZL26rocblas_hemvn_kernel_upperILb0ELi64ELi4ELi33ELi32ELi16ElPKfS1_PfEviT6_lT7_lT5_lS4_lS5_lS3_lT8_i.numbered_sgpr, 78
	.set _ZL26rocblas_hemvn_kernel_upperILb0ELi64ELi4ELi33ELi32ELi16ElPKfS1_PfEviT6_lT7_lT5_lS4_lS5_lS3_lT8_i.num_named_barrier, 0
	.set _ZL26rocblas_hemvn_kernel_upperILb0ELi64ELi4ELi33ELi32ELi16ElPKfS1_PfEviT6_lT7_lT5_lS4_lS5_lS3_lT8_i.private_seg_size, 0
	.set _ZL26rocblas_hemvn_kernel_upperILb0ELi64ELi4ELi33ELi32ELi16ElPKfS1_PfEviT6_lT7_lT5_lS4_lS5_lS3_lT8_i.uses_vcc, 1
	.set _ZL26rocblas_hemvn_kernel_upperILb0ELi64ELi4ELi33ELi32ELi16ElPKfS1_PfEviT6_lT7_lT5_lS4_lS5_lS3_lT8_i.uses_flat_scratch, 0
	.set _ZL26rocblas_hemvn_kernel_upperILb0ELi64ELi4ELi33ELi32ELi16ElPKfS1_PfEviT6_lT7_lT5_lS4_lS5_lS3_lT8_i.has_dyn_sized_stack, 0
	.set _ZL26rocblas_hemvn_kernel_upperILb0ELi64ELi4ELi33ELi32ELi16ElPKfS1_PfEviT6_lT7_lT5_lS4_lS5_lS3_lT8_i.has_recursion, 0
	.set _ZL26rocblas_hemvn_kernel_upperILb0ELi64ELi4ELi33ELi32ELi16ElPKfS1_PfEviT6_lT7_lT5_lS4_lS5_lS3_lT8_i.has_indirect_call, 0
	.section	.AMDGPU.csdata,"",@progbits
; Kernel info:
; codeLenInByte = 6640
; TotalNumSgprs: 80
; NumVgprs: 144
; ScratchSize: 0
; MemoryBound: 0
; FloatMode: 240
; IeeeMode: 1
; LDSByteSize: 4800 bytes/workgroup (compile time only)
; SGPRBlocks: 0
; VGPRBlocks: 8
; NumSGPRsForWavesPerEU: 80
; NumVGPRsForWavesPerEU: 144
; NamedBarCnt: 0
; Occupancy: 7
; WaveLimiterHint : 0
; COMPUTE_PGM_RSRC2:SCRATCH_EN: 0
; COMPUTE_PGM_RSRC2:USER_SGPR: 2
; COMPUTE_PGM_RSRC2:TRAP_HANDLER: 0
; COMPUTE_PGM_RSRC2:TGID_X_EN: 1
; COMPUTE_PGM_RSRC2:TGID_Y_EN: 0
; COMPUTE_PGM_RSRC2:TGID_Z_EN: 1
; COMPUTE_PGM_RSRC2:TIDIG_COMP_CNT: 1
	.section	.text._ZL36rocblas_hemvn_kernel_upper_block_sumILi64ElPKfPffEviT1_lS3_lT2_lT0_lPT3_i,"axG",@progbits,_ZL36rocblas_hemvn_kernel_upper_block_sumILi64ElPKfPffEviT1_lS3_lT2_lT0_lPT3_i,comdat
	.globl	_ZL36rocblas_hemvn_kernel_upper_block_sumILi64ElPKfPffEviT1_lS3_lT2_lT0_lPT3_i ; -- Begin function _ZL36rocblas_hemvn_kernel_upper_block_sumILi64ElPKfPffEviT1_lS3_lT2_lT0_lPT3_i
	.p2align	8
	.type	_ZL36rocblas_hemvn_kernel_upper_block_sumILi64ElPKfPffEviT1_lS3_lT2_lT0_lPT3_i,@function
_ZL36rocblas_hemvn_kernel_upper_block_sumILi64ElPKfPffEviT1_lS3_lT2_lT0_lPT3_i: ; @_ZL36rocblas_hemvn_kernel_upper_block_sumILi64ElPKfPffEviT1_lS3_lT2_lT0_lPT3_i
; %bb.0:
	s_load_b32 s3, s[0:1], 0x50
	s_bfe_u32 s2, ttmp6, 0x40014
	s_lshr_b32 s4, ttmp7, 16
	s_add_co_i32 s2, s2, 1
	s_bfe_u32 s6, ttmp6, 0x40008
	s_mul_i32 s5, s4, s2
	s_getreg_b32 s2, hwreg(HW_REG_IB_STS2, 6, 4)
	s_add_co_i32 s6, s6, s5
	s_cmp_eq_u32 s2, 0
	s_mov_b32 s21, 0
	s_cselect_b32 s20, s4, s6
	s_wait_kmcnt 0x0
	s_cmp_ge_u32 s20, s3
	s_cbranch_scc1 .LBB70_25
; %bb.1:
	s_load_b256 s[4:11], s[0:1], 0x30
	s_bfe_u32 s12, ttmp6, 0x4000c
	s_and_b32 s13, ttmp6, 15
	s_add_co_i32 s12, s12, 1
	s_delay_alu instid0(SALU_CYCLE_1) | instskip(NEXT) | instid1(SALU_CYCLE_1)
	s_mul_i32 s12, ttmp9, s12
	s_add_co_i32 s13, s13, s12
	s_wait_kmcnt 0x0
	s_lshl_b64 s[4:5], s[4:5], 2
	s_cmp_eq_u32 s2, 0
	s_cselect_b32 s23, ttmp9, s13
	s_delay_alu instid0(SALU_CYCLE_1) | instskip(NEXT) | instid1(VALU_DEP_1)
	v_lshl_or_b32 v2, s23, 6, v0
	v_ashrrev_i32_e32 v3, 31, v2
	s_delay_alu instid0(VALU_DEP_1)
	v_mul_u64_e32 v[0:1], s[6:7], v[2:3]
	s_clause 0x2
	s_load_b64 s[6:7], s[0:1], 0x28
	s_load_b32 s24, s[0:1], 0x0
	s_load_b256 s[12:19], s[0:1], 0x8
	s_wait_xcnt 0x0
	s_add_nc_u64 s[0:1], s[0:1], 0x58
	s_wait_kmcnt 0x0
	s_add_nc_u64 s[4:5], s[6:7], s[4:5]
	v_cmp_gt_i32_e64 s2, s24, v2
	s_ashr_i32 s25, s24, 31
	v_lshl_add_u64 v[2:3], v[2:3], 2, s[10:11]
	s_cmp_gt_i32 s23, -1
	s_cselect_b32 s22, -1, 0
	s_add_co_i32 s23, s23, 1
	s_lshl_b64 s[6:7], s[24:25], 2
	s_branch .LBB70_4
.LBB70_2:                               ;   in Loop: Header=BB70_4 Depth=1
	s_wait_xcnt 0x0
	s_or_b32 exec_lo, exec_lo, s24
.LBB70_3:                               ;   in Loop: Header=BB70_4 Depth=1
	s_add_co_i32 s20, s20, 0x10000
	s_delay_alu instid0(SALU_CYCLE_1)
	s_cmp_lt_u32 s20, s3
	s_cbranch_scc0 .LBB70_25
.LBB70_4:                               ; =>This Loop Header: Depth=1
                                        ;     Child Loop BB70_16 Depth 2
	s_mul_u64 s[10:11], s[14:15], s[20:21]
	s_mul_u64 s[26:27], s[18:19], s[20:21]
	s_lshl_b64 s[10:11], s[10:11], 2
	s_delay_alu instid0(SALU_CYCLE_1) | instskip(SKIP_3) | instid1(SALU_CYCLE_1)
	s_add_nc_u64 s[10:11], s[12:13], s[10:11]
	s_load_b32 s24, s[10:11], 0x0
	s_wait_xcnt 0x0
	s_lshl_b64 s[10:11], s[26:27], 2
	s_add_nc_u64 s[10:11], s[16:17], s[10:11]
	s_load_b32 s25, s[10:11], 0x0
	s_wait_kmcnt 0x0
	s_cmp_eq_f32 s24, 0
	s_wait_xcnt 0x0
	s_cselect_b32 s10, -1, 0
	s_cmp_eq_f32 s25, 1.0
	s_cselect_b32 s11, -1, 0
	s_delay_alu instid0(SALU_CYCLE_1) | instskip(NEXT) | instid1(SALU_CYCLE_1)
	s_and_b32 s10, s10, s11
	s_and_b32 vcc_lo, exec_lo, s10
	s_cbranch_vccnz .LBB70_3
; %bb.5:                                ;   in Loop: Header=BB70_4 Depth=1
	s_mul_u64 s[10:11], s[8:9], s[20:21]
	s_delay_alu instid0(SALU_CYCLE_1)
	s_lshl_b64 s[10:11], s[10:11], 2
	s_cmp_neq_f32 s24, 0
	s_add_nc_u64 s[10:11], s[4:5], s[10:11]
	s_cbranch_scc1 .LBB70_9
; %bb.6:                                ;   in Loop: Header=BB70_4 Depth=1
	s_mov_b32 s27, 0
	s_mov_b32 s26, 0
                                        ; implicit-def: $vgpr5
	s_and_saveexec_b32 s28, s2
	s_cbranch_execz .LBB70_10
; %bb.7:                                ;   in Loop: Header=BB70_4 Depth=1
	s_cmp_eq_f32 s25, 0
	s_cbranch_scc1 .LBB70_11
; %bb.8:                                ;   in Loop: Header=BB70_4 Depth=1
	v_lshl_add_u64 v[4:5], v[0:1], 2, s[10:11]
	global_load_b32 v4, v[4:5], off
	s_wait_loadcnt 0x0
	s_wait_xcnt 0x0
	v_mul_f32_e32 v5, s25, v4
	s_branch .LBB70_12
.LBB70_9:                               ;   in Loop: Header=BB70_4 Depth=1
	s_mov_b32 s26, 0
                                        ; implicit-def: $vgpr5
	s_cbranch_execnz .LBB70_13
	s_branch .LBB70_22
.LBB70_10:                              ;   in Loop: Header=BB70_4 Depth=1
	s_or_b32 exec_lo, exec_lo, s28
	s_delay_alu instid0(SALU_CYCLE_1)
	s_and_b32 vcc_lo, exec_lo, s27
	s_cbranch_vccnz .LBB70_13
	s_branch .LBB70_22
.LBB70_11:                              ;   in Loop: Header=BB70_4 Depth=1
	v_mov_b32_e32 v5, 0
.LBB70_12:                              ;   in Loop: Header=BB70_4 Depth=1
	s_mov_b32 s26, exec_lo
	s_or_b32 exec_lo, exec_lo, s28
	s_delay_alu instid0(SALU_CYCLE_1)
	s_and_b32 vcc_lo, exec_lo, s27
	s_cbranch_vccz .LBB70_22
.LBB70_13:                              ;   in Loop: Header=BB70_4 Depth=1
                                        ; implicit-def: $vgpr5
	s_and_saveexec_b32 s27, s2
	s_cbranch_execz .LBB70_21
; %bb.14:                               ;   in Loop: Header=BB70_4 Depth=1
	v_mov_b32_e32 v4, 0
	s_and_not1_b32 vcc_lo, exec_lo, s22
	s_cbranch_vccnz .LBB70_17
; %bb.15:                               ;   in Loop: Header=BB70_4 Depth=1
	s_load_b32 s28, s[0:1], 0x0
	s_mov_b32 s29, s21
	v_mov_b32_e32 v4, 0
	s_wait_kmcnt 0x0
	s_mul_u64 s[28:29], s[6:7], s[28:29]
	s_delay_alu instid0(SALU_CYCLE_1) | instskip(SKIP_1) | instid1(VALU_DEP_1)
	v_mad_nc_u64_u32 v[6:7], s28, s20, v[2:3]
	s_mov_b32 s28, s23
	v_mad_u32 v7, s29, s20, v7
.LBB70_16:                              ;   Parent Loop BB70_4 Depth=1
                                        ; =>  This Inner Loop Header: Depth=2
	global_load_b32 v5, v[6:7], off
	s_wait_xcnt 0x0
	v_add_nc_u64_e32 v[6:7], s[6:7], v[6:7]
	s_add_co_i32 s28, s28, -1
	s_delay_alu instid0(SALU_CYCLE_1)
	s_cmp_eq_u32 s28, 0
	s_wait_loadcnt 0x0
	v_add_f32_e32 v4, v4, v5
	s_cbranch_scc0 .LBB70_16
.LBB70_17:                              ;   in Loop: Header=BB70_4 Depth=1
	s_cmp_eq_f32 s25, 0
	s_cbranch_scc0 .LBB70_24
; %bb.18:                               ;   in Loop: Header=BB70_4 Depth=1
	s_delay_alu instid0(VALU_DEP_1)
	v_mul_f32_e32 v5, s24, v4
	s_cbranch_execnz .LBB70_20
.LBB70_19:                              ;   in Loop: Header=BB70_4 Depth=1
	v_lshl_add_u64 v[6:7], v[0:1], 2, s[10:11]
	global_load_b32 v5, v[6:7], off
	s_wait_xcnt 0x0
	v_dual_mov_b32 v6, s24 :: v_dual_mov_b32 v7, s25
	s_wait_loadcnt 0x0
	s_delay_alu instid0(VALU_DEP_1) | instskip(NEXT) | instid1(VALU_DEP_1)
	v_pk_mul_f32 v[4:5], v[6:7], v[4:5]
	v_add_f32_e32 v5, v4, v5
.LBB70_20:                              ;   in Loop: Header=BB70_4 Depth=1
	s_or_b32 s26, s26, exec_lo
.LBB70_21:                              ;   in Loop: Header=BB70_4 Depth=1
	s_or_b32 exec_lo, exec_lo, s27
.LBB70_22:                              ;   in Loop: Header=BB70_4 Depth=1
	s_and_saveexec_b32 s24, s26
	s_cbranch_execz .LBB70_2
; %bb.23:                               ;   in Loop: Header=BB70_4 Depth=1
	v_lshl_add_u64 v[6:7], v[0:1], 2, s[10:11]
	global_store_b32 v[6:7], v5, off
	s_branch .LBB70_2
.LBB70_24:                              ;   in Loop: Header=BB70_4 Depth=1
                                        ; implicit-def: $vgpr5
	s_branch .LBB70_19
.LBB70_25:
	s_endpgm
	.section	.rodata,"a",@progbits
	.p2align	6, 0x0
	.amdhsa_kernel _ZL36rocblas_hemvn_kernel_upper_block_sumILi64ElPKfPffEviT1_lS3_lT2_lT0_lPT3_i
		.amdhsa_group_segment_fixed_size 0
		.amdhsa_private_segment_fixed_size 0
		.amdhsa_kernarg_size 344
		.amdhsa_user_sgpr_count 2
		.amdhsa_user_sgpr_dispatch_ptr 0
		.amdhsa_user_sgpr_queue_ptr 0
		.amdhsa_user_sgpr_kernarg_segment_ptr 1
		.amdhsa_user_sgpr_dispatch_id 0
		.amdhsa_user_sgpr_kernarg_preload_length 0
		.amdhsa_user_sgpr_kernarg_preload_offset 0
		.amdhsa_user_sgpr_private_segment_size 0
		.amdhsa_wavefront_size32 1
		.amdhsa_uses_dynamic_stack 0
		.amdhsa_enable_private_segment 0
		.amdhsa_system_sgpr_workgroup_id_x 1
		.amdhsa_system_sgpr_workgroup_id_y 0
		.amdhsa_system_sgpr_workgroup_id_z 1
		.amdhsa_system_sgpr_workgroup_info 0
		.amdhsa_system_vgpr_workitem_id 0
		.amdhsa_next_free_vgpr 8
		.amdhsa_next_free_sgpr 30
		.amdhsa_named_barrier_count 0
		.amdhsa_reserve_vcc 1
		.amdhsa_float_round_mode_32 0
		.amdhsa_float_round_mode_16_64 0
		.amdhsa_float_denorm_mode_32 3
		.amdhsa_float_denorm_mode_16_64 3
		.amdhsa_fp16_overflow 0
		.amdhsa_memory_ordered 1
		.amdhsa_forward_progress 1
		.amdhsa_inst_pref_size 6
		.amdhsa_round_robin_scheduling 0
		.amdhsa_exception_fp_ieee_invalid_op 0
		.amdhsa_exception_fp_denorm_src 0
		.amdhsa_exception_fp_ieee_div_zero 0
		.amdhsa_exception_fp_ieee_overflow 0
		.amdhsa_exception_fp_ieee_underflow 0
		.amdhsa_exception_fp_ieee_inexact 0
		.amdhsa_exception_int_div_zero 0
	.end_amdhsa_kernel
	.section	.text._ZL36rocblas_hemvn_kernel_upper_block_sumILi64ElPKfPffEviT1_lS3_lT2_lT0_lPT3_i,"axG",@progbits,_ZL36rocblas_hemvn_kernel_upper_block_sumILi64ElPKfPffEviT1_lS3_lT2_lT0_lPT3_i,comdat
.Lfunc_end70:
	.size	_ZL36rocblas_hemvn_kernel_upper_block_sumILi64ElPKfPffEviT1_lS3_lT2_lT0_lPT3_i, .Lfunc_end70-_ZL36rocblas_hemvn_kernel_upper_block_sumILi64ElPKfPffEviT1_lS3_lT2_lT0_lPT3_i
                                        ; -- End function
	.set _ZL36rocblas_hemvn_kernel_upper_block_sumILi64ElPKfPffEviT1_lS3_lT2_lT0_lPT3_i.num_vgpr, 8
	.set _ZL36rocblas_hemvn_kernel_upper_block_sumILi64ElPKfPffEviT1_lS3_lT2_lT0_lPT3_i.num_agpr, 0
	.set _ZL36rocblas_hemvn_kernel_upper_block_sumILi64ElPKfPffEviT1_lS3_lT2_lT0_lPT3_i.numbered_sgpr, 30
	.set _ZL36rocblas_hemvn_kernel_upper_block_sumILi64ElPKfPffEviT1_lS3_lT2_lT0_lPT3_i.num_named_barrier, 0
	.set _ZL36rocblas_hemvn_kernel_upper_block_sumILi64ElPKfPffEviT1_lS3_lT2_lT0_lPT3_i.private_seg_size, 0
	.set _ZL36rocblas_hemvn_kernel_upper_block_sumILi64ElPKfPffEviT1_lS3_lT2_lT0_lPT3_i.uses_vcc, 1
	.set _ZL36rocblas_hemvn_kernel_upper_block_sumILi64ElPKfPffEviT1_lS3_lT2_lT0_lPT3_i.uses_flat_scratch, 0
	.set _ZL36rocblas_hemvn_kernel_upper_block_sumILi64ElPKfPffEviT1_lS3_lT2_lT0_lPT3_i.has_dyn_sized_stack, 0
	.set _ZL36rocblas_hemvn_kernel_upper_block_sumILi64ElPKfPffEviT1_lS3_lT2_lT0_lPT3_i.has_recursion, 0
	.set _ZL36rocblas_hemvn_kernel_upper_block_sumILi64ElPKfPffEviT1_lS3_lT2_lT0_lPT3_i.has_indirect_call, 0
	.section	.AMDGPU.csdata,"",@progbits
; Kernel info:
; codeLenInByte = 720
; TotalNumSgprs: 32
; NumVgprs: 8
; ScratchSize: 0
; MemoryBound: 0
; FloatMode: 240
; IeeeMode: 1
; LDSByteSize: 0 bytes/workgroup (compile time only)
; SGPRBlocks: 0
; VGPRBlocks: 0
; NumSGPRsForWavesPerEU: 32
; NumVGPRsForWavesPerEU: 8
; NamedBarCnt: 0
; Occupancy: 16
; WaveLimiterHint : 0
; COMPUTE_PGM_RSRC2:SCRATCH_EN: 0
; COMPUTE_PGM_RSRC2:USER_SGPR: 2
; COMPUTE_PGM_RSRC2:TRAP_HANDLER: 0
; COMPUTE_PGM_RSRC2:TGID_X_EN: 1
; COMPUTE_PGM_RSRC2:TGID_Y_EN: 0
; COMPUTE_PGM_RSRC2:TGID_Z_EN: 1
; COMPUTE_PGM_RSRC2:TIDIG_COMP_CNT: 0
	.section	.text._ZL26rocblas_hemvn_kernel_upperILb0ELi64ELi4ELi33ELi32ELi16EiPKfS1_PfEviT6_lT7_lT5_lS4_lS5_lS3_lT8_i,"axG",@progbits,_ZL26rocblas_hemvn_kernel_upperILb0ELi64ELi4ELi33ELi32ELi16EiPKfS1_PfEviT6_lT7_lT5_lS4_lS5_lS3_lT8_i,comdat
	.globl	_ZL26rocblas_hemvn_kernel_upperILb0ELi64ELi4ELi33ELi32ELi16EiPKfS1_PfEviT6_lT7_lT5_lS4_lS5_lS3_lT8_i ; -- Begin function _ZL26rocblas_hemvn_kernel_upperILb0ELi64ELi4ELi33ELi32ELi16EiPKfS1_PfEviT6_lT7_lT5_lS4_lS5_lS3_lT8_i
	.p2align	8
	.type	_ZL26rocblas_hemvn_kernel_upperILb0ELi64ELi4ELi33ELi32ELi16EiPKfS1_PfEviT6_lT7_lT5_lS4_lS5_lS3_lT8_i,@function
_ZL26rocblas_hemvn_kernel_upperILb0ELi64ELi4ELi33ELi32ELi16EiPKfS1_PfEviT6_lT7_lT5_lS4_lS5_lS3_lT8_i: ; @_ZL26rocblas_hemvn_kernel_upperILb0ELi64ELi4ELi33ELi32ELi16EiPKfS1_PfEviT6_lT7_lT5_lS4_lS5_lS3_lT8_i
; %bb.0:
	s_clause 0x1
	s_load_b64 s[2:3], s[0:1], 0x84
	s_load_b32 s33, s[0:1], 0x70
	s_bfe_u32 s4, ttmp6, 0x40014
	s_lshr_b32 s5, ttmp7, 16
	s_add_co_i32 s4, s4, 1
	s_bfe_u32 s6, ttmp6, 0x40008
	s_mul_i32 s7, s5, s4
	s_getreg_b32 s4, hwreg(HW_REG_IB_STS2, 6, 4)
	s_add_co_i32 s6, s6, s7
	s_mov_b32 s35, 0
	s_wait_kmcnt 0x0
	s_lshr_b32 s7, s2, 16
	s_and_b32 s2, s2, 0xffff
	s_and_b32 s3, s3, 0xffff
	s_mul_i32 s2, s7, s2
	s_cmp_eq_u32 s4, 0
	s_mul_i32 s2, s2, s3
	s_cselect_b32 s34, s5, s6
	s_cmp_lg_u32 s2, 0x100
	s_cselect_b32 s2, -1, 0
	s_cmp_ge_u32 s34, s33
	s_cselect_b32 s3, -1, 0
	s_delay_alu instid0(SALU_CYCLE_1) | instskip(NEXT) | instid1(SALU_CYCLE_1)
	s_or_b32 s2, s2, s3
	s_and_b32 vcc_lo, exec_lo, s2
	s_cbranch_vccnz .LBB71_129
; %bb.1:
	s_clause 0x5
	s_load_b32 s2, s[0:1], 0x0
	s_load_b32 s68, s[0:1], 0x28
	s_load_b256 s[20:27], s[0:1], 0x8
	s_load_b128 s[28:31], s[0:1], 0x30
	s_load_b96 s[16:18], s[0:1], 0x40
	s_load_b256 s[36:43], s[0:1], 0x50
	s_add_nc_u64 s[6:7], s[0:1], 0x78
	s_wait_xcnt 0x0
	s_bfe_u32 s0, ttmp6, 0x4000c
	v_and_b32_e32 v112, 0x3ff, v0
	s_add_co_i32 s0, s0, 1
	v_bfe_u32 v1, v0, 10, 10
	s_and_b32 s1, ttmp6, 15
	s_mul_i32 s3, ttmp9, s0
	s_load_b32 s44, s[6:7], 0x0
	s_add_co_i32 s1, s1, s3
	v_lshl_add_u32 v6, v1, 6, v112
	v_and_b32_e32 v16, 31, v0
	s_mov_b32 s45, s35
	v_cmp_eq_u32_e64 s0, 0, v1
	v_lshl_add_u32 v124, v1, 4, 0x10c0
	v_lshrrev_b32_e32 v7, 5, v6
	v_cmp_gt_u32_e64 s10, 32, v6
	v_mul_u32_u24_e32 v15, 33, v16
	s_wait_kmcnt 0x0
	s_ashr_i32 s3, s2, 31
	s_ashr_i32 s69, s68, 31
	s_cmp_eq_u32 s4, 0
	v_mad_u32 v2, s68, v7, v16
	s_cselect_b32 s46, ttmp9, s1
	s_lshr_b32 s1, s3, 26
	s_lshl_b32 s54, s46, 6
	s_delay_alu instid0(SALU_CYCLE_1)
	v_dual_lshlrev_b32 v113, 2, v112 :: v_dual_add_nc_u32 v18, s54, v112
	s_add_co_i32 s1, s2, s1
	s_add_co_i32 s8, s44, -1
	s_and_not1_b32 s1, s1, 63
	s_lshl_b64 s[4:5], s[16:17], 2
	v_mul_lo_u32 v4, s18, v18
	s_lshl_b64 s[6:7], s[26:27], 2
	s_sub_co_i32 s94, s2, s1
	s_cmp_eq_u32 s46, s8
	v_dual_mov_b32 v23, 0 :: v_dual_add_nc_u32 v114, 0x11c0, v113
	s_cselect_b32 s26, s94, 0
	s_add_nc_u64 s[4:5], s[30:31], s[4:5]
	s_cmp_lg_u32 s26, 0
	s_add_nc_u64 s[6:7], s[24:25], s[6:7]
	s_cselect_b32 s95, -1, 0
	s_delay_alu instid0(VALU_DEP_2) | instskip(SKIP_3) | instid1(VALU_DEP_2)
	v_dual_ashrrev_i32 v5, 31, v4 :: v_dual_ashrrev_i32 v3, 31, v2
	s_cmp_eq_u32 s26, 0
	v_dual_mov_b32 v17, v23 :: v_dual_lshlrev_b32 v115, 2, v16
	s_cselect_b32 s1, -1, 0
	v_lshlrev_b64_e32 v[2:3], 2, v[2:3]
	s_ashr_i32 s55, s54, 31
	v_lshl_add_u64 v[20:21], v[4:5], 2, s[4:5]
	s_lshl_b64 s[4:5], s[54:55], 2
	v_dual_add_nc_u32 v8, 24, v7 :: v_dual_lshlrev_b32 v9, 2, v7
	s_add_nc_u64 s[4:5], s[6:7], s[4:5]
	v_lshl_or_b32 v117, v16, 7, v115
	v_add_nc_u64_e32 v[4:5], s[4:5], v[2:3]
	s_delay_alu instid0(VALU_DEP_3) | instskip(SKIP_3) | instid1(VALU_DEP_1)
	v_dual_lshlrev_b32 v10, 4, v7 :: v_dual_bitop2_b32 v12, 1, v9 bitop3:0x54
	s_mul_i32 s4, s68, s54
	s_ashr_i32 s47, s46, 31
	s_ashr_i32 s5, s4, 31
	v_dual_add_nc_u32 v118, v117, v10 :: v_dual_bitop2_b32 v13, 2, v9 bitop3:0x54
	s_delay_alu instid0(VALU_DEP_3)
	v_lshl_add_u64 v[24:25], s[4:5], 2, v[4:5]
	v_dual_add_nc_u32 v4, 8, v7 :: v_dual_add_nc_u32 v5, 16, v7
	v_add_nc_u32_e32 v119, 0x11c0, v10
	v_dual_lshlrev_b32 v121, 2, v1 :: v_dual_bitop2_b32 v10, 32, v16 bitop3:0x54
	s_mul_u64 s[6:7], s[2:3], s[46:47]
	s_mul_u64 s[24:25], s[44:45], s[2:3]
	s_lshl_b64 s[2:3], s[6:7], 2
	s_sub_co_i32 s15, s26, 32
	s_add_nc_u64 s[30:31], s[42:43], s[2:3]
	v_cmp_gt_i32_e64 s3, s26, v4
	v_cmp_gt_i32_e64 s13, s15, v4
	v_mad_u32 v4, s68, v121, v112
	v_cmp_gt_i32_e64 s2, s26, v7
	v_mul_u32_u24_e32 v116, 0x84, v7
	v_mul_u32_u24_e32 v11, 0x210, v7
	v_cmp_gt_i32_e64 s12, s15, v7
	v_cmp_eq_u32_e64 s16, 1, v7
	v_mul_i32_i24_e32 v122, -12, v7
	v_and_b32_e32 v7, 15, v0
	v_dual_add_nc_u32 v132, 16, v121 :: v_dual_bitop2_b32 v0, 48, v0 bitop3:0x40
	v_cmp_gt_i32_e64 s4, s26, v5
	v_or_b32_e32 v14, 3, v9
	v_cmp_gt_i32_e64 s14, s15, v5
	v_ashrrev_i32_e32 v5, 31, v4
	v_lshlrev_b32_e32 v0, 2, v0
	s_lshl_b32 s52, s68, 5
	v_cmp_gt_i32_e64 s5, s26, v8
	s_ashr_i32 s53, s52, 31
	v_cmp_gt_u32_e64 s8, v13, v16
	v_cmp_gt_i32_e64 s15, s15, v8
	v_lshrrev_b32_e32 v8, 2, v6
	v_mad_u32_u24 v125, 0x430, v1, v113
	v_or_b32_e32 v13, 60, v113
	v_mad_u32_u24 v127, 0x10c, v7, v0
	v_mad_u32_u24 v140, 0x10c, v1, v113
	v_add_nc_u64_e32 v[0:1], s[52:53], v[4:5]
	v_and_b32_e32 v8, 0x1ffc, v8
	s_lshl_b32 s48, s68, 4
	v_cmp_gt_u32_e64 s9, v14, v16
	s_ashr_i32 s49, s48, 31
	v_cmp_gt_i32_e64 s11, s26, v10
	v_mul_u32_u24_e32 v10, 0x10c, v7
	v_lshlrev_b64_e32 v[0:1], 2, v[0:1]
	v_and_b32_e32 v14, 0x7ff0, v6
	v_mad_u32_u24 v126, 0x10c, v7, v8
	v_cmp_gt_u32_e64 s17, 64, v6
	v_mad_u32_u24 v128, 0x10c, v7, v13
	v_lshlrev_b64_e32 v[6:7], 2, v[4:5]
	s_add_nc_u64 s[78:79], s[68:69], s[48:49]
	v_cmp_gt_i32_e32 vcc_lo, s26, v112
	v_mad_nc_u64_u32 v[34:35], s78, 12, v[0:1]
	s_add_nc_u64 s[62:63], s[52:53], s[48:49]
	s_lshl_b32 s42, s68, 3
	s_mul_i32 s50, s68, 24
	s_mul_i32 s54, s18, s54
	v_sub_nc_u64_e32 v[26:27], 0, v[2:3]
	v_sub_nc_u64_e32 v[28:29], v[6:7], v[2:3]
	v_add_nc_u64_e32 v[2:3], s[62:63], v[4:5]
	v_mad_nc_i64_i32 v[40:41], s48, 12, v[0:1]
	s_add_co_i32 s19, s46, 1
	s_or_b32 s96, s1, vcc_lo
	s_ashr_i32 s27, s26, 31
	s_ashr_i32 s43, s42, 31
	;; [unrolled: 1-line block ×4, first 2 shown]
	s_cmp_lt_u32 s19, s44
	s_mul_i32 s64, s68, 3
	s_cselect_b32 s45, -1, 0
	s_lshl_b32 s60, s68, 1
	s_mul_u64 s[72:73], s[68:69], 12
	s_lshl_b64 s[80:81], s[48:49], 3
	s_lshl_b32 s97, s18, 6
	s_ashr_i32 s61, s60, 31
	s_ashr_i32 s65, s64, 31
	s_lshl_b64 s[56:57], s[68:69], 5
	s_mul_i32 s58, s18, s19
	s_lshl_b64 s[18:19], s[68:69], 2
	s_lshl_b64 s[70:71], s[68:69], 3
	v_add_nc_u64_e32 v[30:31], s[72:73], v[0:1]
	v_lshl_add_u64 v[32:33], v[2:3], 2, s[72:73]
	s_add_nc_u64 s[68:69], s[72:73], s[80:81]
	s_mul_u64 s[72:73], s[48:49], 12
	v_mad_u32 v35, s79, 12, v35
	v_mul_u32_u24_e32 v12, 0x84, v12
	s_lshl_b64 s[84:85], s[60:61], 2
	s_lshl_b64 s[86:87], s[64:65], 2
	s_add_nc_u64 s[72:73], s[72:73], s[70:71]
	v_add_nc_u64_e32 v[36:37], s[68:69], v[0:1]
	v_add_nc_u64_e32 v[38:39], s[72:73], v[0:1]
	v_sub_nc_u64_e32 v[42:43], 0, v[16:17]
	v_add_nc_u64_e32 v[44:45], s[18:19], v[40:41]
	v_add_nc_u64_e32 v[46:47], s[84:85], v[40:41]
	;; [unrolled: 1-line block ×3, first 2 shown]
	s_lshl_b64 s[76:77], s[52:53], 2
	s_lshl_b64 s[74:75], s[48:49], 2
	v_cmp_gt_i32_e64 s1, s26, v16
	v_cmp_gt_u32_e64 s6, v9, v16
	v_cmp_ge_u32_e64 s7, v9, v16
	v_lshl_add_u32 v120, v15, 2, v9
	v_add_nc_u32_e32 v123, 0x10c0, v113
	v_dual_add_nc_u32 v133, 17, v121 :: v_dual_bitop2_b32 v129, 1, v121 bitop3:0x54
	v_dual_add_nc_u32 v134, 18, v121 :: v_dual_bitop2_b32 v130, 2, v121 bitop3:0x54
	;; [unrolled: 1-line block ×3, first 2 shown]
	v_dual_add_nc_u32 v136, 32, v121 :: v_dual_add_nc_u32 v137, 33, v121
	v_dual_add_nc_u32 v138, 34, v121 :: v_dual_add_nc_u32 v139, 35, v121
	v_dual_ashrrev_i32 v19, 31, v18 :: v_dual_add_nc_u32 v141, v117, v9
	v_add_nc_u32_e32 v142, 0x11c0, v9
	v_dual_add_nc_u32 v143, v10, v14 :: v_dual_add_nc_u32 v144, v115, v11
	v_dual_add_nc_u32 v145, v115, v12 :: v_dual_add_nc_u32 v146, 48, v121
	v_dual_add_nc_u32 v147, 49, v121 :: v_dual_add_nc_u32 v148, 50, v121
	v_dual_add_nc_u32 v149, 51, v121 :: v_dual_add_nc_u32 v17, 64, v18
	s_lshl_b32 s99, s58, 6
	s_add_nc_u64 s[58:59], s[70:71], s[76:77]
	s_add_nc_u64 s[60:61], s[18:19], s[76:77]
	;; [unrolled: 1-line block ×6, first 2 shown]
	s_sub_nc_u64 s[54:55], 0, s[54:55]
	s_add_co_i32 s47, s44, -2
	s_and_b32 s98, s0, s96
	s_add_nc_u64 s[68:69], s[60:61], s[74:75]
	s_add_nc_u64 s[70:71], s[66:67], s[84:85]
	;; [unrolled: 1-line block ×6, first 2 shown]
	s_mov_b64 s[82:83], 0xffffffffffffff7c
	s_add_nc_u64 s[84:85], s[76:77], s[84:85]
	s_add_nc_u64 s[86:87], s[76:77], s[86:87]
	s_sub_nc_u64 s[88:89], 0, s[26:27]
	s_lshl_b64 s[90:91], s[48:49], 4
	s_branch .LBB71_4
.LBB71_2:                               ;   in Loop: Header=BB71_4 Depth=1
	s_wait_xcnt 0x0
	s_or_b32 exec_lo, exec_lo, s92
.LBB71_3:                               ;   in Loop: Header=BB71_4 Depth=1
	s_add_co_i32 s34, s34, 0x10000
	s_delay_alu instid0(SALU_CYCLE_1)
	s_cmp_lt_u32 s34, s33
	s_cbranch_scc0 .LBB71_129
.LBB71_4:                               ; =>This Loop Header: Depth=1
                                        ;     Child Loop BB71_69 Depth 2
	s_mul_u64 s[18:19], s[22:23], s[34:35]
	s_wait_xcnt 0x0
	s_mul_u64 s[92:93], s[40:41], s[34:35]
	s_lshl_b64 s[18:19], s[18:19], 2
	s_lshl_b64 s[92:93], s[92:93], 2
	s_add_nc_u64 s[18:19], s[20:21], s[18:19]
	s_add_nc_u64 s[92:93], s[38:39], s[92:93]
	s_clause 0x1
	global_load_b32 v0, v23, s[18:19]
	global_load_b32 v1, v23, s[92:93]
	s_wait_loadcnt 0x1
	s_wait_xcnt 0x1
	v_cmp_eq_f32_e64 s18, 0, v0
	s_wait_loadcnt 0x0
	v_cmp_eq_f32_e32 vcc_lo, 1.0, v1
	s_and_b32 s19, s18, vcc_lo
	s_delay_alu instid0(SALU_CYCLE_1)
	s_and_b32 vcc_lo, exec_lo, s19
	s_cbranch_vccnz .LBB71_3
; %bb.5:                                ;   in Loop: Header=BB71_4 Depth=1
	s_and_b32 vcc_lo, exec_lo, s18
	s_cbranch_vccnz .LBB71_3
; %bb.6:                                ;   in Loop: Header=BB71_4 Depth=1
	s_mul_u64 s[18:19], s[36:37], s[34:35]
	s_delay_alu instid0(SALU_CYCLE_1)
	v_lshl_add_u64 v[4:5], s[18:19], 2, v[20:21]
	s_wait_xcnt 0x0
	s_and_saveexec_b32 s18, s0
	s_cbranch_execz .LBB71_10
; %bb.7:                                ;   in Loop: Header=BB71_4 Depth=1
	v_mov_b32_e32 v0, 0
	s_and_saveexec_b32 s19, s96
	s_cbranch_execz .LBB71_9
; %bb.8:                                ;   in Loop: Header=BB71_4 Depth=1
	global_load_b32 v0, v[4:5], off
.LBB71_9:                               ;   in Loop: Header=BB71_4 Depth=1
	s_wait_xcnt 0x0
	s_or_b32 exec_lo, exec_lo, s19
	s_wait_loadcnt 0x0
	ds_store_b32 v114, v0
.LBB71_10:                              ;   in Loop: Header=BB71_4 Depth=1
	s_or_b32 exec_lo, exec_lo, s18
	s_mul_u64 s[18:19], s[28:29], s[34:35]
	s_and_b32 vcc_lo, exec_lo, s95
	v_lshl_add_u64 v[2:3], s[18:19], 2, v[24:25]
	s_mov_b32 s18, -1
                                        ; implicit-def: $vgpr0_vgpr1
	s_cbranch_vccz .LBB71_20
; %bb.11:                               ;   in Loop: Header=BB71_4 Depth=1
	s_delay_alu instid0(VALU_DEP_1) | instskip(SKIP_1) | instid1(VALU_DEP_2)
	v_lshl_add_u64 v[0:1], v[42:43], 2, v[2:3]
	v_mov_b32_e32 v7, 0
	v_lshl_add_u64 v[0:1], s[26:27], 2, v[0:1]
	s_delay_alu instid0(VALU_DEP_1) | instskip(NEXT) | instid1(VALU_DEP_1)
	v_add_nc_u64_e32 v[0:1], -4, v[0:1]
	v_dual_mov_b32 v8, 0 :: v_dual_cndmask_b32 v1, v1, v3, s1
	s_delay_alu instid0(VALU_DEP_2)
	v_cndmask_b32_e64 v0, v0, v2, s1
	s_and_saveexec_b32 s18, s2
	s_cbranch_execz .LBB71_13
; %bb.12:                               ;   in Loop: Header=BB71_4 Depth=1
	global_load_b32 v7, v[0:1], off
.LBB71_13:                              ;   in Loop: Header=BB71_4 Depth=1
	s_wait_xcnt 0x0
	s_or_b32 exec_lo, exec_lo, s18
	v_add_nc_u32_e32 v6, v115, v116
	s_wait_loadcnt 0x0
	ds_store_b32 v6, v7
	s_and_saveexec_b32 s18, s3
	s_cbranch_execz .LBB71_15
; %bb.14:                               ;   in Loop: Header=BB71_4 Depth=1
	v_lshl_add_u64 v[8:9], s[42:43], 2, v[0:1]
	global_load_b32 v8, v[8:9], off
.LBB71_15:                              ;   in Loop: Header=BB71_4 Depth=1
	s_wait_xcnt 0x0
	s_or_b32 exec_lo, exec_lo, s18
	v_dual_mov_b32 v7, 0 :: v_dual_mov_b32 v9, 0
	s_wait_loadcnt 0x0
	ds_store_b32 v6, v8 offset:1056
	s_and_saveexec_b32 s18, s4
	s_cbranch_execz .LBB71_17
; %bb.16:                               ;   in Loop: Header=BB71_4 Depth=1
	v_lshl_add_u64 v[8:9], s[48:49], 2, v[0:1]
	global_load_b32 v9, v[8:9], off
.LBB71_17:                              ;   in Loop: Header=BB71_4 Depth=1
	s_wait_xcnt 0x0
	s_or_b32 exec_lo, exec_lo, s18
	s_wait_loadcnt 0x0
	ds_store_b32 v6, v9 offset:2112
	s_and_saveexec_b32 s18, s5
	s_cbranch_execz .LBB71_19
; %bb.18:                               ;   in Loop: Header=BB71_4 Depth=1
	v_lshl_add_u64 v[8:9], s[50:51], 2, v[0:1]
	global_load_b32 v7, v[8:9], off
.LBB71_19:                              ;   in Loop: Header=BB71_4 Depth=1
	s_wait_xcnt 0x0
	s_or_b32 exec_lo, exec_lo, s18
	v_lshlrev_b32_e32 v22, 2, v16
	s_mov_b32 s18, 0
	s_wait_loadcnt 0x0
	ds_store_b32 v6, v7 offset:3168
	v_add_nc_u64_e32 v[0:1], v[0:1], v[22:23]
	s_delay_alu instid0(VALU_DEP_1) | instskip(NEXT) | instid1(VALU_DEP_1)
	v_lshl_add_u64 v[0:1], s[88:89], 2, v[0:1]
	v_add_nc_u64_e32 v[0:1], 4, v[0:1]
	s_delay_alu instid0(VALU_DEP_1)
	v_dual_cndmask_b32 v1, v1, v3, s1 :: v_dual_cndmask_b32 v0, v0, v2, s1
.LBB71_20:                              ;   in Loop: Header=BB71_4 Depth=1
	v_add_nc_u32_e32 v8, v115, v116
	s_and_b32 vcc_lo, exec_lo, s18
	s_cbranch_vccz .LBB71_22
; %bb.21:                               ;   in Loop: Header=BB71_4 Depth=1
	v_lshl_add_u64 v[0:1], s[42:43], 2, v[2:3]
	s_delay_alu instid0(VALU_DEP_1) | instskip(NEXT) | instid1(VALU_DEP_1)
	v_add_nc_u64_e32 v[6:7], s[56:57], v[0:1]
	v_add_nc_u64_e32 v[10:11], s[56:57], v[6:7]
	s_clause 0x3
	global_load_b32 v9, v[2:3], off
	global_load_b32 v12, v[0:1], off
	;; [unrolled: 1-line block ×4, first 2 shown]
	v_mov_b64_e32 v[0:1], v[2:3]
	s_wait_loadcnt 0x3
	ds_store_b32 v8, v9
	s_wait_loadcnt 0x2
	ds_store_b32 v8, v12 offset:1056
	s_wait_loadcnt 0x1
	ds_store_b32 v8, v6 offset:2112
	;; [unrolled: 2-line block ×3, first 2 shown]
.LBB71_22:                              ;   in Loop: Header=BB71_4 Depth=1
	s_wait_dscnt 0x0
	s_barrier_signal -1
	s_barrier_wait -1
	s_wait_xcnt 0x0
	s_and_saveexec_b32 s18, s6
	s_cbranch_execnz .LBB71_123
; %bb.23:                               ;   in Loop: Header=BB71_4 Depth=1
	s_or_b32 exec_lo, exec_lo, s18
	s_and_saveexec_b32 s18, s7
	s_cbranch_execnz .LBB71_124
.LBB71_24:                              ;   in Loop: Header=BB71_4 Depth=1
	s_or_b32 exec_lo, exec_lo, s18
	s_and_saveexec_b32 s18, s8
	s_cbranch_execnz .LBB71_125
.LBB71_25:                              ;   in Loop: Header=BB71_4 Depth=1
	s_or_b32 exec_lo, exec_lo, s18
	s_and_saveexec_b32 s18, s9
	s_cbranch_execz .LBB71_27
.LBB71_26:                              ;   in Loop: Header=BB71_4 Depth=1
	ds_load_b32 v2, v145 offset:264
	s_wait_dscnt 0x0
	ds_store_b32 v118, v2 offset:12
.LBB71_27:                              ;   in Loop: Header=BB71_4 Depth=1
	s_or_b32 exec_lo, exec_lo, s18
	s_wait_dscnt 0x0
	s_barrier_signal -1
	s_barrier_wait -1
	ds_load_2addr_b32 v[2:3], v145 offset1:33
	ds_load_b32 v6, v144
	ds_load_b128 v[10:13], v119
	ds_load_b32 v15, v145 offset:264
	s_wait_dscnt 0x0
	s_barrier_signal -1
	s_barrier_wait -1
	v_dual_mov_b32 v150, 0 :: v_dual_mov_b32 v7, v2
	v_mov_b32_e32 v14, v3
	s_delay_alu instid0(VALU_DEP_2) | instskip(NEXT) | instid1(VALU_DEP_2)
	v_pk_mul_f32 v[6:7], v[6:7], v[10:11]
	v_pk_mul_f32 v[2:3], v[14:15], v[12:13]
	s_delay_alu instid0(VALU_DEP_2) | instskip(NEXT) | instid1(VALU_DEP_1)
	v_add_f32_e32 v6, 0, v6
	v_add_f32_e32 v6, v6, v7
	s_delay_alu instid0(VALU_DEP_1) | instskip(NEXT) | instid1(VALU_DEP_1)
	v_add_f32_e32 v2, v6, v2
	v_add_f32_e32 v2, v2, v3
	ds_store_b32 v120, v2
	s_wait_dscnt 0x0
	s_barrier_signal -1
	s_barrier_wait -1
	s_and_saveexec_b32 s18, s10
	s_cbranch_execz .LBB71_29
; %bb.28:                               ;   in Loop: Header=BB71_4 Depth=1
	ds_load_2addr_b32 v[2:3], v117 offset1:1
	ds_load_2addr_b32 v[6:7], v117 offset0:2 offset1:3
	ds_load_2addr_b32 v[10:11], v117 offset0:4 offset1:5
	;; [unrolled: 1-line block ×3, first 2 shown]
	s_wait_dscnt 0x3
	v_add_f32_e32 v2, v2, v3
	s_wait_dscnt 0x2
	s_delay_alu instid0(VALU_DEP_1) | instskip(NEXT) | instid1(VALU_DEP_1)
	v_add_f32_e32 v2, v2, v6
	v_add_f32_e32 v2, v2, v7
	s_wait_dscnt 0x1
	s_delay_alu instid0(VALU_DEP_1) | instskip(NEXT) | instid1(VALU_DEP_1)
	v_add_f32_e32 v2, v2, v10
	;; [unrolled: 4-line block ×3, first 2 shown]
	v_add_f32_e32 v150, v2, v13
.LBB71_29:                              ;   in Loop: Header=BB71_4 Depth=1
	s_or_b32 exec_lo, exec_lo, s18
	v_lshl_add_u64 v[6:7], s[52:53], 2, v[0:1]
	s_and_b32 vcc_lo, exec_lo, s95
	s_mov_b32 s18, -1
	s_barrier_signal -1
	s_delay_alu instid0(VALU_DEP_1)
	v_add_nc_u64_e32 v[2:3], 0x80, v[6:7]
	s_barrier_wait -1
                                        ; implicit-def: $vgpr0_vgpr1
	s_cbranch_vccz .LBB71_39
; %bb.30:                               ;   in Loop: Header=BB71_4 Depth=1
	v_lshl_add_u64 v[0:1], v[42:43], 2, v[6:7]
	v_mov_b32_e32 v9, 0
	s_delay_alu instid0(VALU_DEP_2) | instskip(NEXT) | instid1(VALU_DEP_1)
	v_lshl_add_u64 v[0:1], s[26:27], 2, v[0:1]
	v_add_nc_u64_e32 v[0:1], -4, v[0:1]
	s_delay_alu instid0(VALU_DEP_1) | instskip(NEXT) | instid1(VALU_DEP_2)
	v_dual_mov_b32 v10, 0 :: v_dual_cndmask_b32 v1, v1, v3, s11
	v_cndmask_b32_e64 v0, v0, v2, s11
	s_and_saveexec_b32 s18, s12
	s_cbranch_execz .LBB71_32
; %bb.31:                               ;   in Loop: Header=BB71_4 Depth=1
	global_load_b32 v9, v[0:1], off
.LBB71_32:                              ;   in Loop: Header=BB71_4 Depth=1
	s_wait_xcnt 0x0
	s_or_b32 exec_lo, exec_lo, s18
	s_wait_loadcnt 0x0
	ds_store_b32 v8, v9
	s_and_saveexec_b32 s18, s13
	s_cbranch_execz .LBB71_34
; %bb.33:                               ;   in Loop: Header=BB71_4 Depth=1
	v_lshl_add_u64 v[10:11], s[42:43], 2, v[0:1]
	global_load_b32 v10, v[10:11], off
.LBB71_34:                              ;   in Loop: Header=BB71_4 Depth=1
	s_wait_xcnt 0x0
	s_or_b32 exec_lo, exec_lo, s18
	v_dual_mov_b32 v9, 0 :: v_dual_mov_b32 v11, 0
	s_wait_loadcnt 0x0
	ds_store_b32 v8, v10 offset:1056
	s_and_saveexec_b32 s18, s14
	s_cbranch_execz .LBB71_36
; %bb.35:                               ;   in Loop: Header=BB71_4 Depth=1
	v_lshl_add_u64 v[10:11], s[48:49], 2, v[0:1]
	global_load_b32 v11, v[10:11], off
.LBB71_36:                              ;   in Loop: Header=BB71_4 Depth=1
	s_wait_xcnt 0x0
	s_or_b32 exec_lo, exec_lo, s18
	s_wait_loadcnt 0x0
	ds_store_b32 v8, v11 offset:2112
	s_and_saveexec_b32 s18, s15
	s_cbranch_execz .LBB71_38
; %bb.37:                               ;   in Loop: Header=BB71_4 Depth=1
	v_lshl_add_u64 v[10:11], s[50:51], 2, v[0:1]
	global_load_b32 v9, v[10:11], off
.LBB71_38:                              ;   in Loop: Header=BB71_4 Depth=1
	s_wait_xcnt 0x0
	s_or_b32 exec_lo, exec_lo, s18
	v_lshlrev_b32_e32 v22, 2, v16
	s_mov_b32 s18, 0
	s_wait_loadcnt 0x0
	ds_store_b32 v8, v9 offset:3168
	v_add_nc_u64_e32 v[0:1], v[0:1], v[22:23]
	s_delay_alu instid0(VALU_DEP_1) | instskip(NEXT) | instid1(VALU_DEP_1)
	v_lshl_add_u64 v[0:1], s[88:89], 2, v[0:1]
	v_add_nc_u64_e32 v[0:1], 0x84, v[0:1]
	s_delay_alu instid0(VALU_DEP_1)
	v_dual_cndmask_b32 v1, v1, v3, s11 :: v_dual_cndmask_b32 v0, v0, v2, s11
.LBB71_39:                              ;   in Loop: Header=BB71_4 Depth=1
	s_and_b32 vcc_lo, exec_lo, s18
	s_cbranch_vccz .LBB71_41
; %bb.40:                               ;   in Loop: Header=BB71_4 Depth=1
	v_lshl_add_u64 v[0:1], s[42:43], 2, v[6:7]
	s_delay_alu instid0(VALU_DEP_1) | instskip(NEXT) | instid1(VALU_DEP_1)
	v_add_nc_u64_e32 v[10:11], s[56:57], v[0:1]
	v_add_nc_u64_e32 v[12:13], s[56:57], v[10:11]
	s_clause 0x3
	global_load_b32 v6, v[6:7], off offset:128
	global_load_b32 v7, v[0:1], off offset:128
	;; [unrolled: 1-line block ×4, first 2 shown]
	v_mov_b64_e32 v[0:1], v[2:3]
	s_wait_loadcnt 0x3
	ds_store_b32 v8, v6
	s_wait_loadcnt 0x2
	ds_store_b32 v8, v7 offset:1056
	s_wait_loadcnt 0x1
	ds_store_b32 v8, v9 offset:2112
	;; [unrolled: 2-line block ×3, first 2 shown]
.LBB71_41:                              ;   in Loop: Header=BB71_4 Depth=1
	s_wait_dscnt 0x0
	s_barrier_signal -1
	s_barrier_wait -1
	s_wait_xcnt 0x0
	s_and_saveexec_b32 s18, s6
	s_cbranch_execnz .LBB71_126
; %bb.42:                               ;   in Loop: Header=BB71_4 Depth=1
	s_or_b32 exec_lo, exec_lo, s18
	s_and_saveexec_b32 s18, s7
	s_cbranch_execnz .LBB71_127
.LBB71_43:                              ;   in Loop: Header=BB71_4 Depth=1
	s_or_b32 exec_lo, exec_lo, s18
	s_and_saveexec_b32 s18, s8
	s_cbranch_execnz .LBB71_128
.LBB71_44:                              ;   in Loop: Header=BB71_4 Depth=1
	s_or_b32 exec_lo, exec_lo, s18
	s_and_saveexec_b32 s18, s9
	s_cbranch_execz .LBB71_46
.LBB71_45:                              ;   in Loop: Header=BB71_4 Depth=1
	ds_load_b32 v2, v145 offset:264
	s_wait_dscnt 0x0
	ds_store_b32 v118, v2 offset:12
.LBB71_46:                              ;   in Loop: Header=BB71_4 Depth=1
	s_or_b32 exec_lo, exec_lo, s18
	s_wait_dscnt 0x0
	s_barrier_signal -1
	s_barrier_wait -1
	ds_load_2addr_b32 v[2:3], v145 offset1:33
	ds_load_b32 v6, v144
	ds_load_b128 v[10:13], v119 offset:128
	ds_load_b32 v15, v145 offset:264
	s_wait_dscnt 0x0
	s_barrier_signal -1
	s_barrier_wait -1
	v_dual_mov_b32 v7, v2 :: v_dual_mov_b32 v14, v3
	s_delay_alu instid0(VALU_DEP_1) | instskip(NEXT) | instid1(VALU_DEP_2)
	v_pk_mul_f32 v[6:7], v[6:7], v[10:11]
	v_pk_mul_f32 v[2:3], v[14:15], v[12:13]
	s_delay_alu instid0(VALU_DEP_2) | instskip(NEXT) | instid1(VALU_DEP_1)
	v_add_f32_e32 v6, 0, v6
	v_add_f32_e32 v6, v6, v7
	s_delay_alu instid0(VALU_DEP_1) | instskip(NEXT) | instid1(VALU_DEP_1)
	v_add_f32_e32 v2, v6, v2
	v_add_f32_e32 v2, v2, v3
	ds_store_b32 v120, v2
	s_wait_dscnt 0x0
	s_barrier_signal -1
	s_barrier_wait -1
	s_and_saveexec_b32 s18, s16
	s_cbranch_execz .LBB71_48
; %bb.47:                               ;   in Loop: Header=BB71_4 Depth=1
	ds_load_2addr_b32 v[2:3], v117 offset1:1
	ds_load_2addr_b32 v[6:7], v117 offset0:2 offset1:3
	ds_load_2addr_b32 v[10:11], v117 offset0:4 offset1:5
	;; [unrolled: 1-line block ×3, first 2 shown]
	s_wait_dscnt 0x3
	v_add_f32_e32 v2, v2, v3
	s_wait_dscnt 0x2
	s_delay_alu instid0(VALU_DEP_1) | instskip(NEXT) | instid1(VALU_DEP_1)
	v_add_f32_e32 v2, v2, v6
	v_add_f32_e32 v2, v2, v7
	s_wait_dscnt 0x1
	s_delay_alu instid0(VALU_DEP_1) | instskip(NEXT) | instid1(VALU_DEP_1)
	v_add_f32_e32 v2, v2, v10
	;; [unrolled: 4-line block ×3, first 2 shown]
	v_add_f32_e32 v150, v2, v13
.LBB71_48:                              ;   in Loop: Header=BB71_4 Depth=1
	s_or_b32 exec_lo, exec_lo, s18
	s_mov_b64 s[18:19], 0xffffffffffffff80
	s_and_b32 vcc_lo, exec_lo, s95
	v_add_nc_u64_e32 v[2:3], s[18:19], v[0:1]
	s_mov_b32 s18, -1
	s_barrier_signal -1
	s_barrier_wait -1
                                        ; implicit-def: $vgpr6_vgpr7
	s_cbranch_vccz .LBB71_58
; %bb.49:                               ;   in Loop: Header=BB71_4 Depth=1
	v_lshl_add_u64 v[6:7], v[42:43], 2, v[0:1]
	v_mov_b32_e32 v9, 0
	s_delay_alu instid0(VALU_DEP_2) | instskip(NEXT) | instid1(VALU_DEP_1)
	v_lshl_add_u64 v[6:7], s[26:27], 2, v[6:7]
	v_add_nc_u64_e32 v[6:7], s[82:83], v[6:7]
	s_delay_alu instid0(VALU_DEP_1) | instskip(NEXT) | instid1(VALU_DEP_2)
	v_dual_mov_b32 v10, 0 :: v_dual_cndmask_b32 v7, v7, v3, s1
	v_cndmask_b32_e64 v6, v6, v2, s1
	s_and_saveexec_b32 s18, s12
	s_cbranch_execz .LBB71_51
; %bb.50:                               ;   in Loop: Header=BB71_4 Depth=1
	global_load_b32 v9, v[6:7], off
.LBB71_51:                              ;   in Loop: Header=BB71_4 Depth=1
	s_wait_xcnt 0x0
	s_or_b32 exec_lo, exec_lo, s18
	s_wait_loadcnt 0x0
	ds_store_b32 v8, v9
	s_and_saveexec_b32 s18, s13
	s_cbranch_execz .LBB71_53
; %bb.52:                               ;   in Loop: Header=BB71_4 Depth=1
	v_lshl_add_u64 v[10:11], s[42:43], 2, v[6:7]
	global_load_b32 v10, v[10:11], off
.LBB71_53:                              ;   in Loop: Header=BB71_4 Depth=1
	s_wait_xcnt 0x0
	s_or_b32 exec_lo, exec_lo, s18
	v_dual_mov_b32 v9, 0 :: v_dual_mov_b32 v11, 0
	s_wait_loadcnt 0x0
	ds_store_b32 v8, v10 offset:1056
	s_and_saveexec_b32 s18, s14
	s_cbranch_execz .LBB71_55
; %bb.54:                               ;   in Loop: Header=BB71_4 Depth=1
	v_lshl_add_u64 v[10:11], s[48:49], 2, v[6:7]
	global_load_b32 v11, v[10:11], off
.LBB71_55:                              ;   in Loop: Header=BB71_4 Depth=1
	s_wait_xcnt 0x0
	s_or_b32 exec_lo, exec_lo, s18
	s_wait_loadcnt 0x0
	ds_store_b32 v8, v11 offset:2112
	s_and_saveexec_b32 s18, s15
	s_cbranch_execz .LBB71_57
; %bb.56:                               ;   in Loop: Header=BB71_4 Depth=1
	v_lshl_add_u64 v[10:11], s[50:51], 2, v[6:7]
	global_load_b32 v9, v[10:11], off
.LBB71_57:                              ;   in Loop: Header=BB71_4 Depth=1
	s_wait_xcnt 0x0
	s_or_b32 exec_lo, exec_lo, s18
	v_lshlrev_b32_e32 v22, 2, v16
	s_mov_b32 s18, 0
	s_wait_loadcnt 0x0
	ds_store_b32 v8, v9 offset:3168
	v_add_nc_u64_e32 v[6:7], v[6:7], v[22:23]
	s_delay_alu instid0(VALU_DEP_1) | instskip(NEXT) | instid1(VALU_DEP_1)
	v_lshl_add_u64 v[6:7], s[88:89], 2, v[6:7]
	v_add_nc_u64_e32 v[6:7], 4, v[6:7]
	s_delay_alu instid0(VALU_DEP_1)
	v_dual_cndmask_b32 v7, v7, v3, s1 :: v_dual_cndmask_b32 v6, v6, v2, s1
.LBB71_58:                              ;   in Loop: Header=BB71_4 Depth=1
	s_and_b32 vcc_lo, exec_lo, s18
	s_cbranch_vccz .LBB71_60
; %bb.59:                               ;   in Loop: Header=BB71_4 Depth=1
	v_lshl_add_u64 v[6:7], s[42:43], 2, v[0:1]
	s_delay_alu instid0(VALU_DEP_1) | instskip(NEXT) | instid1(VALU_DEP_1)
	v_add_nc_u64_e32 v[10:11], s[56:57], v[6:7]
	v_add_nc_u64_e32 v[12:13], s[56:57], v[10:11]
	s_clause 0x3
	global_load_b32 v0, v[0:1], off offset:-128
	global_load_b32 v1, v[6:7], off offset:-128
	;; [unrolled: 1-line block ×4, first 2 shown]
	v_mov_b64_e32 v[6:7], v[2:3]
	s_wait_loadcnt 0x3
	ds_store_b32 v8, v0
	s_wait_loadcnt 0x2
	ds_store_b32 v8, v1 offset:1056
	s_wait_loadcnt 0x1
	ds_store_b32 v8, v9 offset:2112
	;; [unrolled: 2-line block ×3, first 2 shown]
.LBB71_60:                              ;   in Loop: Header=BB71_4 Depth=1
	v_dual_add_nc_u32 v9, v118, v122 :: v_dual_add_nc_u32 v8, v119, v122
	s_wait_dscnt 0x0
	s_barrier_signal -1
	s_barrier_wait -1
	ds_load_2addr_b32 v[0:1], v141 offset0:8 offset1:16
	ds_load_2addr_b32 v[2:3], v142 offset0:8 offset1:16
	ds_load_b32 v8, v8
	s_wait_xcnt 0x0
	ds_load_b32 v12, v9
	ds_load_b32 v15, v141 offset:96
	ds_load_b32 v51, v142 offset:96
	;; [unrolled: 1-line block ×3, first 2 shown]
	ds_load_b32 v11, v144
	s_wait_dscnt 0x6
	v_dual_mov_b32 v13, v0 :: v_dual_mov_b32 v9, v2
	v_dual_mov_b32 v14, v1 :: v_dual_mov_b32 v50, v3
	s_wait_dscnt 0x4
	s_delay_alu instid0(VALU_DEP_2)
	v_pk_mul_f32 v[12:13], v[12:13], v[8:9]
	ds_load_2addr_b32 v[8:9], v145 offset1:33
	ds_load_b128 v[0:3], v119 offset:128
	s_wait_dscnt 0x4
	v_pk_mul_f32 v[14:15], v[14:15], v[50:51]
	s_wait_dscnt 0x0
	s_barrier_signal -1
	v_add_f32_e32 v12, 0, v12
	s_barrier_wait -1
	s_delay_alu instid0(VALU_DEP_1) | instskip(NEXT) | instid1(VALU_DEP_1)
	v_add_f32_e32 v12, v12, v13
	v_add_f32_e32 v12, v12, v14
	s_delay_alu instid0(VALU_DEP_1)
	v_add_f32_e32 v12, v12, v15
	ds_store_b32 v120, v12
	s_wait_dscnt 0x0
	s_barrier_signal -1
	s_barrier_wait -1
	s_and_saveexec_b32 s18, s16
	s_cbranch_execz .LBB71_62
; %bb.61:                               ;   in Loop: Header=BB71_4 Depth=1
	ds_load_2addr_b32 v[12:13], v117 offset1:1
	ds_load_2addr_b32 v[14:15], v117 offset0:2 offset1:3
	ds_load_2addr_b32 v[50:51], v117 offset0:4 offset1:5
	;; [unrolled: 1-line block ×3, first 2 shown]
	s_wait_dscnt 0x3
	v_add_f32_e32 v12, v150, v12
	s_delay_alu instid0(VALU_DEP_1) | instskip(SKIP_1) | instid1(VALU_DEP_1)
	v_add_f32_e32 v12, v12, v13
	s_wait_dscnt 0x2
	v_add_f32_e32 v12, v12, v14
	s_delay_alu instid0(VALU_DEP_1) | instskip(SKIP_1) | instid1(VALU_DEP_1)
	v_add_f32_e32 v12, v12, v15
	;; [unrolled: 4-line block ×3, first 2 shown]
	s_wait_dscnt 0x0
	v_add_f32_e32 v12, v12, v52
	s_delay_alu instid0(VALU_DEP_1)
	v_add_f32_e32 v150, v12, v53
.LBB71_62:                              ;   in Loop: Header=BB71_4 Depth=1
	s_or_b32 exec_lo, exec_lo, s18
	v_fma_f32 v0, v11, v0, 0
	s_barrier_signal -1
	s_barrier_wait -1
	s_delay_alu instid0(VALU_DEP_1) | instskip(NEXT) | instid1(VALU_DEP_1)
	v_fmac_f32_e32 v0, v8, v1
	v_fmac_f32_e32 v0, v9, v2
	s_delay_alu instid0(VALU_DEP_1)
	v_fmac_f32_e32 v0, v10, v3
	ds_store_b32 v120, v0
	s_wait_dscnt 0x0
	s_barrier_signal -1
	s_barrier_wait -1
	s_and_saveexec_b32 s18, s10
	s_cbranch_execz .LBB71_64
; %bb.63:                               ;   in Loop: Header=BB71_4 Depth=1
	ds_load_2addr_b32 v[0:1], v117 offset1:1
	ds_load_2addr_b32 v[2:3], v117 offset0:2 offset1:3
	ds_load_2addr_b32 v[8:9], v117 offset0:4 offset1:5
	ds_load_2addr_b32 v[10:11], v117 offset0:6 offset1:7
	s_wait_dscnt 0x3
	v_add_f32_e32 v0, v150, v0
	s_delay_alu instid0(VALU_DEP_1) | instskip(SKIP_1) | instid1(VALU_DEP_1)
	v_add_f32_e32 v0, v0, v1
	s_wait_dscnt 0x2
	v_add_f32_e32 v0, v0, v2
	s_delay_alu instid0(VALU_DEP_1) | instskip(SKIP_1) | instid1(VALU_DEP_1)
	v_add_f32_e32 v0, v0, v3
	;; [unrolled: 4-line block ×3, first 2 shown]
	s_wait_dscnt 0x0
	v_add_f32_e32 v0, v0, v10
	s_delay_alu instid0(VALU_DEP_1)
	v_add_f32_e32 v150, v0, v11
.LBB71_64:                              ;   in Loop: Header=BB71_4 Depth=1
	s_or_b32 exec_lo, exec_lo, s18
	s_mul_u64 s[18:19], s[24:25], s[34:35]
	s_and_not1_b32 vcc_lo, exec_lo, s45
	s_lshl_b64 s[18:19], s[18:19], 2
	s_delay_alu instid0(SALU_CYCLE_1)
	s_add_nc_u64 s[18:19], s[30:31], s[18:19]
	s_barrier_signal -1
	s_barrier_wait -1
	s_cbranch_vccnz .LBB71_121
; %bb.65:                               ;   in Loop: Header=BB71_4 Depth=1
	v_add_nc_u64_e32 v[52:53], s[58:59], v[6:7]
	v_add_nc_u64_e32 v[54:55], v[6:7], v[30:31]
	v_add_nc_u64_e32 v[56:57], s[60:61], v[6:7]
	v_add_nc_u64_e32 v[58:59], s[62:63], v[6:7]
	v_add_nc_u64_e32 v[60:61], s[64:65], v[6:7]
	v_add_nc_u64_e32 v[62:63], s[66:67], v[6:7]
	v_add_nc_u64_e32 v[64:65], s[68:69], v[6:7]
	v_add_nc_u64_e32 v[66:67], s[70:71], v[6:7]
	v_add_nc_u64_e32 v[68:69], s[72:73], v[6:7]
	v_add_nc_u64_e32 v[70:71], s[74:75], v[6:7]
	v_add_nc_u64_e32 v[72:73], v[6:7], v[32:33]
	v_add_nc_u64_e32 v[74:75], s[76:77], v[6:7]
	v_add_nc_u64_e32 v[76:77], s[78:79], v[6:7]
	v_add_nc_u64_e32 v[78:79], s[84:85], v[6:7]
	v_add_nc_u64_e32 v[80:81], s[86:87], v[6:7]
	v_add_nc_u64_e32 v[82:83], s[80:81], v[6:7]
	v_add_nc_u64_e32 v[84:85], v[6:7], v[36:37]
	v_add_nc_u64_e32 v[86:87], v[6:7], v[40:41]
	v_add_nc_u64_e32 v[88:89], v[6:7], v[44:45]
	v_add_nc_u64_e32 v[90:91], v[6:7], v[46:47]
	v_add_nc_u64_e32 v[92:93], v[6:7], v[48:49]
	v_add_nc_u64_e32 v[94:95], v[6:7], v[38:39]
	v_add_nc_u64_e32 v[96:97], v[6:7], v[34:35]
	v_lshl_add_u64 v[50:51], s[54:55], 2, v[4:5]
	v_lshl_add_u64 v[98:99], s[52:53], 2, v[6:7]
	v_mov_b32_e32 v22, v17
	s_mov_b32 s92, s99
	s_mov_b32 s100, s46
	s_delay_alu instid0(SALU_CYCLE_1)
	s_cmp_eq_u32 s47, s100
	s_cselect_b32 s101, s94, 0
	s_and_saveexec_b32 s102, s0
	s_cbranch_execz .LBB71_69
.LBB71_66:                              ;   in Loop: Header=BB71_4 Depth=1
	v_cmp_gt_i32_e32 vcc_lo, s101, v112
	s_cmp_eq_u32 s101, 0
	v_mov_b32_e32 v0, 0
	s_cselect_b32 s93, -1, 0
	s_delay_alu instid0(SALU_CYCLE_1) | instskip(NEXT) | instid1(SALU_CYCLE_1)
	s_or_b32 s93, s93, vcc_lo
	s_and_saveexec_b32 s103, s93
	s_cbranch_execz .LBB71_68
; %bb.67:                               ;   in Loop: Header=BB71_4 Depth=1
	s_ashr_i32 s93, s92, 31
	s_delay_alu instid0(SALU_CYCLE_1)
	v_lshl_add_u64 v[0:1], s[92:93], 2, v[50:51]
	global_load_b32 v0, v[0:1], off
.LBB71_68:                              ;   in Loop: Header=BB71_4 Depth=1
	s_wait_xcnt 0x0
	s_or_b32 exec_lo, exec_lo, s103
	s_wait_loadcnt 0x0
	ds_store_b32 v123, v0
.LBB71_69:                              ;   Parent Loop BB71_4 Depth=1
                                        ; =>  This Inner Loop Header: Depth=2
	s_or_b32 exec_lo, exec_lo, s102
	s_cmp_eq_u32 s101, 0
	v_add_nc_u64_e32 v[0:1], v[98:99], v[28:29]
	s_cselect_b32 s93, -1, 0
	s_cmp_lg_u32 s101, 0
	s_mov_b32 s103, -1
	s_cselect_b32 s102, -1, 0
	s_wait_dscnt 0x0
	s_and_b32 vcc_lo, exec_lo, s102
	s_barrier_signal -1
	s_barrier_wait -1
                                        ; implicit-def: $vgpr153
                                        ; implicit-def: $vgpr154
                                        ; implicit-def: $vgpr151
                                        ; implicit-def: $vgpr152
	s_cbranch_vccz .LBB71_79
; %bb.70:                               ;   in Loop: Header=BB71_69 Depth=2
	v_dual_mov_b32 v151, 0 :: v_dual_mov_b32 v152, 0
	s_mov_b32 s103, exec_lo
	v_cmpx_gt_i32_e64 s101, v121
	s_cbranch_execz .LBB71_72
; %bb.71:                               ;   in Loop: Header=BB71_69 Depth=2
	global_load_b32 v152, v[0:1], off
.LBB71_72:                              ;   in Loop: Header=BB71_69 Depth=2
	s_wait_xcnt 0x0
	s_or_b32 exec_lo, exec_lo, s103
	s_delay_alu instid0(SALU_CYCLE_1)
	s_mov_b32 s103, exec_lo
	v_cmpx_gt_i32_e64 s101, v129
	s_cbranch_execz .LBB71_74
; %bb.73:                               ;   in Loop: Header=BB71_69 Depth=2
	v_add_nc_u64_e32 v[2:3], v[56:57], v[28:29]
	global_load_b32 v151, v[2:3], off
.LBB71_74:                              ;   in Loop: Header=BB71_69 Depth=2
	s_wait_xcnt 0x0
	s_or_b32 exec_lo, exec_lo, s103
	v_dual_mov_b32 v153, 0 :: v_dual_mov_b32 v154, 0
	s_mov_b32 s103, exec_lo
	v_cmpx_gt_i32_e64 s101, v130
	s_cbranch_execz .LBB71_76
; %bb.75:                               ;   in Loop: Header=BB71_69 Depth=2
	v_add_nc_u64_e32 v[2:3], v[58:59], v[28:29]
	global_load_b32 v154, v[2:3], off
.LBB71_76:                              ;   in Loop: Header=BB71_69 Depth=2
	s_wait_xcnt 0x0
	s_or_b32 exec_lo, exec_lo, s103
	s_delay_alu instid0(SALU_CYCLE_1)
	s_mov_b32 s103, exec_lo
	v_cmpx_gt_i32_e64 s101, v131
	s_cbranch_execz .LBB71_78
; %bb.77:                               ;   in Loop: Header=BB71_69 Depth=2
	v_add_nc_u64_e32 v[2:3], v[60:61], v[28:29]
	global_load_b32 v153, v[2:3], off
.LBB71_78:                              ;   in Loop: Header=BB71_69 Depth=2
	s_wait_xcnt 0x0
	s_or_b32 exec_lo, exec_lo, s103
	s_mov_b32 s103, 0
.LBB71_79:                              ;   in Loop: Header=BB71_69 Depth=2
	s_delay_alu instid0(SALU_CYCLE_1)
	s_and_b32 vcc_lo, exec_lo, s103
	s_cbranch_vccz .LBB71_81
; %bb.80:                               ;   in Loop: Header=BB71_69 Depth=2
	v_add_nc_u64_e32 v[2:3], v[56:57], v[28:29]
	v_add_nc_u64_e32 v[4:5], v[52:53], v[28:29]
	;; [unrolled: 1-line block ×3, first 2 shown]
	s_wait_loadcnt 0x0
	global_load_b32 v152, v[0:1], off
	global_load_b32 v151, v[2:3], off
	;; [unrolled: 1-line block ×4, first 2 shown]
.LBB71_81:                              ;   in Loop: Header=BB71_69 Depth=2
	s_wait_xcnt 0x1
	ds_load_b32 v4, v114
	ds_load_b128 v[0:3], v124
	v_cndmask_b32_e64 v12, 0, 1, s102
	s_and_not1_b32 vcc_lo, exec_lo, s102
	s_mov_b32 s102, -1
                                        ; implicit-def: $vgpr158
                                        ; implicit-def: $vgpr157
                                        ; implicit-def: $vgpr156
                                        ; implicit-def: $vgpr155
	s_wait_loadcnt_dscnt 0x1
	s_wait_xcnt 0x0
	v_dual_mul_f32 v5, v152, v4 :: v_dual_mul_f32 v6, v151, v4
	v_dual_mul_f32 v7, v154, v4 :: v_dual_mul_f32 v4, v153, v4
	ds_store_2addr_b32 v125, v5, v6 offset1:67
	ds_store_2addr_b32 v125, v7, v4 offset0:134 offset1:201
	s_wait_dscnt 0x0
	s_barrier_signal -1
	s_barrier_wait -1
	ds_load_2addr_b32 v[102:103], v143 offset1:1
	ds_load_2addr_b32 v[100:101], v143 offset0:2 offset1:3
	v_add_nc_u64_e32 v[4:5], v[62:63], v[28:29]
	s_wait_dscnt 0x0
	s_barrier_signal -1
	s_barrier_wait -1
	s_cbranch_vccnz .LBB71_91
; %bb.82:                               ;   in Loop: Header=BB71_69 Depth=2
	v_dual_mov_b32 v156, 0 :: v_dual_mov_b32 v155, 0
	s_mov_b32 s102, exec_lo
	v_cmpx_gt_i32_e64 s101, v132
	s_cbranch_execz .LBB71_84
; %bb.83:                               ;   in Loop: Header=BB71_69 Depth=2
	global_load_b32 v155, v[4:5], off
.LBB71_84:                              ;   in Loop: Header=BB71_69 Depth=2
	s_wait_xcnt 0x0
	s_or_b32 exec_lo, exec_lo, s102
	s_delay_alu instid0(SALU_CYCLE_1)
	s_mov_b32 s102, exec_lo
	v_cmpx_gt_i32_e64 s101, v133
	s_cbranch_execz .LBB71_86
; %bb.85:                               ;   in Loop: Header=BB71_69 Depth=2
	v_add_nc_u64_e32 v[6:7], v[64:65], v[28:29]
	global_load_b32 v156, v[6:7], off
.LBB71_86:                              ;   in Loop: Header=BB71_69 Depth=2
	s_wait_xcnt 0x0
	s_or_b32 exec_lo, exec_lo, s102
	v_dual_mov_b32 v158, 0 :: v_dual_mov_b32 v157, 0
	s_mov_b32 s102, exec_lo
	v_cmpx_gt_i32_e64 s101, v134
	s_cbranch_execz .LBB71_88
; %bb.87:                               ;   in Loop: Header=BB71_69 Depth=2
	v_add_nc_u64_e32 v[6:7], v[66:67], v[28:29]
	global_load_b32 v157, v[6:7], off
.LBB71_88:                              ;   in Loop: Header=BB71_69 Depth=2
	s_wait_xcnt 0x0
	s_or_b32 exec_lo, exec_lo, s102
	s_delay_alu instid0(SALU_CYCLE_1)
	s_mov_b32 s102, exec_lo
	v_cmpx_gt_i32_e64 s101, v135
	s_cbranch_execz .LBB71_90
; %bb.89:                               ;   in Loop: Header=BB71_69 Depth=2
	v_add_nc_u64_e32 v[6:7], v[68:69], v[28:29]
	global_load_b32 v158, v[6:7], off
.LBB71_90:                              ;   in Loop: Header=BB71_69 Depth=2
	s_wait_xcnt 0x0
	s_or_b32 exec_lo, exec_lo, s102
	s_mov_b32 s102, 0
.LBB71_91:                              ;   in Loop: Header=BB71_69 Depth=2
	s_delay_alu instid0(SALU_CYCLE_1)
	s_and_b32 vcc_lo, exec_lo, s102
	s_cbranch_vccz .LBB71_93
; %bb.92:                               ;   in Loop: Header=BB71_69 Depth=2
	s_wait_loadcnt 0x0
	global_load_b32 v155, v[4:5], off
	s_wait_xcnt 0x0
	v_add_nc_u64_e32 v[4:5], v[64:65], v[28:29]
	global_load_b32 v156, v[4:5], off
	s_wait_xcnt 0x0
	v_add_nc_u64_e32 v[4:5], v[70:71], v[28:29]
	;; [unrolled: 3-line block ×3, first 2 shown]
	global_load_b32 v158, v[4:5], off
.LBB71_93:                              ;   in Loop: Header=BB71_69 Depth=2
	ds_load_b32 v8, v114
	s_wait_xcnt 0x0
	ds_load_b128 v[4:7], v124 offset:64
	v_cmp_ne_u32_e32 vcc_lo, 1, v12
	s_mov_b32 s102, -1
                                        ; implicit-def: $vgpr160
                                        ; implicit-def: $vgpr162
                                        ; implicit-def: $vgpr159
                                        ; implicit-def: $vgpr161
	s_and_b32 vcc_lo, exec_lo, vcc_lo
	s_wait_loadcnt_dscnt 0x1
	v_dual_mul_f32 v9, v155, v8 :: v_dual_mul_f32 v10, v156, v8
	v_dual_mul_f32 v11, v157, v8 :: v_dual_mul_f32 v8, v158, v8
	ds_store_2addr_b32 v125, v9, v10 offset1:67
	ds_store_2addr_b32 v125, v11, v8 offset0:134 offset1:201
	s_wait_dscnt 0x0
	s_barrier_signal -1
	s_barrier_wait -1
	ds_load_2addr_b32 v[106:107], v143 offset1:1
	ds_load_2addr_b32 v[104:105], v143 offset0:2 offset1:3
	v_add_nc_u64_e32 v[8:9], v[74:75], v[28:29]
	s_wait_dscnt 0x0
	s_barrier_signal -1
	s_barrier_wait -1
	s_cbranch_vccnz .LBB71_103
; %bb.94:                               ;   in Loop: Header=BB71_69 Depth=2
	v_dual_mov_b32 v159, 0 :: v_dual_mov_b32 v161, 0
	s_mov_b32 s102, exec_lo
	v_cmpx_gt_i32_e64 s101, v136
	s_cbranch_execz .LBB71_96
; %bb.95:                               ;   in Loop: Header=BB71_69 Depth=2
	global_load_b32 v161, v[8:9], off
.LBB71_96:                              ;   in Loop: Header=BB71_69 Depth=2
	s_wait_xcnt 0x0
	s_or_b32 exec_lo, exec_lo, s102
	s_delay_alu instid0(SALU_CYCLE_1)
	s_mov_b32 s102, exec_lo
	v_cmpx_gt_i32_e64 s101, v137
	s_cbranch_execz .LBB71_98
; %bb.97:                               ;   in Loop: Header=BB71_69 Depth=2
	v_add_nc_u64_e32 v[10:11], v[76:77], v[28:29]
	global_load_b32 v159, v[10:11], off
.LBB71_98:                              ;   in Loop: Header=BB71_69 Depth=2
	s_wait_xcnt 0x0
	s_or_b32 exec_lo, exec_lo, s102
	v_dual_mov_b32 v160, 0 :: v_dual_mov_b32 v162, 0
	s_mov_b32 s102, exec_lo
	v_cmpx_gt_i32_e64 s101, v138
	s_cbranch_execz .LBB71_100
; %bb.99:                               ;   in Loop: Header=BB71_69 Depth=2
	v_add_nc_u64_e32 v[10:11], v[78:79], v[28:29]
	global_load_b32 v162, v[10:11], off
.LBB71_100:                             ;   in Loop: Header=BB71_69 Depth=2
	s_wait_xcnt 0x0
	s_or_b32 exec_lo, exec_lo, s102
	s_delay_alu instid0(SALU_CYCLE_1)
	s_mov_b32 s102, exec_lo
	v_cmpx_gt_i32_e64 s101, v139
	s_cbranch_execz .LBB71_102
; %bb.101:                              ;   in Loop: Header=BB71_69 Depth=2
	v_add_nc_u64_e32 v[10:11], v[80:81], v[28:29]
	global_load_b32 v160, v[10:11], off
.LBB71_102:                             ;   in Loop: Header=BB71_69 Depth=2
	s_wait_xcnt 0x0
	s_or_b32 exec_lo, exec_lo, s102
	s_mov_b32 s102, 0
.LBB71_103:                             ;   in Loop: Header=BB71_69 Depth=2
	s_delay_alu instid0(SALU_CYCLE_1)
	s_and_b32 vcc_lo, exec_lo, s102
	s_cbranch_vccz .LBB71_105
; %bb.104:                              ;   in Loop: Header=BB71_69 Depth=2
	v_add_nc_u64_e32 v[10:11], v[76:77], v[28:29]
	v_add_nc_u64_e32 v[14:15], v[82:83], v[28:29]
	;; [unrolled: 1-line block ×3, first 2 shown]
	s_wait_loadcnt 0x0
	global_load_b32 v161, v[8:9], off
	global_load_b32 v159, v[10:11], off
	;; [unrolled: 1-line block ×4, first 2 shown]
.LBB71_105:                             ;   in Loop: Header=BB71_69 Depth=2
	s_wait_xcnt 0x3
	ds_load_b32 v8, v114
	v_cmp_ne_u32_e32 vcc_lo, 1, v12
	s_mov_b32 s102, -1
                                        ; implicit-def: $vgpr165
                                        ; implicit-def: $vgpr166
                                        ; implicit-def: $vgpr163
                                        ; implicit-def: $vgpr164
	s_and_b32 vcc_lo, exec_lo, vcc_lo
	s_wait_loadcnt_dscnt 0x0
	s_wait_xcnt 0x1
	v_dual_mul_f32 v13, v161, v8 :: v_dual_mul_f32 v14, v159, v8
	s_wait_xcnt 0x0
	v_dual_mul_f32 v15, v162, v8 :: v_dual_mul_f32 v108, v160, v8
	ds_load_b128 v[8:11], v124 offset:128
	ds_store_2addr_b32 v125, v13, v14 offset1:67
	ds_store_2addr_b32 v125, v15, v108 offset0:134 offset1:201
	s_wait_dscnt 0x0
	s_barrier_signal -1
	s_barrier_wait -1
	ds_load_2addr_b32 v[110:111], v143 offset1:1
	ds_load_2addr_b32 v[108:109], v143 offset0:2 offset1:3
	v_add_nc_u64_e32 v[12:13], v[86:87], v[26:27]
	s_wait_dscnt 0x0
	s_barrier_signal -1
	s_barrier_wait -1
	s_cbranch_vccnz .LBB71_115
; %bb.106:                              ;   in Loop: Header=BB71_69 Depth=2
	v_dual_mov_b32 v163, 0 :: v_dual_mov_b32 v164, 0
	s_mov_b32 s102, exec_lo
	v_cmpx_gt_i32_e64 s101, v146
	s_cbranch_execz .LBB71_108
; %bb.107:                              ;   in Loop: Header=BB71_69 Depth=2
	global_load_b32 v164, v[12:13], off
.LBB71_108:                             ;   in Loop: Header=BB71_69 Depth=2
	s_wait_xcnt 0x0
	s_or_b32 exec_lo, exec_lo, s102
	s_delay_alu instid0(SALU_CYCLE_1)
	s_mov_b32 s102, exec_lo
	v_cmpx_gt_i32_e64 s101, v147
	s_cbranch_execz .LBB71_110
; %bb.109:                              ;   in Loop: Header=BB71_69 Depth=2
	v_add_nc_u64_e32 v[14:15], v[88:89], v[26:27]
	global_load_b32 v163, v[14:15], off
.LBB71_110:                             ;   in Loop: Header=BB71_69 Depth=2
	s_wait_xcnt 0x0
	s_or_b32 exec_lo, exec_lo, s102
	v_dual_mov_b32 v165, 0 :: v_dual_mov_b32 v166, 0
	s_mov_b32 s102, exec_lo
	v_cmpx_gt_i32_e64 s101, v148
	s_cbranch_execz .LBB71_112
; %bb.111:                              ;   in Loop: Header=BB71_69 Depth=2
	v_add_nc_u64_e32 v[14:15], v[90:91], v[26:27]
	global_load_b32 v166, v[14:15], off
.LBB71_112:                             ;   in Loop: Header=BB71_69 Depth=2
	s_wait_xcnt 0x0
	s_or_b32 exec_lo, exec_lo, s102
	s_delay_alu instid0(SALU_CYCLE_1)
	s_mov_b32 s102, exec_lo
	v_cmpx_gt_i32_e64 s101, v149
	s_cbranch_execz .LBB71_114
; %bb.113:                              ;   in Loop: Header=BB71_69 Depth=2
	v_add_nc_u64_e32 v[14:15], v[92:93], v[26:27]
	global_load_b32 v165, v[14:15], off
.LBB71_114:                             ;   in Loop: Header=BB71_69 Depth=2
	s_wait_xcnt 0x0
	s_or_b32 exec_lo, exec_lo, s102
	s_mov_b32 s102, 0
.LBB71_115:                             ;   in Loop: Header=BB71_69 Depth=2
	s_delay_alu instid0(SALU_CYCLE_1)
	s_and_b32 vcc_lo, exec_lo, s102
	s_cbranch_vccz .LBB71_117
; %bb.116:                              ;   in Loop: Header=BB71_69 Depth=2
	v_add_nc_u64_e32 v[14:15], v[88:89], v[26:27]
	s_wait_loadcnt 0x0
	v_add_nc_u64_e32 v[166:167], v[94:95], v[26:27]
	v_add_nc_u64_e32 v[168:169], v[96:97], v[26:27]
	global_load_b32 v164, v[12:13], off
	global_load_b32 v163, v[14:15], off
	;; [unrolled: 1-line block ×4, first 2 shown]
.LBB71_117:                             ;   in Loop: Header=BB71_69 Depth=2
	s_wait_xcnt 0x1
	ds_load_b32 v167, v114
	ds_load_b128 v[12:15], v124 offset:192
	v_cmp_gt_i32_e32 vcc_lo, s101, v112
	s_or_b32 s93, s93, vcc_lo
	s_delay_alu instid0(SALU_CYCLE_1)
	s_and_b32 s101, s17, s93
	s_wait_loadcnt_dscnt 0x1
	s_wait_xcnt 0x0
	v_dual_mul_f32 v168, v164, v167 :: v_dual_mul_f32 v169, v163, v167
	v_dual_mul_f32 v170, v166, v167 :: v_dual_mul_f32 v167, v165, v167
	ds_store_2addr_b32 v125, v168, v169 offset1:67
	ds_store_2addr_b32 v125, v170, v167 offset0:134 offset1:201
	s_wait_dscnt 0x0
	s_barrier_signal -1
	s_barrier_wait -1
	ds_load_2addr_b32 v[168:169], v143 offset1:1
	ds_load_2addr_b32 v[170:171], v143 offset0:2 offset1:3
	v_add_f32_e32 v110, 0, v110
	s_wait_dscnt 0x0
	s_barrier_signal -1
	s_barrier_wait -1
	v_dual_add_f32 v167, 0, v168 :: v_dual_add_f32 v106, 0, v106
	v_dual_add_f32 v110, v110, v111 :: v_dual_add_f32 v102, 0, v102
	s_delay_alu instid0(VALU_DEP_2) | instskip(NEXT) | instid1(VALU_DEP_2)
	v_add_f32_e32 v106, v106, v107
	v_dual_add_f32 v102, v102, v103 :: v_dual_add_f32 v103, v167, v169
	s_delay_alu instid0(VALU_DEP_3) | instskip(NEXT) | instid1(VALU_DEP_3)
	v_add_f32_e32 v107, v110, v108
	v_add_f32_e32 v104, v106, v104
	s_delay_alu instid0(VALU_DEP_3) | instskip(NEXT) | instid1(VALU_DEP_3)
	v_dual_add_f32 v100, v102, v100 :: v_dual_add_f32 v102, v103, v170
	v_add_f32_e32 v103, v107, v109
	s_delay_alu instid0(VALU_DEP_3) | instskip(NEXT) | instid1(VALU_DEP_3)
	v_add_f32_e32 v104, v104, v105
	v_dual_add_f32 v100, v100, v101 :: v_dual_add_f32 v101, v102, v171
	ds_store_2addr_b32 v126, v100, v104 offset1:16
	ds_store_2addr_b32 v126, v103, v101 offset0:32 offset1:48
	s_wait_dscnt 0x0
	s_barrier_signal -1
	s_barrier_wait -1
	s_and_saveexec_b32 s93, s101
	s_cbranch_execz .LBB71_119
; %bb.118:                              ;   in Loop: Header=BB71_69 Depth=2
	ds_load_2addr_b32 v[100:101], v127 offset1:1
	ds_load_2addr_b32 v[102:103], v127 offset0:2 offset1:3
	ds_load_2addr_b32 v[104:105], v127 offset0:4 offset1:5
	;; [unrolled: 1-line block ×3, first 2 shown]
	s_wait_dscnt 0x3
	v_add_f32_e32 v100, v100, v101
	s_wait_dscnt 0x2
	s_delay_alu instid0(VALU_DEP_1) | instskip(NEXT) | instid1(VALU_DEP_1)
	v_add_f32_e32 v100, v100, v102
	v_add_f32_e32 v102, v100, v103
	ds_load_2addr_b32 v[100:101], v127 offset0:8 offset1:9
	s_wait_dscnt 0x2
	v_add_f32_e32 v102, v102, v104
	s_delay_alu instid0(VALU_DEP_1) | instskip(SKIP_3) | instid1(VALU_DEP_1)
	v_add_f32_e32 v104, v102, v105
	ds_load_2addr_b32 v[102:103], v127 offset0:10 offset1:11
	s_wait_dscnt 0x2
	v_add_f32_e32 v104, v104, v106
	v_add_f32_e32 v106, v104, v107
	ds_load_2addr_b32 v[104:105], v127 offset0:12 offset1:13
	ds_load_b32 v107, v127 offset:56
	s_wait_dscnt 0x3
	v_add_f32_e32 v100, v106, v100
	s_delay_alu instid0(VALU_DEP_1) | instskip(SKIP_3) | instid1(VALU_DEP_1)
	v_add_f32_e32 v100, v100, v101
	ds_load_b32 v101, v128
	s_wait_dscnt 0x3
	v_add_f32_e32 v100, v100, v102
	v_add_f32_e32 v100, v100, v103
	s_wait_dscnt 0x2
	s_delay_alu instid0(VALU_DEP_1) | instskip(NEXT) | instid1(VALU_DEP_1)
	v_add_f32_e32 v100, v100, v104
	v_add_f32_e32 v100, v100, v105
	s_wait_dscnt 0x1
	s_delay_alu instid0(VALU_DEP_1) | instskip(SKIP_1) | instid1(VALU_DEP_1)
	v_add_f32_e32 v100, v100, v107
	s_wait_dscnt 0x0
	v_add_f32_e32 v100, v100, v101
	global_store_b32 v22, v100, s[18:19] scale_offset
.LBB71_119:                             ;   in Loop: Header=BB71_69 Depth=2
	s_wait_xcnt 0x0
	s_or_b32 exec_lo, exec_lo, s93
	v_dual_fmac_f32 v150, v152, v0 :: v_dual_add_nc_u32 v22, 64, v22
	v_add_nc_u64_e32 v[98:99], s[90:91], v[98:99]
	v_add_nc_u64_e32 v[52:53], s[90:91], v[52:53]
	v_add_nc_u64_e32 v[54:55], s[90:91], v[54:55]
	s_delay_alu instid0(VALU_DEP_4)
	v_fmac_f32_e32 v150, v151, v1
	v_add_nc_u64_e32 v[56:57], s[90:91], v[56:57]
	v_add_nc_u64_e32 v[58:59], s[90:91], v[58:59]
	v_add_nc_u64_e32 v[60:61], s[90:91], v[60:61]
	v_add_nc_u64_e32 v[62:63], s[90:91], v[62:63]
	v_fmac_f32_e32 v150, v154, v2
	v_add_nc_u64_e32 v[64:65], s[90:91], v[64:65]
	v_add_nc_u64_e32 v[66:67], s[90:91], v[66:67]
	v_add_nc_u64_e32 v[68:69], s[90:91], v[68:69]
	v_add_nc_u64_e32 v[70:71], s[90:91], v[70:71]
	;; [unrolled: 5-line block ×5, first 2 shown]
	v_fmac_f32_e32 v150, v157, v6
	v_add_nc_u64_e32 v[96:97], s[90:91], v[96:97]
	s_add_co_i32 s93, s100, 1
	s_add_co_i32 s100, s100, 2
	;; [unrolled: 1-line block ×3, first 2 shown]
	v_fmac_f32_e32 v150, v158, v7
	s_cmp_ge_u32 s100, s44
	s_wait_storecnt 0x0
	s_barrier_signal -1
	s_barrier_wait -1
	v_fmac_f32_e32 v150, v161, v8
	s_delay_alu instid0(VALU_DEP_1) | instskip(NEXT) | instid1(VALU_DEP_1)
	v_fmac_f32_e32 v150, v159, v9
	v_fmac_f32_e32 v150, v162, v10
	s_delay_alu instid0(VALU_DEP_1) | instskip(NEXT) | instid1(VALU_DEP_1)
	v_fmac_f32_e32 v150, v160, v11
	;; [unrolled: 3-line block ×3, first 2 shown]
	v_fmac_f32_e32 v150, v166, v14
	s_delay_alu instid0(VALU_DEP_1)
	v_fmac_f32_e32 v150, v165, v15
	s_cbranch_scc1 .LBB71_121
; %bb.120:                              ;   in Loop: Header=BB71_69 Depth=2
	s_mov_b32 s100, s93
	s_delay_alu instid0(SALU_CYCLE_1)
	s_cmp_eq_u32 s47, s100
	s_cselect_b32 s101, s94, 0
	s_and_saveexec_b32 s102, s0
	s_cbranch_execnz .LBB71_66
	s_branch .LBB71_69
.LBB71_121:                             ;   in Loop: Header=BB71_4 Depth=1
	ds_store_b32 v140, v150
	s_wait_dscnt 0x0
	s_barrier_signal -1
	s_barrier_wait -1
	s_and_saveexec_b32 s92, s98
	s_cbranch_execz .LBB71_2
; %bb.122:                              ;   in Loop: Header=BB71_4 Depth=1
	ds_load_2addr_b32 v[0:1], v113 offset1:67
	ds_load_2addr_b32 v[2:3], v113 offset0:134 offset1:201
	s_wait_dscnt 0x1
	v_add_f32_e32 v0, v0, v1
	s_wait_dscnt 0x0
	s_delay_alu instid0(VALU_DEP_1) | instskip(NEXT) | instid1(VALU_DEP_1)
	v_add_f32_e32 v0, v0, v2
	v_add_f32_e32 v2, v0, v3
	v_lshl_add_u64 v[0:1], v[18:19], 2, s[18:19]
	global_store_b32 v[0:1], v2, off
	s_branch .LBB71_2
.LBB71_123:                             ;   in Loop: Header=BB71_4 Depth=1
	ds_load_b32 v2, v144
	s_wait_dscnt 0x0
	ds_store_b32 v118, v2
	s_or_b32 exec_lo, exec_lo, s18
	s_and_saveexec_b32 s18, s7
	s_cbranch_execz .LBB71_24
.LBB71_124:                             ;   in Loop: Header=BB71_4 Depth=1
	ds_load_b32 v2, v145
	s_wait_dscnt 0x0
	ds_store_b32 v118, v2 offset:4
	s_or_b32 exec_lo, exec_lo, s18
	s_and_saveexec_b32 s18, s8
	s_cbranch_execz .LBB71_25
.LBB71_125:                             ;   in Loop: Header=BB71_4 Depth=1
	ds_load_b32 v2, v145 offset:132
	s_wait_dscnt 0x0
	ds_store_b32 v118, v2 offset:8
	s_or_b32 exec_lo, exec_lo, s18
	s_and_saveexec_b32 s18, s9
	s_cbranch_execnz .LBB71_26
	s_branch .LBB71_27
.LBB71_126:                             ;   in Loop: Header=BB71_4 Depth=1
	ds_load_b32 v2, v144
	s_wait_dscnt 0x0
	ds_store_b32 v118, v2
	s_or_b32 exec_lo, exec_lo, s18
	s_and_saveexec_b32 s18, s7
	s_cbranch_execz .LBB71_43
.LBB71_127:                             ;   in Loop: Header=BB71_4 Depth=1
	ds_load_b32 v2, v145
	s_wait_dscnt 0x0
	ds_store_b32 v118, v2 offset:4
	s_or_b32 exec_lo, exec_lo, s18
	s_and_saveexec_b32 s18, s8
	s_cbranch_execz .LBB71_44
.LBB71_128:                             ;   in Loop: Header=BB71_4 Depth=1
	ds_load_b32 v2, v145 offset:132
	s_wait_dscnt 0x0
	ds_store_b32 v118, v2 offset:8
	s_or_b32 exec_lo, exec_lo, s18
	s_and_saveexec_b32 s18, s9
	s_cbranch_execnz .LBB71_45
	s_branch .LBB71_46
.LBB71_129:
	s_sendmsg sendmsg(MSG_DEALLOC_VGPRS)
	s_endpgm
	.section	.rodata,"a",@progbits
	.p2align	6, 0x0
	.amdhsa_kernel _ZL26rocblas_hemvn_kernel_upperILb0ELi64ELi4ELi33ELi32ELi16EiPKfS1_PfEviT6_lT7_lT5_lS4_lS5_lS3_lT8_i
		.amdhsa_group_segment_fixed_size 4800
		.amdhsa_private_segment_fixed_size 0
		.amdhsa_kernarg_size 376
		.amdhsa_user_sgpr_count 2
		.amdhsa_user_sgpr_dispatch_ptr 0
		.amdhsa_user_sgpr_queue_ptr 0
		.amdhsa_user_sgpr_kernarg_segment_ptr 1
		.amdhsa_user_sgpr_dispatch_id 0
		.amdhsa_user_sgpr_kernarg_preload_length 0
		.amdhsa_user_sgpr_kernarg_preload_offset 0
		.amdhsa_user_sgpr_private_segment_size 0
		.amdhsa_wavefront_size32 1
		.amdhsa_uses_dynamic_stack 0
		.amdhsa_enable_private_segment 0
		.amdhsa_system_sgpr_workgroup_id_x 1
		.amdhsa_system_sgpr_workgroup_id_y 0
		.amdhsa_system_sgpr_workgroup_id_z 1
		.amdhsa_system_sgpr_workgroup_info 0
		.amdhsa_system_vgpr_workitem_id 1
		.amdhsa_next_free_vgpr 172
		.amdhsa_next_free_sgpr 104
		.amdhsa_named_barrier_count 0
		.amdhsa_reserve_vcc 1
		.amdhsa_float_round_mode_32 0
		.amdhsa_float_round_mode_16_64 0
		.amdhsa_float_denorm_mode_32 3
		.amdhsa_float_denorm_mode_16_64 3
		.amdhsa_fp16_overflow 0
		.amdhsa_memory_ordered 1
		.amdhsa_forward_progress 1
		.amdhsa_inst_pref_size 54
		.amdhsa_round_robin_scheduling 0
		.amdhsa_exception_fp_ieee_invalid_op 0
		.amdhsa_exception_fp_denorm_src 0
		.amdhsa_exception_fp_ieee_div_zero 0
		.amdhsa_exception_fp_ieee_overflow 0
		.amdhsa_exception_fp_ieee_underflow 0
		.amdhsa_exception_fp_ieee_inexact 0
		.amdhsa_exception_int_div_zero 0
	.end_amdhsa_kernel
	.section	.text._ZL26rocblas_hemvn_kernel_upperILb0ELi64ELi4ELi33ELi32ELi16EiPKfS1_PfEviT6_lT7_lT5_lS4_lS5_lS3_lT8_i,"axG",@progbits,_ZL26rocblas_hemvn_kernel_upperILb0ELi64ELi4ELi33ELi32ELi16EiPKfS1_PfEviT6_lT7_lT5_lS4_lS5_lS3_lT8_i,comdat
.Lfunc_end71:
	.size	_ZL26rocblas_hemvn_kernel_upperILb0ELi64ELi4ELi33ELi32ELi16EiPKfS1_PfEviT6_lT7_lT5_lS4_lS5_lS3_lT8_i, .Lfunc_end71-_ZL26rocblas_hemvn_kernel_upperILb0ELi64ELi4ELi33ELi32ELi16EiPKfS1_PfEviT6_lT7_lT5_lS4_lS5_lS3_lT8_i
                                        ; -- End function
	.set _ZL26rocblas_hemvn_kernel_upperILb0ELi64ELi4ELi33ELi32ELi16EiPKfS1_PfEviT6_lT7_lT5_lS4_lS5_lS3_lT8_i.num_vgpr, 172
	.set _ZL26rocblas_hemvn_kernel_upperILb0ELi64ELi4ELi33ELi32ELi16EiPKfS1_PfEviT6_lT7_lT5_lS4_lS5_lS3_lT8_i.num_agpr, 0
	.set _ZL26rocblas_hemvn_kernel_upperILb0ELi64ELi4ELi33ELi32ELi16EiPKfS1_PfEviT6_lT7_lT5_lS4_lS5_lS3_lT8_i.numbered_sgpr, 104
	.set _ZL26rocblas_hemvn_kernel_upperILb0ELi64ELi4ELi33ELi32ELi16EiPKfS1_PfEviT6_lT7_lT5_lS4_lS5_lS3_lT8_i.num_named_barrier, 0
	.set _ZL26rocblas_hemvn_kernel_upperILb0ELi64ELi4ELi33ELi32ELi16EiPKfS1_PfEviT6_lT7_lT5_lS4_lS5_lS3_lT8_i.private_seg_size, 0
	.set _ZL26rocblas_hemvn_kernel_upperILb0ELi64ELi4ELi33ELi32ELi16EiPKfS1_PfEviT6_lT7_lT5_lS4_lS5_lS3_lT8_i.uses_vcc, 1
	.set _ZL26rocblas_hemvn_kernel_upperILb0ELi64ELi4ELi33ELi32ELi16EiPKfS1_PfEviT6_lT7_lT5_lS4_lS5_lS3_lT8_i.uses_flat_scratch, 0
	.set _ZL26rocblas_hemvn_kernel_upperILb0ELi64ELi4ELi33ELi32ELi16EiPKfS1_PfEviT6_lT7_lT5_lS4_lS5_lS3_lT8_i.has_dyn_sized_stack, 0
	.set _ZL26rocblas_hemvn_kernel_upperILb0ELi64ELi4ELi33ELi32ELi16EiPKfS1_PfEviT6_lT7_lT5_lS4_lS5_lS3_lT8_i.has_recursion, 0
	.set _ZL26rocblas_hemvn_kernel_upperILb0ELi64ELi4ELi33ELi32ELi16EiPKfS1_PfEviT6_lT7_lT5_lS4_lS5_lS3_lT8_i.has_indirect_call, 0
	.section	.AMDGPU.csdata,"",@progbits
; Kernel info:
; codeLenInByte = 6788
; TotalNumSgprs: 106
; NumVgprs: 172
; ScratchSize: 0
; MemoryBound: 0
; FloatMode: 240
; IeeeMode: 1
; LDSByteSize: 4800 bytes/workgroup (compile time only)
; SGPRBlocks: 0
; VGPRBlocks: 10
; NumSGPRsForWavesPerEU: 106
; NumVGPRsForWavesPerEU: 172
; NamedBarCnt: 0
; Occupancy: 5
; WaveLimiterHint : 0
; COMPUTE_PGM_RSRC2:SCRATCH_EN: 0
; COMPUTE_PGM_RSRC2:USER_SGPR: 2
; COMPUTE_PGM_RSRC2:TRAP_HANDLER: 0
; COMPUTE_PGM_RSRC2:TGID_X_EN: 1
; COMPUTE_PGM_RSRC2:TGID_Y_EN: 0
; COMPUTE_PGM_RSRC2:TGID_Z_EN: 1
; COMPUTE_PGM_RSRC2:TIDIG_COMP_CNT: 1
	.section	.text._ZL36rocblas_hemvn_kernel_upper_block_sumILi64EiPKfPffEviT1_lS3_lT2_lT0_lPT3_i,"axG",@progbits,_ZL36rocblas_hemvn_kernel_upper_block_sumILi64EiPKfPffEviT1_lS3_lT2_lT0_lPT3_i,comdat
	.globl	_ZL36rocblas_hemvn_kernel_upper_block_sumILi64EiPKfPffEviT1_lS3_lT2_lT0_lPT3_i ; -- Begin function _ZL36rocblas_hemvn_kernel_upper_block_sumILi64EiPKfPffEviT1_lS3_lT2_lT0_lPT3_i
	.p2align	8
	.type	_ZL36rocblas_hemvn_kernel_upper_block_sumILi64EiPKfPffEviT1_lS3_lT2_lT0_lPT3_i,@function
_ZL36rocblas_hemvn_kernel_upper_block_sumILi64EiPKfPffEviT1_lS3_lT2_lT0_lPT3_i: ; @_ZL36rocblas_hemvn_kernel_upper_block_sumILi64EiPKfPffEviT1_lS3_lT2_lT0_lPT3_i
; %bb.0:
	s_load_b32 s3, s[0:1], 0x50
	s_bfe_u32 s2, ttmp6, 0x40014
	s_lshr_b32 s4, ttmp7, 16
	s_add_co_i32 s2, s2, 1
	s_bfe_u32 s6, ttmp6, 0x40008
	s_mul_i32 s5, s4, s2
	s_getreg_b32 s2, hwreg(HW_REG_IB_STS2, 6, 4)
	s_add_co_i32 s6, s6, s5
	s_cmp_eq_u32 s2, 0
	s_mov_b32 s17, 0
	s_cselect_b32 s16, s4, s6
	s_wait_kmcnt 0x0
	s_cmp_ge_u32 s16, s3
	s_cbranch_scc1 .LBB72_25
; %bb.1:
	s_clause 0x1
	s_load_b128 s[20:23], s[0:1], 0x28
	s_load_b32 s25, s[0:1], 0x38
	s_bfe_u32 s4, ttmp6, 0x4000c
	s_and_b32 s5, ttmp6, 15
	s_add_co_i32 s4, s4, 1
	s_load_b32 s24, s[0:1], 0x0
	s_mul_i32 s4, ttmp9, s4
	s_load_b128 s[12:15], s[0:1], 0x40
	s_add_co_i32 s5, s5, s4
	s_wait_kmcnt 0x0
	s_lshl_b64 s[18:19], s[22:23], 2
	s_cmp_eq_u32 s2, 0
	s_add_nc_u64 s[18:19], s[20:21], s[18:19]
	s_cselect_b32 s23, ttmp9, s5
	s_load_b256 s[4:11], s[0:1], 0x8
	v_lshl_or_b32 v2, s23, 6, v0
	s_wait_xcnt 0x0
	s_add_nc_u64 s[0:1], s[0:1], 0x58
	s_delay_alu instid0(VALU_DEP_1)
	v_mul_lo_u32 v0, s25, v2
	v_ashrrev_i32_e32 v3, 31, v2
	s_ashr_i32 s25, s24, 31
	v_cmp_gt_i32_e64 s2, s24, v2
	s_cmp_gt_i32 s23, -1
	s_cselect_b32 s22, -1, 0
	s_add_co_i32 s23, s23, 1
	v_ashrrev_i32_e32 v1, 31, v0
	v_lshl_add_u64 v[2:3], v[2:3], 2, s[14:15]
	s_lshl_b64 s[14:15], s[24:25], 2
	s_branch .LBB72_4
.LBB72_2:                               ;   in Loop: Header=BB72_4 Depth=1
	s_wait_xcnt 0x0
	s_or_b32 exec_lo, exec_lo, s24
.LBB72_3:                               ;   in Loop: Header=BB72_4 Depth=1
	s_add_co_i32 s16, s16, 0x10000
	s_delay_alu instid0(SALU_CYCLE_1)
	s_cmp_lt_u32 s16, s3
	s_cbranch_scc0 .LBB72_25
.LBB72_4:                               ; =>This Loop Header: Depth=1
                                        ;     Child Loop BB72_16 Depth 2
	s_wait_kmcnt 0x0
	s_mul_u64 s[20:21], s[6:7], s[16:17]
	s_mul_u64 s[26:27], s[10:11], s[16:17]
	s_lshl_b64 s[20:21], s[20:21], 2
	s_delay_alu instid0(SALU_CYCLE_1) | instskip(SKIP_3) | instid1(SALU_CYCLE_1)
	s_add_nc_u64 s[20:21], s[4:5], s[20:21]
	s_load_b32 s24, s[20:21], 0x0
	s_wait_xcnt 0x0
	s_lshl_b64 s[20:21], s[26:27], 2
	s_add_nc_u64 s[20:21], s[8:9], s[20:21]
	s_load_b32 s25, s[20:21], 0x0
	s_wait_kmcnt 0x0
	s_cmp_eq_f32 s24, 0
	s_wait_xcnt 0x0
	s_cselect_b32 s20, -1, 0
	s_cmp_eq_f32 s25, 1.0
	s_cselect_b32 s21, -1, 0
	s_delay_alu instid0(SALU_CYCLE_1) | instskip(NEXT) | instid1(SALU_CYCLE_1)
	s_and_b32 s20, s20, s21
	s_and_b32 vcc_lo, exec_lo, s20
	s_cbranch_vccnz .LBB72_3
; %bb.5:                                ;   in Loop: Header=BB72_4 Depth=1
	s_mul_u64 s[20:21], s[12:13], s[16:17]
	s_delay_alu instid0(SALU_CYCLE_1)
	s_lshl_b64 s[20:21], s[20:21], 2
	s_cmp_neq_f32 s24, 0
	s_add_nc_u64 s[20:21], s[18:19], s[20:21]
	s_cbranch_scc1 .LBB72_9
; %bb.6:                                ;   in Loop: Header=BB72_4 Depth=1
	s_mov_b32 s27, 0
	s_mov_b32 s26, 0
                                        ; implicit-def: $vgpr5
	s_and_saveexec_b32 s28, s2
	s_cbranch_execz .LBB72_10
; %bb.7:                                ;   in Loop: Header=BB72_4 Depth=1
	s_cmp_eq_f32 s25, 0
	s_cbranch_scc1 .LBB72_11
; %bb.8:                                ;   in Loop: Header=BB72_4 Depth=1
	v_lshl_add_u64 v[4:5], v[0:1], 2, s[20:21]
	global_load_b32 v4, v[4:5], off
	s_wait_loadcnt 0x0
	s_wait_xcnt 0x0
	v_mul_f32_e32 v5, s25, v4
	s_branch .LBB72_12
.LBB72_9:                               ;   in Loop: Header=BB72_4 Depth=1
	s_mov_b32 s26, 0
                                        ; implicit-def: $vgpr5
	s_cbranch_execnz .LBB72_13
	s_branch .LBB72_22
.LBB72_10:                              ;   in Loop: Header=BB72_4 Depth=1
	s_or_b32 exec_lo, exec_lo, s28
	s_delay_alu instid0(SALU_CYCLE_1)
	s_and_b32 vcc_lo, exec_lo, s27
	s_cbranch_vccnz .LBB72_13
	s_branch .LBB72_22
.LBB72_11:                              ;   in Loop: Header=BB72_4 Depth=1
	v_mov_b32_e32 v5, 0
.LBB72_12:                              ;   in Loop: Header=BB72_4 Depth=1
	s_mov_b32 s26, exec_lo
	s_or_b32 exec_lo, exec_lo, s28
	s_delay_alu instid0(SALU_CYCLE_1)
	s_and_b32 vcc_lo, exec_lo, s27
	s_cbranch_vccz .LBB72_22
.LBB72_13:                              ;   in Loop: Header=BB72_4 Depth=1
                                        ; implicit-def: $vgpr5
	s_and_saveexec_b32 s27, s2
	s_cbranch_execz .LBB72_21
; %bb.14:                               ;   in Loop: Header=BB72_4 Depth=1
	v_mov_b32_e32 v4, 0
	s_and_not1_b32 vcc_lo, exec_lo, s22
	s_cbranch_vccnz .LBB72_17
; %bb.15:                               ;   in Loop: Header=BB72_4 Depth=1
	s_load_b32 s28, s[0:1], 0x0
	s_mov_b32 s29, s17
	v_mov_b32_e32 v4, 0
	s_wait_kmcnt 0x0
	s_mul_u64 s[28:29], s[14:15], s[28:29]
	s_delay_alu instid0(SALU_CYCLE_1) | instskip(SKIP_1) | instid1(VALU_DEP_1)
	v_mad_nc_u64_u32 v[6:7], s28, s16, v[2:3]
	s_mov_b32 s28, s23
	v_mad_u32 v7, s29, s16, v7
.LBB72_16:                              ;   Parent Loop BB72_4 Depth=1
                                        ; =>  This Inner Loop Header: Depth=2
	global_load_b32 v5, v[6:7], off
	s_wait_xcnt 0x0
	v_add_nc_u64_e32 v[6:7], s[14:15], v[6:7]
	s_add_co_i32 s28, s28, -1
	s_delay_alu instid0(SALU_CYCLE_1)
	s_cmp_eq_u32 s28, 0
	s_wait_loadcnt 0x0
	v_add_f32_e32 v4, v4, v5
	s_cbranch_scc0 .LBB72_16
.LBB72_17:                              ;   in Loop: Header=BB72_4 Depth=1
	s_cmp_eq_f32 s25, 0
	s_cbranch_scc0 .LBB72_24
; %bb.18:                               ;   in Loop: Header=BB72_4 Depth=1
	s_delay_alu instid0(VALU_DEP_1)
	v_mul_f32_e32 v5, s24, v4
	s_cbranch_execnz .LBB72_20
.LBB72_19:                              ;   in Loop: Header=BB72_4 Depth=1
	v_lshl_add_u64 v[6:7], v[0:1], 2, s[20:21]
	global_load_b32 v5, v[6:7], off
	s_wait_xcnt 0x0
	v_dual_mov_b32 v6, s24 :: v_dual_mov_b32 v7, s25
	s_wait_loadcnt 0x0
	s_delay_alu instid0(VALU_DEP_1) | instskip(NEXT) | instid1(VALU_DEP_1)
	v_pk_mul_f32 v[4:5], v[6:7], v[4:5]
	v_add_f32_e32 v5, v4, v5
.LBB72_20:                              ;   in Loop: Header=BB72_4 Depth=1
	s_or_b32 s26, s26, exec_lo
.LBB72_21:                              ;   in Loop: Header=BB72_4 Depth=1
	s_or_b32 exec_lo, exec_lo, s27
.LBB72_22:                              ;   in Loop: Header=BB72_4 Depth=1
	s_and_saveexec_b32 s24, s26
	s_cbranch_execz .LBB72_2
; %bb.23:                               ;   in Loop: Header=BB72_4 Depth=1
	v_lshl_add_u64 v[6:7], v[0:1], 2, s[20:21]
	global_store_b32 v[6:7], v5, off
	s_branch .LBB72_2
.LBB72_24:                              ;   in Loop: Header=BB72_4 Depth=1
                                        ; implicit-def: $vgpr5
	s_branch .LBB72_19
.LBB72_25:
	s_endpgm
	.section	.rodata,"a",@progbits
	.p2align	6, 0x0
	.amdhsa_kernel _ZL36rocblas_hemvn_kernel_upper_block_sumILi64EiPKfPffEviT1_lS3_lT2_lT0_lPT3_i
		.amdhsa_group_segment_fixed_size 0
		.amdhsa_private_segment_fixed_size 0
		.amdhsa_kernarg_size 344
		.amdhsa_user_sgpr_count 2
		.amdhsa_user_sgpr_dispatch_ptr 0
		.amdhsa_user_sgpr_queue_ptr 0
		.amdhsa_user_sgpr_kernarg_segment_ptr 1
		.amdhsa_user_sgpr_dispatch_id 0
		.amdhsa_user_sgpr_kernarg_preload_length 0
		.amdhsa_user_sgpr_kernarg_preload_offset 0
		.amdhsa_user_sgpr_private_segment_size 0
		.amdhsa_wavefront_size32 1
		.amdhsa_uses_dynamic_stack 0
		.amdhsa_enable_private_segment 0
		.amdhsa_system_sgpr_workgroup_id_x 1
		.amdhsa_system_sgpr_workgroup_id_y 0
		.amdhsa_system_sgpr_workgroup_id_z 1
		.amdhsa_system_sgpr_workgroup_info 0
		.amdhsa_system_vgpr_workitem_id 0
		.amdhsa_next_free_vgpr 8
		.amdhsa_next_free_sgpr 30
		.amdhsa_named_barrier_count 0
		.amdhsa_reserve_vcc 1
		.amdhsa_float_round_mode_32 0
		.amdhsa_float_round_mode_16_64 0
		.amdhsa_float_denorm_mode_32 3
		.amdhsa_float_denorm_mode_16_64 3
		.amdhsa_fp16_overflow 0
		.amdhsa_memory_ordered 1
		.amdhsa_forward_progress 1
		.amdhsa_inst_pref_size 6
		.amdhsa_round_robin_scheduling 0
		.amdhsa_exception_fp_ieee_invalid_op 0
		.amdhsa_exception_fp_denorm_src 0
		.amdhsa_exception_fp_ieee_div_zero 0
		.amdhsa_exception_fp_ieee_overflow 0
		.amdhsa_exception_fp_ieee_underflow 0
		.amdhsa_exception_fp_ieee_inexact 0
		.amdhsa_exception_int_div_zero 0
	.end_amdhsa_kernel
	.section	.text._ZL36rocblas_hemvn_kernel_upper_block_sumILi64EiPKfPffEviT1_lS3_lT2_lT0_lPT3_i,"axG",@progbits,_ZL36rocblas_hemvn_kernel_upper_block_sumILi64EiPKfPffEviT1_lS3_lT2_lT0_lPT3_i,comdat
.Lfunc_end72:
	.size	_ZL36rocblas_hemvn_kernel_upper_block_sumILi64EiPKfPffEviT1_lS3_lT2_lT0_lPT3_i, .Lfunc_end72-_ZL36rocblas_hemvn_kernel_upper_block_sumILi64EiPKfPffEviT1_lS3_lT2_lT0_lPT3_i
                                        ; -- End function
	.set _ZL36rocblas_hemvn_kernel_upper_block_sumILi64EiPKfPffEviT1_lS3_lT2_lT0_lPT3_i.num_vgpr, 8
	.set _ZL36rocblas_hemvn_kernel_upper_block_sumILi64EiPKfPffEviT1_lS3_lT2_lT0_lPT3_i.num_agpr, 0
	.set _ZL36rocblas_hemvn_kernel_upper_block_sumILi64EiPKfPffEviT1_lS3_lT2_lT0_lPT3_i.numbered_sgpr, 30
	.set _ZL36rocblas_hemvn_kernel_upper_block_sumILi64EiPKfPffEviT1_lS3_lT2_lT0_lPT3_i.num_named_barrier, 0
	.set _ZL36rocblas_hemvn_kernel_upper_block_sumILi64EiPKfPffEviT1_lS3_lT2_lT0_lPT3_i.private_seg_size, 0
	.set _ZL36rocblas_hemvn_kernel_upper_block_sumILi64EiPKfPffEviT1_lS3_lT2_lT0_lPT3_i.uses_vcc, 1
	.set _ZL36rocblas_hemvn_kernel_upper_block_sumILi64EiPKfPffEviT1_lS3_lT2_lT0_lPT3_i.uses_flat_scratch, 0
	.set _ZL36rocblas_hemvn_kernel_upper_block_sumILi64EiPKfPffEviT1_lS3_lT2_lT0_lPT3_i.has_dyn_sized_stack, 0
	.set _ZL36rocblas_hemvn_kernel_upper_block_sumILi64EiPKfPffEviT1_lS3_lT2_lT0_lPT3_i.has_recursion, 0
	.set _ZL36rocblas_hemvn_kernel_upper_block_sumILi64EiPKfPffEviT1_lS3_lT2_lT0_lPT3_i.has_indirect_call, 0
	.section	.AMDGPU.csdata,"",@progbits
; Kernel info:
; codeLenInByte = 728
; TotalNumSgprs: 32
; NumVgprs: 8
; ScratchSize: 0
; MemoryBound: 0
; FloatMode: 240
; IeeeMode: 1
; LDSByteSize: 0 bytes/workgroup (compile time only)
; SGPRBlocks: 0
; VGPRBlocks: 0
; NumSGPRsForWavesPerEU: 32
; NumVGPRsForWavesPerEU: 8
; NamedBarCnt: 0
; Occupancy: 16
; WaveLimiterHint : 0
; COMPUTE_PGM_RSRC2:SCRATCH_EN: 0
; COMPUTE_PGM_RSRC2:USER_SGPR: 2
; COMPUTE_PGM_RSRC2:TRAP_HANDLER: 0
; COMPUTE_PGM_RSRC2:TGID_X_EN: 1
; COMPUTE_PGM_RSRC2:TGID_Y_EN: 0
; COMPUTE_PGM_RSRC2:TGID_Z_EN: 1
; COMPUTE_PGM_RSRC2:TIDIG_COMP_CNT: 0
	.section	.text._ZL26rocblas_hemvn_kernel_upperILb0ELi64ELi4ELi33ELi32ELi16ElfPKfPfEviT6_lT7_lT5_lS4_lS5_lS3_lT8_i,"axG",@progbits,_ZL26rocblas_hemvn_kernel_upperILb0ELi64ELi4ELi33ELi32ELi16ElfPKfPfEviT6_lT7_lT5_lS4_lS5_lS3_lT8_i,comdat
	.globl	_ZL26rocblas_hemvn_kernel_upperILb0ELi64ELi4ELi33ELi32ELi16ElfPKfPfEviT6_lT7_lT5_lS4_lS5_lS3_lT8_i ; -- Begin function _ZL26rocblas_hemvn_kernel_upperILb0ELi64ELi4ELi33ELi32ELi16ElfPKfPfEviT6_lT7_lT5_lS4_lS5_lS3_lT8_i
	.p2align	8
	.type	_ZL26rocblas_hemvn_kernel_upperILb0ELi64ELi4ELi33ELi32ELi16ElfPKfPfEviT6_lT7_lT5_lS4_lS5_lS3_lT8_i,@function
_ZL26rocblas_hemvn_kernel_upperILb0ELi64ELi4ELi33ELi32ELi16ElfPKfPfEviT6_lT7_lT5_lS4_lS5_lS3_lT8_i: ; @_ZL26rocblas_hemvn_kernel_upperILb0ELi64ELi4ELi33ELi32ELi16ElfPKfPfEviT6_lT7_lT5_lS4_lS5_lS3_lT8_i
; %bb.0:
	s_clause 0x1
	s_load_b64 s[4:5], s[0:1], 0x7c
	s_load_b32 s33, s[0:1], 0x68
	s_bfe_u32 s2, ttmp6, 0x40014
	s_lshr_b32 s3, ttmp7, 16
	s_add_co_i32 s2, s2, 1
	s_bfe_u32 s6, ttmp6, 0x40008
	s_mul_i32 s7, s3, s2
	s_getreg_b32 s2, hwreg(HW_REG_IB_STS2, 6, 4)
	s_add_co_i32 s6, s6, s7
	s_mov_b32 s35, 0
	s_wait_kmcnt 0x0
	s_lshr_b32 s7, s4, 16
	s_and_b32 s4, s4, 0xffff
	s_and_b32 s5, s5, 0xffff
	s_mul_i32 s4, s7, s4
	s_cmp_eq_u32 s2, 0
	s_mul_i32 s4, s4, s5
	s_cselect_b32 s34, s3, s6
	s_cmp_lg_u32 s4, 0x100
	s_cselect_b32 s3, -1, 0
	s_cmp_ge_u32 s34, s33
	s_cselect_b32 s4, -1, 0
	s_delay_alu instid0(SALU_CYCLE_1) | instskip(NEXT) | instid1(SALU_CYCLE_1)
	s_or_b32 s3, s3, s4
	s_and_b32 vcc_lo, exec_lo, s3
	s_cbranch_vccnz .LBB73_129
; %bb.1:
	s_clause 0x3
	s_load_b512 s[16:31], s[0:1], 0x10
	s_load_b32 s12, s[0:1], 0x50
	s_load_b64 s[6:7], s[0:1], 0x0
	s_load_b64 s[4:5], s[0:1], 0x60
	s_add_nc_u64 s[8:9], s[0:1], 0x70
	s_wait_xcnt 0x0
	s_bfe_u32 s1, ttmp6, 0x4000c
	s_and_b32 s0, ttmp6, 15
	s_add_co_i32 s1, s1, 1
	v_and_b32_e32 v106, 0x3ff, v0
	s_mul_i32 s1, ttmp9, s1
	v_bfe_u32 v1, v0, 10, 10
	s_add_co_i32 s0, s0, s1
	s_cmp_eq_u32 s2, 0
	v_dual_mov_b32 v19, 0 :: v_dual_bitop2_b32 v16, 31, v0 bitop3:0x40
	s_cselect_b32 s38, ttmp9, s0
	v_lshl_add_u32 v21, v1, 6, v106
	s_load_b32 s36, s[8:9], 0x0
	s_mov_b32 s37, s35
	v_mov_b32_e32 v17, v19
	v_cmp_eq_u32_e64 s0, 0, v1
	s_wait_kmcnt 0x0
	s_lshl_b64 s[2:3], s[26:27], 2
	s_lshl_b64 s[10:11], s[18:19], 2
	s_cmp_neq_f32 s12, 1.0
	v_lshrrev_b32_e32 v62, 5, v21
	s_add_nc_u64 s[8:9], s[24:25], s[2:3]
	s_add_nc_u64 s[10:11], s[16:17], s[10:11]
	s_cselect_b32 s1, -1, 0
	s_cmp_neq_f32 s7, 0
	v_mad_nc_u64_u32 v[2:3], s20, v62, v[16:17]
	v_dual_add_nc_u32 v64, 16, v62 :: v_dual_lshlrev_b32 v65, 2, v62
	s_cselect_b32 s58, -1, 0
	s_lshl_b32 s54, s38, 6
	s_delay_alu instid0(SALU_CYCLE_1)
	v_dual_lshlrev_b32 v20, 2, v106 :: v_dual_add_nc_u32 v22, s54, v106
	s_ashr_i32 s7, s6, 31
	v_lshlrev_b32_e32 v18, 4, v1
	s_lshr_b32 s2, s7, 26
	s_add_co_i32 s3, s36, -1
	v_ashrrev_i32_e32 v23, 31, v22
	s_add_co_i32 s2, s6, s2
	v_mad_u32 v3, s21, v62, v3
	s_and_not1_b32 s2, s2, 63
	s_or_b32 s59, s58, s1
	v_mul_u64_e32 v[4:5], s[28:29], v[22:23]
	s_sub_co_i32 s60, s6, s2
	s_cmp_eq_u32 s38, s3
	s_mul_u64 s[24:25], s[36:37], s[6:7]
	s_cselect_b32 s18, s60, 0
	v_add_nc_u64_e32 v[28:29], 0xc8, v[18:19]
	s_cmp_lg_u32 s18, 0
	v_add_nc_u64_e32 v[30:31], 0xcc, v[18:19]
	s_cselect_b32 s37, -1, 0
	s_cmp_eq_u32 s18, 0
	v_lshlrev_b64_e32 v[2:3], 2, v[2:3]
	s_cselect_b32 s14, -1, 0
	s_ashr_i32 s55, s54, 31
	v_add_nc_u64_e32 v[32:33], 0x100, v[18:19]
	s_lshl_b64 s[12:13], s[54:55], 2
	s_ashr_i32 s39, s38, 31
	s_add_nc_u64 s[10:11], s[10:11], s[12:13]
	v_dual_add_nc_u32 v66, 24, v62 :: v_dual_bitop2_b32 v8, 2, v65 bitop3:0x54
	v_add_nc_u64_e32 v[6:7], s[10:11], v[2:3]
	s_mul_u64 s[6:7], s[6:7], s[38:39]
	s_mul_u64 s[10:11], s[20:21], s[54:55]
	s_lshl_b64 s[6:7], s[6:7], 2
	v_add_nc_u64_e32 v[10:11], 0x84, v[18:19]
	s_add_nc_u64 s[26:27], s[4:5], s[6:7]
	v_cmp_gt_u32_e64 s6, v8, v16
	v_lshl_add_u64 v[24:25], s[10:11], 2, v[6:7]
	v_add_nc_u64_e32 v[6:7], 0x88, v[18:19]
	v_add_nc_u64_e32 v[8:9], 0x8c, v[18:19]
	;; [unrolled: 1-line block ×4, first 2 shown]
	v_mul_u64_e32 v[40:41], s[20:21], v[28:29]
	v_lshl_add_u64 v[26:27], v[4:5], 2, s[8:9]
	v_add_nc_u64_e32 v[4:5], 0x80, v[18:19]
	v_mul_u64_e32 v[42:43], s[20:21], v[30:31]
	v_mul_u64_e32 v[44:45], s[20:21], v[32:33]
	v_add_nc_u64_e32 v[28:29], 0x104, v[18:19]
	v_add_nc_u64_e32 v[30:31], 0x108, v[18:19]
	;; [unrolled: 1-line block ×7, first 2 shown]
	v_mul_u64_e32 v[4:5], s[20:21], v[4:5]
	v_mul_u64_e32 v[6:7], s[20:21], v[6:7]
	;; [unrolled: 1-line block ×13, first 2 shown]
	s_sub_co_i32 s16, s18, 32
	v_dual_lshlrev_b32 v107, 2, v16 :: v_dual_add_nc_u32 v63, 8, v62
	v_cmp_gt_i32_e64 s4, s18, v64
	v_cmp_gt_i32_e64 s12, s16, v64
	v_and_b32_e32 v64, 15, v0
	v_and_b32_e32 v0, 48, v0
	v_or_b32_e32 v67, 3, v65
	v_cmp_gt_i32_e64 s5, s18, v66
	v_lshl_or_b32 v109, v16, 7, v107
	v_or_b32_e32 v28, 32, v16
	v_cmp_gt_i32_e64 s13, s16, v66
	v_dual_lshrrev_b32 v66, 2, v21 :: v_dual_lshlrev_b32 v0, 2, v0
	v_cmp_gt_u32_e64 s7, v67, v16
	v_lshlrev_b32_e32 v67, 4, v62
	v_cmp_gt_i32_e64 s3, s18, v63
	v_cmp_gt_i32_e64 s9, s18, v28
	;; [unrolled: 1-line block ×3, first 2 shown]
	s_delay_alu instid0(VALU_DEP_4)
	v_dual_add_nc_u32 v110, v109, v67 :: v_dual_bitop2_b32 v63, 1, v65 bitop3:0x54
	v_sub_nc_u64_e32 v[28:29], v[4:5], v[2:3]
	v_sub_nc_u64_e32 v[30:31], v[6:7], v[2:3]
	;; [unrolled: 1-line block ×16, first 2 shown]
	v_mul_u32_u24_e32 v2, 0x10c, v64
	v_and_b32_e32 v3, 0x1ffc, v66
	v_and_b32_e32 v5, 0x7ff0, v21
	v_cmp_gt_i32_e32 vcc_lo, s18, v106
	v_dual_lshlrev_b32 v118, 2, v1 :: v_dual_bitop2_b32 v4, 60, v20 bitop3:0x54
	s_delay_alu instid0(VALU_DEP_4)
	v_mad_u32_u24 v111, 0x10c, v64, v3
	v_mad_u32_u24 v112, 0x10c, v64, v0
	v_mul_u32_u24_e32 v0, 33, v16
	v_add_nc_u32_e32 v114, v2, v5
	v_mul_u32_u24_e32 v2, 0x210, v62
	v_mul_u32_u24_e32 v3, 0x84, v63
	v_sub_nc_u64_e32 v[60:61], 0, v[16:17]
	s_add_co_i32 s48, s38, 1
	v_mul_u32_u24_e32 v108, 0x84, v62
	v_cmp_gt_i32_e64 s1, s18, v16
	v_cmp_gt_i32_e64 s2, s18, v62
	s_ashr_i32 s19, s18, 31
	s_or_b32 s39, s14, vcc_lo
	s_lshl_b64 s[40:41], s[20:21], 5
	s_lshl_b64 s[42:43], s[20:21], 6
	v_cmp_gt_u32_e64 s8, v65, v16
	v_cmp_gt_u32_e64 s11, 32, v21
	;; [unrolled: 1-line block ×3, first 2 shown]
	v_mad_u32_u24 v113, 0x10c, v64, v4
	v_cmp_ge_u32_e64 s15, v65, v16
	v_add_nc_u32_e32 v115, 0x11c0, v67
	v_lshl_add_u32 v116, v0, 2, v65
	v_cmp_gt_i32_e64 s16, s16, v62
	v_cmp_eq_u32_e64 s17, 1, v62
	v_mul_i32_i24_e32 v117, -12, v62
	v_mad_u32_u24 v119, 0x430, v1, v20
	v_mad_u32_u24 v120, 0x10c, v1, v20
	v_dual_add_nc_u32 v121, v109, v65 :: v_dual_mov_b32 v21, v19
	v_add_nc_u32_e32 v122, 0x11c0, v65
	v_dual_add_nc_u32 v123, v107, v2 :: v_dual_add_nc_u32 v124, v107, v3
	v_add_nc_u32_e32 v17, 0x11c0, v20
	v_add_nc_u32_e32 v125, 0x10c0, v18
	s_mul_u64 s[46:47], s[28:29], s[54:55]
	s_cmp_lt_u32 s48, s36
	s_mul_u64 s[44:45], s[20:21], 0x60
	s_sub_nc_u64 s[46:47], 0, s[46:47]
	s_cselect_b32 s61, -1, 0
	s_add_co_i32 s62, s36, -2
	s_and_b32 s63, s0, s39
	s_mov_b64 s[48:49], 0xffffffffffffff80
	s_mov_b64 s[50:51], 0xffffffffffffff7c
	s_sub_nc_u64 s[52:53], 0, s[18:19]
	s_add_co_i32 s64, s54, 64
	s_lshl_b64 s[20:21], s[20:21], 8
	s_branch .LBB73_4
.LBB73_2:                               ;   in Loop: Header=BB73_4 Depth=1
	s_wait_xcnt 0x0
	s_or_b32 exec_lo, exec_lo, s56
.LBB73_3:                               ;   in Loop: Header=BB73_4 Depth=1
	s_add_co_i32 s34, s34, 0x10000
	s_delay_alu instid0(SALU_CYCLE_1)
	s_cmp_lt_u32 s34, s33
	s_cbranch_scc0 .LBB73_129
.LBB73_4:                               ; =>This Loop Header: Depth=1
                                        ;     Child Loop BB73_69 Depth 2
	s_and_not1_b32 vcc_lo, exec_lo, s59
	s_cbranch_vccnz .LBB73_3
; %bb.5:                                ;   in Loop: Header=BB73_4 Depth=1
	s_and_not1_b32 vcc_lo, exec_lo, s58
	s_cbranch_vccnz .LBB73_3
; %bb.6:                                ;   in Loop: Header=BB73_4 Depth=1
	s_mul_u64 s[54:55], s[30:31], s[34:35]
	s_delay_alu instid0(SALU_CYCLE_1)
	v_lshl_add_u64 v[4:5], s[54:55], 2, v[26:27]
	s_and_saveexec_b32 s54, s0
	s_cbranch_execz .LBB73_10
; %bb.7:                                ;   in Loop: Header=BB73_4 Depth=1
	v_mov_b32_e32 v0, 0
	s_and_saveexec_b32 s55, s39
	s_cbranch_execz .LBB73_9
; %bb.8:                                ;   in Loop: Header=BB73_4 Depth=1
	global_load_b32 v0, v[4:5], off
.LBB73_9:                               ;   in Loop: Header=BB73_4 Depth=1
	s_wait_xcnt 0x0
	s_or_b32 exec_lo, exec_lo, s55
	s_wait_loadcnt 0x0
	ds_store_b32 v17, v0
.LBB73_10:                              ;   in Loop: Header=BB73_4 Depth=1
	s_or_b32 exec_lo, exec_lo, s54
	s_mul_u64 s[54:55], s[22:23], s[34:35]
	s_and_b32 vcc_lo, exec_lo, s37
	v_lshl_add_u64 v[2:3], s[54:55], 2, v[24:25]
	s_mov_b32 s54, -1
                                        ; implicit-def: $vgpr0_vgpr1
	s_cbranch_vccz .LBB73_20
; %bb.11:                               ;   in Loop: Header=BB73_4 Depth=1
	s_delay_alu instid0(VALU_DEP_1) | instskip(SKIP_1) | instid1(VALU_DEP_2)
	v_lshl_add_u64 v[0:1], v[60:61], 2, v[2:3]
	v_mov_b32_e32 v7, 0
	v_lshl_add_u64 v[0:1], s[18:19], 2, v[0:1]
	s_delay_alu instid0(VALU_DEP_1) | instskip(NEXT) | instid1(VALU_DEP_1)
	v_add_nc_u64_e32 v[0:1], -4, v[0:1]
	v_dual_mov_b32 v8, 0 :: v_dual_cndmask_b32 v1, v1, v3, s1
	s_delay_alu instid0(VALU_DEP_2)
	v_cndmask_b32_e64 v0, v0, v2, s1
	s_and_saveexec_b32 s54, s2
	s_cbranch_execz .LBB73_13
; %bb.12:                               ;   in Loop: Header=BB73_4 Depth=1
	global_load_b32 v7, v[0:1], off
.LBB73_13:                              ;   in Loop: Header=BB73_4 Depth=1
	s_wait_xcnt 0x0
	s_or_b32 exec_lo, exec_lo, s54
	v_add_nc_u32_e32 v6, v107, v108
	s_wait_loadcnt 0x0
	ds_store_b32 v6, v7
	s_and_saveexec_b32 s54, s3
	s_cbranch_execz .LBB73_15
; %bb.14:                               ;   in Loop: Header=BB73_4 Depth=1
	v_add_nc_u64_e32 v[8:9], s[40:41], v[0:1]
	global_load_b32 v8, v[8:9], off
.LBB73_15:                              ;   in Loop: Header=BB73_4 Depth=1
	s_wait_xcnt 0x0
	s_or_b32 exec_lo, exec_lo, s54
	v_dual_mov_b32 v7, 0 :: v_dual_mov_b32 v9, 0
	s_wait_loadcnt 0x0
	ds_store_b32 v6, v8 offset:1056
	s_and_saveexec_b32 s54, s4
	s_cbranch_execz .LBB73_17
; %bb.16:                               ;   in Loop: Header=BB73_4 Depth=1
	v_add_nc_u64_e32 v[8:9], s[42:43], v[0:1]
	global_load_b32 v9, v[8:9], off
.LBB73_17:                              ;   in Loop: Header=BB73_4 Depth=1
	s_wait_xcnt 0x0
	s_or_b32 exec_lo, exec_lo, s54
	s_wait_loadcnt 0x0
	ds_store_b32 v6, v9 offset:2112
	s_and_saveexec_b32 s54, s5
	s_cbranch_execz .LBB73_19
; %bb.18:                               ;   in Loop: Header=BB73_4 Depth=1
	v_add_nc_u64_e32 v[8:9], s[44:45], v[0:1]
	global_load_b32 v7, v[8:9], off
.LBB73_19:                              ;   in Loop: Header=BB73_4 Depth=1
	s_wait_xcnt 0x0
	s_or_b32 exec_lo, exec_lo, s54
	v_lshlrev_b32_e32 v18, 2, v16
	s_mov_b32 s54, 0
	s_wait_loadcnt 0x0
	ds_store_b32 v6, v7 offset:3168
	v_add_nc_u64_e32 v[0:1], v[0:1], v[18:19]
	s_delay_alu instid0(VALU_DEP_1) | instskip(NEXT) | instid1(VALU_DEP_1)
	v_lshl_add_u64 v[0:1], s[52:53], 2, v[0:1]
	v_add_nc_u64_e32 v[0:1], 4, v[0:1]
	s_delay_alu instid0(VALU_DEP_1)
	v_dual_cndmask_b32 v1, v1, v3, s1 :: v_dual_cndmask_b32 v0, v0, v2, s1
.LBB73_20:                              ;   in Loop: Header=BB73_4 Depth=1
	v_add_nc_u32_e32 v8, v107, v108
	s_and_b32 vcc_lo, exec_lo, s54
	s_cbranch_vccz .LBB73_22
; %bb.21:                               ;   in Loop: Header=BB73_4 Depth=1
	v_add_nc_u64_e32 v[0:1], s[40:41], v[2:3]
	s_delay_alu instid0(VALU_DEP_1) | instskip(NEXT) | instid1(VALU_DEP_1)
	v_add_nc_u64_e32 v[6:7], s[40:41], v[0:1]
	v_add_nc_u64_e32 v[10:11], s[40:41], v[6:7]
	s_clause 0x3
	global_load_b32 v9, v[2:3], off
	global_load_b32 v12, v[0:1], off
	;; [unrolled: 1-line block ×4, first 2 shown]
	v_mov_b64_e32 v[0:1], v[2:3]
	s_wait_loadcnt 0x3
	ds_store_b32 v8, v9
	s_wait_loadcnt 0x2
	ds_store_b32 v8, v12 offset:1056
	s_wait_loadcnt 0x1
	ds_store_b32 v8, v6 offset:2112
	;; [unrolled: 2-line block ×3, first 2 shown]
.LBB73_22:                              ;   in Loop: Header=BB73_4 Depth=1
	s_wait_dscnt 0x0
	s_barrier_signal -1
	s_barrier_wait -1
	s_wait_xcnt 0x0
	s_and_saveexec_b32 s54, s8
	s_cbranch_execnz .LBB73_123
; %bb.23:                               ;   in Loop: Header=BB73_4 Depth=1
	s_or_b32 exec_lo, exec_lo, s54
	s_and_saveexec_b32 s54, s15
	s_cbranch_execnz .LBB73_124
.LBB73_24:                              ;   in Loop: Header=BB73_4 Depth=1
	s_or_b32 exec_lo, exec_lo, s54
	s_and_saveexec_b32 s54, s6
	s_cbranch_execnz .LBB73_125
.LBB73_25:                              ;   in Loop: Header=BB73_4 Depth=1
	s_or_b32 exec_lo, exec_lo, s54
	s_and_saveexec_b32 s54, s7
	s_cbranch_execz .LBB73_27
.LBB73_26:                              ;   in Loop: Header=BB73_4 Depth=1
	ds_load_b32 v2, v124 offset:264
	s_wait_dscnt 0x0
	ds_store_b32 v110, v2 offset:12
.LBB73_27:                              ;   in Loop: Header=BB73_4 Depth=1
	s_or_b32 exec_lo, exec_lo, s54
	s_wait_dscnt 0x0
	s_barrier_signal -1
	s_barrier_wait -1
	ds_load_2addr_b32 v[2:3], v124 offset1:33
	ds_load_b32 v6, v123
	ds_load_b128 v[10:13], v115
	ds_load_b32 v15, v124 offset:264
	s_wait_dscnt 0x0
	s_barrier_signal -1
	s_barrier_wait -1
	v_dual_mov_b32 v126, 0 :: v_dual_mov_b32 v7, v2
	v_mov_b32_e32 v14, v3
	s_delay_alu instid0(VALU_DEP_2) | instskip(NEXT) | instid1(VALU_DEP_2)
	v_pk_mul_f32 v[6:7], v[6:7], v[10:11]
	v_pk_mul_f32 v[2:3], v[14:15], v[12:13]
	s_delay_alu instid0(VALU_DEP_2) | instskip(NEXT) | instid1(VALU_DEP_1)
	v_add_f32_e32 v6, 0, v6
	v_add_f32_e32 v6, v6, v7
	s_delay_alu instid0(VALU_DEP_1) | instskip(NEXT) | instid1(VALU_DEP_1)
	v_add_f32_e32 v2, v6, v2
	v_add_f32_e32 v2, v2, v3
	ds_store_b32 v116, v2
	s_wait_dscnt 0x0
	s_barrier_signal -1
	s_barrier_wait -1
	s_and_saveexec_b32 s54, s11
	s_cbranch_execz .LBB73_29
; %bb.28:                               ;   in Loop: Header=BB73_4 Depth=1
	ds_load_2addr_b32 v[2:3], v109 offset1:1
	ds_load_2addr_b32 v[6:7], v109 offset0:2 offset1:3
	ds_load_2addr_b32 v[10:11], v109 offset0:4 offset1:5
	;; [unrolled: 1-line block ×3, first 2 shown]
	s_wait_dscnt 0x3
	v_add_f32_e32 v2, v2, v3
	s_wait_dscnt 0x2
	s_delay_alu instid0(VALU_DEP_1) | instskip(NEXT) | instid1(VALU_DEP_1)
	v_add_f32_e32 v2, v2, v6
	v_add_f32_e32 v2, v2, v7
	s_wait_dscnt 0x1
	s_delay_alu instid0(VALU_DEP_1) | instskip(NEXT) | instid1(VALU_DEP_1)
	v_add_f32_e32 v2, v2, v10
	v_add_f32_e32 v2, v2, v11
	s_wait_dscnt 0x0
	s_delay_alu instid0(VALU_DEP_1) | instskip(NEXT) | instid1(VALU_DEP_1)
	v_add_f32_e32 v2, v2, v12
	v_add_f32_e32 v126, v2, v13
.LBB73_29:                              ;   in Loop: Header=BB73_4 Depth=1
	s_or_b32 exec_lo, exec_lo, s54
	v_lshl_add_u64 v[6:7], s[40:41], 2, v[0:1]
	s_and_b32 vcc_lo, exec_lo, s37
	s_mov_b32 s54, -1
	s_barrier_signal -1
	s_delay_alu instid0(VALU_DEP_1)
	v_add_nc_u64_e32 v[2:3], 0x80, v[6:7]
	s_barrier_wait -1
                                        ; implicit-def: $vgpr0_vgpr1
	s_cbranch_vccz .LBB73_39
; %bb.30:                               ;   in Loop: Header=BB73_4 Depth=1
	v_lshl_add_u64 v[0:1], v[60:61], 2, v[6:7]
	v_mov_b32_e32 v9, 0
	s_delay_alu instid0(VALU_DEP_2) | instskip(NEXT) | instid1(VALU_DEP_1)
	v_lshl_add_u64 v[0:1], s[18:19], 2, v[0:1]
	v_add_nc_u64_e32 v[0:1], -4, v[0:1]
	s_delay_alu instid0(VALU_DEP_1) | instskip(NEXT) | instid1(VALU_DEP_2)
	v_dual_mov_b32 v10, 0 :: v_dual_cndmask_b32 v1, v1, v3, s9
	v_cndmask_b32_e64 v0, v0, v2, s9
	s_and_saveexec_b32 s54, s16
	s_cbranch_execz .LBB73_32
; %bb.31:                               ;   in Loop: Header=BB73_4 Depth=1
	global_load_b32 v9, v[0:1], off
.LBB73_32:                              ;   in Loop: Header=BB73_4 Depth=1
	s_wait_xcnt 0x0
	s_or_b32 exec_lo, exec_lo, s54
	s_wait_loadcnt 0x0
	ds_store_b32 v8, v9
	s_and_saveexec_b32 s54, s10
	s_cbranch_execz .LBB73_34
; %bb.33:                               ;   in Loop: Header=BB73_4 Depth=1
	v_add_nc_u64_e32 v[10:11], s[40:41], v[0:1]
	global_load_b32 v10, v[10:11], off
.LBB73_34:                              ;   in Loop: Header=BB73_4 Depth=1
	s_wait_xcnt 0x0
	s_or_b32 exec_lo, exec_lo, s54
	v_dual_mov_b32 v9, 0 :: v_dual_mov_b32 v11, 0
	s_wait_loadcnt 0x0
	ds_store_b32 v8, v10 offset:1056
	s_and_saveexec_b32 s54, s12
	s_cbranch_execz .LBB73_36
; %bb.35:                               ;   in Loop: Header=BB73_4 Depth=1
	v_add_nc_u64_e32 v[10:11], s[42:43], v[0:1]
	global_load_b32 v11, v[10:11], off
.LBB73_36:                              ;   in Loop: Header=BB73_4 Depth=1
	s_wait_xcnt 0x0
	s_or_b32 exec_lo, exec_lo, s54
	s_wait_loadcnt 0x0
	ds_store_b32 v8, v11 offset:2112
	s_and_saveexec_b32 s54, s13
	s_cbranch_execz .LBB73_38
; %bb.37:                               ;   in Loop: Header=BB73_4 Depth=1
	v_add_nc_u64_e32 v[10:11], s[44:45], v[0:1]
	global_load_b32 v9, v[10:11], off
.LBB73_38:                              ;   in Loop: Header=BB73_4 Depth=1
	s_wait_xcnt 0x0
	s_or_b32 exec_lo, exec_lo, s54
	v_lshlrev_b32_e32 v18, 2, v16
	s_mov_b32 s54, 0
	s_wait_loadcnt 0x0
	ds_store_b32 v8, v9 offset:3168
	v_add_nc_u64_e32 v[0:1], v[0:1], v[18:19]
	s_delay_alu instid0(VALU_DEP_1) | instskip(NEXT) | instid1(VALU_DEP_1)
	v_lshl_add_u64 v[0:1], s[52:53], 2, v[0:1]
	v_add_nc_u64_e32 v[0:1], 0x84, v[0:1]
	s_delay_alu instid0(VALU_DEP_1)
	v_dual_cndmask_b32 v1, v1, v3, s9 :: v_dual_cndmask_b32 v0, v0, v2, s9
.LBB73_39:                              ;   in Loop: Header=BB73_4 Depth=1
	s_and_b32 vcc_lo, exec_lo, s54
	s_cbranch_vccz .LBB73_41
; %bb.40:                               ;   in Loop: Header=BB73_4 Depth=1
	v_add_nc_u64_e32 v[0:1], s[40:41], v[6:7]
	s_delay_alu instid0(VALU_DEP_1) | instskip(NEXT) | instid1(VALU_DEP_1)
	v_add_nc_u64_e32 v[10:11], s[40:41], v[0:1]
	v_add_nc_u64_e32 v[12:13], s[40:41], v[10:11]
	s_clause 0x3
	global_load_b32 v6, v[6:7], off offset:128
	global_load_b32 v7, v[0:1], off offset:128
	;; [unrolled: 1-line block ×4, first 2 shown]
	v_mov_b64_e32 v[0:1], v[2:3]
	s_wait_loadcnt 0x3
	ds_store_b32 v8, v6
	s_wait_loadcnt 0x2
	ds_store_b32 v8, v7 offset:1056
	s_wait_loadcnt 0x1
	ds_store_b32 v8, v9 offset:2112
	;; [unrolled: 2-line block ×3, first 2 shown]
.LBB73_41:                              ;   in Loop: Header=BB73_4 Depth=1
	s_wait_dscnt 0x0
	s_barrier_signal -1
	s_barrier_wait -1
	s_wait_xcnt 0x0
	s_and_saveexec_b32 s54, s8
	s_cbranch_execnz .LBB73_126
; %bb.42:                               ;   in Loop: Header=BB73_4 Depth=1
	s_or_b32 exec_lo, exec_lo, s54
	s_and_saveexec_b32 s54, s15
	s_cbranch_execnz .LBB73_127
.LBB73_43:                              ;   in Loop: Header=BB73_4 Depth=1
	s_or_b32 exec_lo, exec_lo, s54
	s_and_saveexec_b32 s54, s6
	s_cbranch_execnz .LBB73_128
.LBB73_44:                              ;   in Loop: Header=BB73_4 Depth=1
	s_or_b32 exec_lo, exec_lo, s54
	s_and_saveexec_b32 s54, s7
	s_cbranch_execz .LBB73_46
.LBB73_45:                              ;   in Loop: Header=BB73_4 Depth=1
	ds_load_b32 v2, v124 offset:264
	s_wait_dscnt 0x0
	ds_store_b32 v110, v2 offset:12
.LBB73_46:                              ;   in Loop: Header=BB73_4 Depth=1
	s_or_b32 exec_lo, exec_lo, s54
	s_wait_dscnt 0x0
	s_barrier_signal -1
	s_barrier_wait -1
	ds_load_2addr_b32 v[2:3], v124 offset1:33
	ds_load_b32 v6, v123
	ds_load_b128 v[10:13], v115 offset:128
	ds_load_b32 v15, v124 offset:264
	s_wait_dscnt 0x0
	s_barrier_signal -1
	s_barrier_wait -1
	v_dual_mov_b32 v7, v2 :: v_dual_mov_b32 v14, v3
	s_delay_alu instid0(VALU_DEP_1) | instskip(NEXT) | instid1(VALU_DEP_2)
	v_pk_mul_f32 v[6:7], v[6:7], v[10:11]
	v_pk_mul_f32 v[2:3], v[14:15], v[12:13]
	s_delay_alu instid0(VALU_DEP_2) | instskip(NEXT) | instid1(VALU_DEP_1)
	v_add_f32_e32 v6, 0, v6
	v_add_f32_e32 v6, v6, v7
	s_delay_alu instid0(VALU_DEP_1) | instskip(NEXT) | instid1(VALU_DEP_1)
	v_add_f32_e32 v2, v6, v2
	v_add_f32_e32 v2, v2, v3
	ds_store_b32 v116, v2
	s_wait_dscnt 0x0
	s_barrier_signal -1
	s_barrier_wait -1
	s_and_saveexec_b32 s54, s17
	s_cbranch_execz .LBB73_48
; %bb.47:                               ;   in Loop: Header=BB73_4 Depth=1
	ds_load_2addr_b32 v[2:3], v109 offset1:1
	ds_load_2addr_b32 v[6:7], v109 offset0:2 offset1:3
	ds_load_2addr_b32 v[10:11], v109 offset0:4 offset1:5
	;; [unrolled: 1-line block ×3, first 2 shown]
	s_wait_dscnt 0x3
	v_add_f32_e32 v2, v2, v3
	s_wait_dscnt 0x2
	s_delay_alu instid0(VALU_DEP_1) | instskip(NEXT) | instid1(VALU_DEP_1)
	v_add_f32_e32 v2, v2, v6
	v_add_f32_e32 v2, v2, v7
	s_wait_dscnt 0x1
	s_delay_alu instid0(VALU_DEP_1) | instskip(NEXT) | instid1(VALU_DEP_1)
	v_add_f32_e32 v2, v2, v10
	;; [unrolled: 4-line block ×3, first 2 shown]
	v_add_f32_e32 v126, v2, v13
.LBB73_48:                              ;   in Loop: Header=BB73_4 Depth=1
	s_or_b32 exec_lo, exec_lo, s54
	v_add_nc_u64_e32 v[2:3], s[48:49], v[0:1]
	s_and_b32 vcc_lo, exec_lo, s37
	s_mov_b32 s54, -1
	s_barrier_signal -1
	s_barrier_wait -1
                                        ; implicit-def: $vgpr6_vgpr7
	s_cbranch_vccz .LBB73_58
; %bb.49:                               ;   in Loop: Header=BB73_4 Depth=1
	v_lshl_add_u64 v[6:7], v[60:61], 2, v[0:1]
	v_mov_b32_e32 v9, 0
	s_delay_alu instid0(VALU_DEP_2) | instskip(NEXT) | instid1(VALU_DEP_1)
	v_lshl_add_u64 v[6:7], s[18:19], 2, v[6:7]
	v_add_nc_u64_e32 v[6:7], s[50:51], v[6:7]
	s_delay_alu instid0(VALU_DEP_1) | instskip(NEXT) | instid1(VALU_DEP_2)
	v_dual_mov_b32 v10, 0 :: v_dual_cndmask_b32 v7, v7, v3, s1
	v_cndmask_b32_e64 v6, v6, v2, s1
	s_and_saveexec_b32 s54, s16
	s_cbranch_execz .LBB73_51
; %bb.50:                               ;   in Loop: Header=BB73_4 Depth=1
	global_load_b32 v9, v[6:7], off
.LBB73_51:                              ;   in Loop: Header=BB73_4 Depth=1
	s_wait_xcnt 0x0
	s_or_b32 exec_lo, exec_lo, s54
	s_wait_loadcnt 0x0
	ds_store_b32 v8, v9
	s_and_saveexec_b32 s54, s10
	s_cbranch_execz .LBB73_53
; %bb.52:                               ;   in Loop: Header=BB73_4 Depth=1
	v_add_nc_u64_e32 v[10:11], s[40:41], v[6:7]
	global_load_b32 v10, v[10:11], off
.LBB73_53:                              ;   in Loop: Header=BB73_4 Depth=1
	s_wait_xcnt 0x0
	s_or_b32 exec_lo, exec_lo, s54
	v_dual_mov_b32 v9, 0 :: v_dual_mov_b32 v11, 0
	s_wait_loadcnt 0x0
	ds_store_b32 v8, v10 offset:1056
	s_and_saveexec_b32 s54, s12
	s_cbranch_execz .LBB73_55
; %bb.54:                               ;   in Loop: Header=BB73_4 Depth=1
	v_add_nc_u64_e32 v[10:11], s[42:43], v[6:7]
	global_load_b32 v11, v[10:11], off
.LBB73_55:                              ;   in Loop: Header=BB73_4 Depth=1
	s_wait_xcnt 0x0
	s_or_b32 exec_lo, exec_lo, s54
	s_wait_loadcnt 0x0
	ds_store_b32 v8, v11 offset:2112
	s_and_saveexec_b32 s54, s13
	s_cbranch_execz .LBB73_57
; %bb.56:                               ;   in Loop: Header=BB73_4 Depth=1
	v_add_nc_u64_e32 v[10:11], s[44:45], v[6:7]
	global_load_b32 v9, v[10:11], off
.LBB73_57:                              ;   in Loop: Header=BB73_4 Depth=1
	s_wait_xcnt 0x0
	s_or_b32 exec_lo, exec_lo, s54
	v_lshlrev_b32_e32 v18, 2, v16
	s_mov_b32 s54, 0
	s_wait_loadcnt 0x0
	ds_store_b32 v8, v9 offset:3168
	v_add_nc_u64_e32 v[6:7], v[6:7], v[18:19]
	s_delay_alu instid0(VALU_DEP_1) | instskip(NEXT) | instid1(VALU_DEP_1)
	v_lshl_add_u64 v[6:7], s[52:53], 2, v[6:7]
	v_add_nc_u64_e32 v[6:7], 4, v[6:7]
	s_delay_alu instid0(VALU_DEP_1)
	v_dual_cndmask_b32 v7, v7, v3, s1 :: v_dual_cndmask_b32 v6, v6, v2, s1
.LBB73_58:                              ;   in Loop: Header=BB73_4 Depth=1
	s_and_b32 vcc_lo, exec_lo, s54
	s_cbranch_vccz .LBB73_60
; %bb.59:                               ;   in Loop: Header=BB73_4 Depth=1
	v_add_nc_u64_e32 v[6:7], s[40:41], v[0:1]
	s_delay_alu instid0(VALU_DEP_1) | instskip(NEXT) | instid1(VALU_DEP_1)
	v_add_nc_u64_e32 v[10:11], s[40:41], v[6:7]
	v_add_nc_u64_e32 v[12:13], s[40:41], v[10:11]
	s_clause 0x3
	global_load_b32 v0, v[0:1], off offset:-128
	global_load_b32 v1, v[6:7], off offset:-128
	global_load_b32 v9, v[10:11], off offset:-128
	global_load_b32 v10, v[12:13], off offset:-128
	v_mov_b64_e32 v[6:7], v[2:3]
	s_wait_loadcnt 0x3
	ds_store_b32 v8, v0
	s_wait_loadcnt 0x2
	ds_store_b32 v8, v1 offset:1056
	s_wait_loadcnt 0x1
	ds_store_b32 v8, v9 offset:2112
	;; [unrolled: 2-line block ×3, first 2 shown]
.LBB73_60:                              ;   in Loop: Header=BB73_4 Depth=1
	v_dual_add_nc_u32 v9, v110, v117 :: v_dual_add_nc_u32 v8, v115, v117
	s_wait_dscnt 0x0
	s_barrier_signal -1
	s_barrier_wait -1
	ds_load_2addr_b32 v[0:1], v121 offset0:8 offset1:16
	ds_load_2addr_b32 v[2:3], v122 offset0:8 offset1:16
	ds_load_b32 v8, v8
	s_wait_xcnt 0x0
	ds_load_b32 v12, v9
	ds_load_b32 v15, v121 offset:96
	ds_load_b32 v63, v122 offset:96
	;; [unrolled: 1-line block ×3, first 2 shown]
	ds_load_b32 v11, v123
	s_wait_dscnt 0x6
	v_dual_mov_b32 v13, v0 :: v_dual_mov_b32 v9, v2
	v_dual_mov_b32 v14, v1 :: v_dual_mov_b32 v62, v3
	s_wait_dscnt 0x4
	s_delay_alu instid0(VALU_DEP_2)
	v_pk_mul_f32 v[12:13], v[12:13], v[8:9]
	ds_load_2addr_b32 v[8:9], v124 offset1:33
	ds_load_b128 v[0:3], v115 offset:128
	s_wait_dscnt 0x4
	v_pk_mul_f32 v[14:15], v[14:15], v[62:63]
	s_wait_dscnt 0x0
	s_barrier_signal -1
	v_add_f32_e32 v12, 0, v12
	s_barrier_wait -1
	s_delay_alu instid0(VALU_DEP_1) | instskip(NEXT) | instid1(VALU_DEP_1)
	v_add_f32_e32 v12, v12, v13
	v_add_f32_e32 v12, v12, v14
	s_delay_alu instid0(VALU_DEP_1)
	v_add_f32_e32 v12, v12, v15
	ds_store_b32 v116, v12
	s_wait_dscnt 0x0
	s_barrier_signal -1
	s_barrier_wait -1
	s_and_saveexec_b32 s54, s17
	s_cbranch_execz .LBB73_62
; %bb.61:                               ;   in Loop: Header=BB73_4 Depth=1
	ds_load_2addr_b32 v[12:13], v109 offset1:1
	ds_load_2addr_b32 v[14:15], v109 offset0:2 offset1:3
	ds_load_2addr_b32 v[62:63], v109 offset0:4 offset1:5
	;; [unrolled: 1-line block ×3, first 2 shown]
	s_wait_dscnt 0x3
	v_add_f32_e32 v12, v126, v12
	s_delay_alu instid0(VALU_DEP_1) | instskip(SKIP_1) | instid1(VALU_DEP_1)
	v_add_f32_e32 v12, v12, v13
	s_wait_dscnt 0x2
	v_add_f32_e32 v12, v12, v14
	s_delay_alu instid0(VALU_DEP_1) | instskip(SKIP_1) | instid1(VALU_DEP_1)
	v_add_f32_e32 v12, v12, v15
	;; [unrolled: 4-line block ×3, first 2 shown]
	s_wait_dscnt 0x0
	v_add_f32_e32 v12, v12, v64
	s_delay_alu instid0(VALU_DEP_1)
	v_add_f32_e32 v126, v12, v65
.LBB73_62:                              ;   in Loop: Header=BB73_4 Depth=1
	s_or_b32 exec_lo, exec_lo, s54
	v_fma_f32 v0, v11, v0, 0
	s_barrier_signal -1
	s_barrier_wait -1
	s_delay_alu instid0(VALU_DEP_1) | instskip(NEXT) | instid1(VALU_DEP_1)
	v_fmac_f32_e32 v0, v8, v1
	v_fmac_f32_e32 v0, v9, v2
	s_delay_alu instid0(VALU_DEP_1)
	v_fmac_f32_e32 v0, v10, v3
	ds_store_b32 v116, v0
	s_wait_dscnt 0x0
	s_barrier_signal -1
	s_barrier_wait -1
	s_and_saveexec_b32 s54, s11
	s_cbranch_execz .LBB73_64
; %bb.63:                               ;   in Loop: Header=BB73_4 Depth=1
	ds_load_2addr_b32 v[0:1], v109 offset1:1
	ds_load_2addr_b32 v[2:3], v109 offset0:2 offset1:3
	ds_load_2addr_b32 v[8:9], v109 offset0:4 offset1:5
	;; [unrolled: 1-line block ×3, first 2 shown]
	s_wait_dscnt 0x3
	v_add_f32_e32 v0, v126, v0
	s_delay_alu instid0(VALU_DEP_1) | instskip(SKIP_1) | instid1(VALU_DEP_1)
	v_add_f32_e32 v0, v0, v1
	s_wait_dscnt 0x2
	v_add_f32_e32 v0, v0, v2
	s_delay_alu instid0(VALU_DEP_1) | instskip(SKIP_1) | instid1(VALU_DEP_1)
	v_add_f32_e32 v0, v0, v3
	;; [unrolled: 4-line block ×3, first 2 shown]
	s_wait_dscnt 0x0
	v_add_f32_e32 v0, v0, v10
	s_delay_alu instid0(VALU_DEP_1)
	v_add_f32_e32 v126, v0, v11
.LBB73_64:                              ;   in Loop: Header=BB73_4 Depth=1
	s_or_b32 exec_lo, exec_lo, s54
	s_mul_u64 s[54:55], s[24:25], s[34:35]
	s_and_not1_b32 vcc_lo, exec_lo, s61
	s_lshl_b64 s[54:55], s[54:55], 2
	s_delay_alu instid0(SALU_CYCLE_1)
	s_add_nc_u64 s[54:55], s[26:27], s[54:55]
	s_barrier_signal -1
	s_barrier_wait -1
	s_cbranch_vccnz .LBB73_121
; %bb.65:                               ;   in Loop: Header=BB73_4 Depth=1
	v_add_nc_u64_e32 v[62:63], v[6:7], v[28:29]
	v_add_nc_u64_e32 v[64:65], v[6:7], v[30:31]
	v_add_nc_u64_e32 v[66:67], v[6:7], v[32:33]
	v_add_nc_u64_e32 v[68:69], v[6:7], v[34:35]
	v_add_nc_u64_e32 v[70:71], v[6:7], v[36:37]
	v_add_nc_u64_e32 v[72:73], v[6:7], v[38:39]
	v_add_nc_u64_e32 v[74:75], v[6:7], v[40:41]
	v_add_nc_u64_e32 v[76:77], v[6:7], v[42:43]
	v_add_nc_u64_e32 v[78:79], v[6:7], v[44:45]
	v_add_nc_u64_e32 v[80:81], v[6:7], v[46:47]
	v_add_nc_u64_e32 v[82:83], v[6:7], v[48:49]
	v_add_nc_u64_e32 v[84:85], v[6:7], v[50:51]
	v_add_nc_u64_e32 v[86:87], v[6:7], v[52:53]
	v_add_nc_u64_e32 v[88:89], v[6:7], v[54:55]
	v_add_nc_u64_e32 v[90:91], v[6:7], v[56:57]
	v_add_nc_u64_e32 v[92:93], v[6:7], v[58:59]
	v_lshl_add_u64 v[94:95], s[46:47], 2, v[4:5]
	s_mov_b32 s56, s64
	s_mov_b32 s65, s38
	s_delay_alu instid0(SALU_CYCLE_1)
	s_cmp_eq_u32 s62, s65
	s_cselect_b32 s66, s60, 0
	s_and_saveexec_b32 s67, s0
	s_cbranch_execz .LBB73_69
.LBB73_66:                              ;   in Loop: Header=BB73_4 Depth=1
	v_cmp_gt_i32_e32 vcc_lo, s66, v106
	s_cmp_eq_u32 s66, 0
	v_mov_b32_e32 v0, 0
	s_cselect_b32 s57, -1, 0
	s_delay_alu instid0(SALU_CYCLE_1) | instskip(NEXT) | instid1(SALU_CYCLE_1)
	s_or_b32 s57, s57, vcc_lo
	s_and_saveexec_b32 s68, s57
	s_cbranch_execz .LBB73_68
; %bb.67:                               ;   in Loop: Header=BB73_4 Depth=1
	s_ashr_i32 s57, s56, 31
	s_delay_alu instid0(SALU_CYCLE_1) | instskip(NEXT) | instid1(SALU_CYCLE_1)
	s_mul_u64 s[70:71], s[28:29], s[56:57]
	v_lshl_add_u64 v[0:1], s[70:71], 2, v[94:95]
	global_load_b32 v0, v[0:1], off
.LBB73_68:                              ;   in Loop: Header=BB73_4 Depth=1
	s_wait_xcnt 0x0
	s_or_b32 exec_lo, exec_lo, s68
	v_add_nc_u32_e32 v1, 0x10c0, v20
	s_wait_loadcnt 0x0
	ds_store_b32 v1, v0
.LBB73_69:                              ;   Parent Loop BB73_4 Depth=1
                                        ; =>  This Inner Loop Header: Depth=2
	s_or_b32 exec_lo, exec_lo, s67
	s_cmp_eq_u32 s66, 0
	v_add_nc_u64_e32 v[0:1], v[62:63], v[20:21]
	s_cselect_b32 s57, -1, 0
	s_cmp_lg_u32 s66, 0
	s_mov_b32 s68, -1
	s_cselect_b32 s67, -1, 0
	s_wait_dscnt 0x0
	s_and_b32 vcc_lo, exec_lo, s67
	s_barrier_signal -1
	s_barrier_wait -1
                                        ; implicit-def: $vgpr128
                                        ; implicit-def: $vgpr129
                                        ; implicit-def: $vgpr18
                                        ; implicit-def: $vgpr127
	s_cbranch_vccz .LBB73_79
; %bb.70:                               ;   in Loop: Header=BB73_69 Depth=2
	v_dual_mov_b32 v18, 0 :: v_dual_mov_b32 v127, 0
	s_mov_b32 s68, exec_lo
	v_cmpx_gt_i32_e64 s66, v118
	s_cbranch_execz .LBB73_72
; %bb.71:                               ;   in Loop: Header=BB73_69 Depth=2
	global_load_b32 v127, v[0:1], off
.LBB73_72:                              ;   in Loop: Header=BB73_69 Depth=2
	s_wait_xcnt 0x0
	s_or_b32 exec_lo, exec_lo, s68
	v_or_b32_e32 v2, 1, v118
	s_mov_b32 s68, exec_lo
	s_delay_alu instid0(VALU_DEP_1)
	v_cmpx_gt_i32_e64 s66, v2
	s_cbranch_execz .LBB73_74
; %bb.73:                               ;   in Loop: Header=BB73_69 Depth=2
	v_add_nc_u64_e32 v[2:3], v[68:69], v[20:21]
	global_load_b32 v18, v[2:3], off
.LBB73_74:                              ;   in Loop: Header=BB73_69 Depth=2
	s_wait_xcnt 0x0
	s_or_b32 exec_lo, exec_lo, s68
	v_dual_mov_b32 v128, 0 :: v_dual_bitop2_b32 v2, 2, v118 bitop3:0x54
	v_mov_b32_e32 v129, 0
	s_mov_b32 s68, exec_lo
	s_delay_alu instid0(VALU_DEP_2)
	v_cmpx_gt_i32_e64 s66, v2
	s_cbranch_execz .LBB73_76
; %bb.75:                               ;   in Loop: Header=BB73_69 Depth=2
	v_add_nc_u64_e32 v[2:3], v[64:65], v[20:21]
	global_load_b32 v129, v[2:3], off
.LBB73_76:                              ;   in Loop: Header=BB73_69 Depth=2
	s_wait_xcnt 0x0
	s_or_b32 exec_lo, exec_lo, s68
	v_or_b32_e32 v2, 3, v118
	s_mov_b32 s68, exec_lo
	s_delay_alu instid0(VALU_DEP_1)
	v_cmpx_gt_i32_e64 s66, v2
	s_cbranch_execz .LBB73_78
; %bb.77:                               ;   in Loop: Header=BB73_69 Depth=2
	v_add_nc_u64_e32 v[2:3], v[66:67], v[20:21]
	global_load_b32 v128, v[2:3], off
.LBB73_78:                              ;   in Loop: Header=BB73_69 Depth=2
	s_wait_xcnt 0x0
	s_or_b32 exec_lo, exec_lo, s68
	s_mov_b32 s68, 0
.LBB73_79:                              ;   in Loop: Header=BB73_69 Depth=2
	s_delay_alu instid0(SALU_CYCLE_1)
	s_and_b32 vcc_lo, exec_lo, s68
	s_cbranch_vccz .LBB73_81
; %bb.80:                               ;   in Loop: Header=BB73_69 Depth=2
	v_add_nc_u64_e32 v[2:3], v[68:69], v[20:21]
	v_add_nc_u64_e32 v[4:5], v[64:65], v[20:21]
	;; [unrolled: 1-line block ×3, first 2 shown]
	s_wait_loadcnt 0x0
	global_load_b32 v127, v[0:1], off
	global_load_b32 v18, v[2:3], off
	;; [unrolled: 1-line block ×4, first 2 shown]
.LBB73_81:                              ;   in Loop: Header=BB73_69 Depth=2
	s_wait_xcnt 0x1
	ds_load_b32 v4, v17
	ds_load_b128 v[0:3], v125
	v_cndmask_b32_e64 v104, 0, 1, s67
	s_and_not1_b32 vcc_lo, exec_lo, s67
	s_mov_b32 s67, -1
                                        ; implicit-def: $vgpr132
                                        ; implicit-def: $vgpr133
                                        ; implicit-def: $vgpr130
                                        ; implicit-def: $vgpr131
	s_wait_loadcnt_dscnt 0x1
	s_wait_xcnt 0x0
	v_dual_mul_f32 v5, v127, v4 :: v_dual_mul_f32 v6, v18, v4
	v_dual_mul_f32 v7, v129, v4 :: v_dual_mul_f32 v4, v128, v4
	ds_store_2addr_b32 v119, v5, v6 offset1:67
	ds_store_2addr_b32 v119, v7, v4 offset0:134 offset1:201
	s_wait_dscnt 0x0
	s_barrier_signal -1
	s_barrier_wait -1
	ds_load_2addr_b32 v[14:15], v114 offset1:1
	ds_load_2addr_b32 v[12:13], v114 offset0:2 offset1:3
	v_add_nc_u64_e32 v[4:5], v[70:71], v[20:21]
	s_wait_dscnt 0x0
	s_barrier_signal -1
	s_barrier_wait -1
	s_cbranch_vccnz .LBB73_91
; %bb.82:                               ;   in Loop: Header=BB73_69 Depth=2
	v_dual_add_nc_u32 v6, 16, v118 :: v_dual_mov_b32 v130, 0
	v_mov_b32_e32 v131, 0
	s_mov_b32 s67, exec_lo
	s_delay_alu instid0(VALU_DEP_2)
	v_cmpx_gt_i32_e64 s66, v6
	s_cbranch_execz .LBB73_84
; %bb.83:                               ;   in Loop: Header=BB73_69 Depth=2
	global_load_b32 v131, v[4:5], off
.LBB73_84:                              ;   in Loop: Header=BB73_69 Depth=2
	s_wait_xcnt 0x0
	s_or_b32 exec_lo, exec_lo, s67
	v_add_nc_u32_e32 v6, 17, v118
	s_mov_b32 s67, exec_lo
	s_delay_alu instid0(VALU_DEP_1)
	v_cmpx_gt_i32_e64 s66, v6
	s_cbranch_execz .LBB73_86
; %bb.85:                               ;   in Loop: Header=BB73_69 Depth=2
	v_add_nc_u64_e32 v[6:7], v[72:73], v[20:21]
	global_load_b32 v130, v[6:7], off
.LBB73_86:                              ;   in Loop: Header=BB73_69 Depth=2
	s_wait_xcnt 0x0
	s_or_b32 exec_lo, exec_lo, s67
	v_dual_add_nc_u32 v6, 18, v118 :: v_dual_mov_b32 v132, 0
	v_mov_b32_e32 v133, 0
	s_mov_b32 s67, exec_lo
	s_delay_alu instid0(VALU_DEP_2)
	v_cmpx_gt_i32_e64 s66, v6
	s_cbranch_execz .LBB73_88
; %bb.87:                               ;   in Loop: Header=BB73_69 Depth=2
	v_add_nc_u64_e32 v[6:7], v[74:75], v[20:21]
	global_load_b32 v133, v[6:7], off
.LBB73_88:                              ;   in Loop: Header=BB73_69 Depth=2
	s_wait_xcnt 0x0
	s_or_b32 exec_lo, exec_lo, s67
	v_add_nc_u32_e32 v6, 19, v118
	s_mov_b32 s67, exec_lo
	s_delay_alu instid0(VALU_DEP_1)
	v_cmpx_gt_i32_e64 s66, v6
	s_cbranch_execz .LBB73_90
; %bb.89:                               ;   in Loop: Header=BB73_69 Depth=2
	v_add_nc_u64_e32 v[6:7], v[76:77], v[20:21]
	global_load_b32 v132, v[6:7], off
.LBB73_90:                              ;   in Loop: Header=BB73_69 Depth=2
	s_wait_xcnt 0x0
	s_or_b32 exec_lo, exec_lo, s67
	s_mov_b32 s67, 0
.LBB73_91:                              ;   in Loop: Header=BB73_69 Depth=2
	s_delay_alu instid0(SALU_CYCLE_1)
	s_and_b32 vcc_lo, exec_lo, s67
	s_cbranch_vccz .LBB73_93
; %bb.92:                               ;   in Loop: Header=BB73_69 Depth=2
	v_add_nc_u64_e32 v[6:7], v[72:73], v[20:21]
	v_add_nc_u64_e32 v[8:9], v[74:75], v[20:21]
	;; [unrolled: 1-line block ×3, first 2 shown]
	s_wait_loadcnt 0x0
	global_load_b32 v131, v[4:5], off
	global_load_b32 v130, v[6:7], off
	;; [unrolled: 1-line block ×4, first 2 shown]
.LBB73_93:                              ;   in Loop: Header=BB73_69 Depth=2
	s_wait_xcnt 0x1
	ds_load_b32 v8, v17
	ds_load_b128 v[4:7], v125 offset:64
	v_cmp_ne_u32_e32 vcc_lo, 1, v104
	s_mov_b32 s67, -1
                                        ; implicit-def: $vgpr136
                                        ; implicit-def: $vgpr137
                                        ; implicit-def: $vgpr134
                                        ; implicit-def: $vgpr135
	s_and_b32 vcc_lo, exec_lo, vcc_lo
	s_wait_loadcnt_dscnt 0x1
	s_wait_xcnt 0x0
	v_dual_mul_f32 v9, v131, v8 :: v_dual_mul_f32 v10, v130, v8
	v_dual_mul_f32 v11, v133, v8 :: v_dual_mul_f32 v8, v132, v8
	ds_store_2addr_b32 v119, v9, v10 offset1:67
	ds_store_2addr_b32 v119, v11, v8 offset0:134 offset1:201
	s_wait_dscnt 0x0
	s_barrier_signal -1
	s_barrier_wait -1
	ds_load_2addr_b32 v[98:99], v114 offset1:1
	ds_load_2addr_b32 v[96:97], v114 offset0:2 offset1:3
	v_add_nc_u64_e32 v[8:9], v[78:79], v[20:21]
	s_wait_dscnt 0x0
	s_barrier_signal -1
	s_barrier_wait -1
	s_cbranch_vccnz .LBB73_103
; %bb.94:                               ;   in Loop: Header=BB73_69 Depth=2
	v_dual_add_nc_u32 v10, 32, v118 :: v_dual_mov_b32 v134, 0
	v_mov_b32_e32 v135, 0
	s_mov_b32 s67, exec_lo
	s_delay_alu instid0(VALU_DEP_2)
	v_cmpx_gt_i32_e64 s66, v10
	s_cbranch_execz .LBB73_96
; %bb.95:                               ;   in Loop: Header=BB73_69 Depth=2
	global_load_b32 v135, v[8:9], off
.LBB73_96:                              ;   in Loop: Header=BB73_69 Depth=2
	s_wait_xcnt 0x0
	s_or_b32 exec_lo, exec_lo, s67
	v_add_nc_u32_e32 v10, 33, v118
	s_mov_b32 s67, exec_lo
	s_delay_alu instid0(VALU_DEP_1)
	v_cmpx_gt_i32_e64 s66, v10
	s_cbranch_execz .LBB73_98
; %bb.97:                               ;   in Loop: Header=BB73_69 Depth=2
	v_add_nc_u64_e32 v[10:11], v[80:81], v[20:21]
	global_load_b32 v134, v[10:11], off
.LBB73_98:                              ;   in Loop: Header=BB73_69 Depth=2
	s_wait_xcnt 0x0
	s_or_b32 exec_lo, exec_lo, s67
	v_dual_add_nc_u32 v10, 34, v118 :: v_dual_mov_b32 v136, 0
	v_mov_b32_e32 v137, 0
	s_mov_b32 s67, exec_lo
	s_delay_alu instid0(VALU_DEP_2)
	v_cmpx_gt_i32_e64 s66, v10
	s_cbranch_execz .LBB73_100
; %bb.99:                               ;   in Loop: Header=BB73_69 Depth=2
	v_add_nc_u64_e32 v[10:11], v[82:83], v[20:21]
	global_load_b32 v137, v[10:11], off
.LBB73_100:                             ;   in Loop: Header=BB73_69 Depth=2
	s_wait_xcnt 0x0
	s_or_b32 exec_lo, exec_lo, s67
	v_add_nc_u32_e32 v10, 35, v118
	s_mov_b32 s67, exec_lo
	s_delay_alu instid0(VALU_DEP_1)
	v_cmpx_gt_i32_e64 s66, v10
	s_cbranch_execz .LBB73_102
; %bb.101:                              ;   in Loop: Header=BB73_69 Depth=2
	v_add_nc_u64_e32 v[10:11], v[84:85], v[20:21]
	global_load_b32 v136, v[10:11], off
.LBB73_102:                             ;   in Loop: Header=BB73_69 Depth=2
	s_wait_xcnt 0x0
	s_or_b32 exec_lo, exec_lo, s67
	s_mov_b32 s67, 0
.LBB73_103:                             ;   in Loop: Header=BB73_69 Depth=2
	s_delay_alu instid0(SALU_CYCLE_1)
	s_and_b32 vcc_lo, exec_lo, s67
	s_cbranch_vccz .LBB73_105
; %bb.104:                              ;   in Loop: Header=BB73_69 Depth=2
	v_add_nc_u64_e32 v[10:11], v[80:81], v[20:21]
	v_add_nc_u64_e32 v[100:101], v[82:83], v[20:21]
	;; [unrolled: 1-line block ×3, first 2 shown]
	s_wait_loadcnt 0x0
	global_load_b32 v135, v[8:9], off
	global_load_b32 v134, v[10:11], off
	;; [unrolled: 1-line block ×4, first 2 shown]
.LBB73_105:                             ;   in Loop: Header=BB73_69 Depth=2
	s_wait_xcnt 0x1
	ds_load_b32 v100, v17
	ds_load_b128 v[8:11], v125 offset:128
	v_cmp_ne_u32_e32 vcc_lo, 1, v104
	v_add_nc_u64_e32 v[104:105], v[86:87], v[20:21]
	s_mov_b32 s67, -1
                                        ; implicit-def: $vgpr141
                                        ; implicit-def: $vgpr140
                                        ; implicit-def: $vgpr138
                                        ; implicit-def: $vgpr139
	s_and_b32 vcc_lo, exec_lo, vcc_lo
	s_wait_loadcnt_dscnt 0x1
	s_wait_xcnt 0x0
	v_dual_mul_f32 v101, v135, v100 :: v_dual_mul_f32 v102, v134, v100
	v_dual_mul_f32 v103, v137, v100 :: v_dual_mul_f32 v100, v136, v100
	ds_store_2addr_b32 v119, v101, v102 offset1:67
	ds_store_2addr_b32 v119, v103, v100 offset0:134 offset1:201
	s_wait_dscnt 0x0
	s_barrier_signal -1
	s_barrier_wait -1
	ds_load_2addr_b32 v[102:103], v114 offset1:1
	ds_load_2addr_b32 v[100:101], v114 offset0:2 offset1:3
	s_wait_dscnt 0x0
	s_barrier_signal -1
	s_barrier_wait -1
	s_cbranch_vccnz .LBB73_115
; %bb.106:                              ;   in Loop: Header=BB73_69 Depth=2
	v_dual_mov_b32 v138, 0 :: v_dual_add_nc_u32 v139, 48, v118
	s_delay_alu instid0(VALU_DEP_1)
	v_cmp_gt_i32_e32 vcc_lo, s66, v139
	v_mov_b32_e32 v139, 0
	s_and_saveexec_b32 s67, vcc_lo
	s_cbranch_execz .LBB73_108
; %bb.107:                              ;   in Loop: Header=BB73_69 Depth=2
	global_load_b32 v139, v[104:105], off
.LBB73_108:                             ;   in Loop: Header=BB73_69 Depth=2
	s_wait_xcnt 0x0
	s_or_b32 exec_lo, exec_lo, s67
	v_add_nc_u32_e32 v140, 49, v118
	s_mov_b32 s67, exec_lo
	s_delay_alu instid0(VALU_DEP_1)
	v_cmpx_gt_i32_e64 s66, v140
	s_cbranch_execz .LBB73_110
; %bb.109:                              ;   in Loop: Header=BB73_69 Depth=2
	v_add_nc_u64_e32 v[140:141], v[88:89], v[20:21]
	global_load_b32 v138, v[140:141], off
.LBB73_110:                             ;   in Loop: Header=BB73_69 Depth=2
	s_wait_xcnt 0x0
	s_or_b32 exec_lo, exec_lo, s67
	v_dual_mov_b32 v141, 0 :: v_dual_add_nc_u32 v140, 50, v118
	s_delay_alu instid0(VALU_DEP_1)
	v_cmp_gt_i32_e32 vcc_lo, s66, v140
	v_mov_b32_e32 v140, 0
	s_and_saveexec_b32 s67, vcc_lo
	s_cbranch_execz .LBB73_112
; %bb.111:                              ;   in Loop: Header=BB73_69 Depth=2
	v_add_nc_u64_e32 v[142:143], v[90:91], v[20:21]
	global_load_b32 v140, v[142:143], off
.LBB73_112:                             ;   in Loop: Header=BB73_69 Depth=2
	s_wait_xcnt 0x0
	s_or_b32 exec_lo, exec_lo, s67
	v_add_nc_u32_e32 v142, 51, v118
	s_mov_b32 s67, exec_lo
	s_delay_alu instid0(VALU_DEP_1)
	v_cmpx_gt_i32_e64 s66, v142
	s_cbranch_execz .LBB73_114
; %bb.113:                              ;   in Loop: Header=BB73_69 Depth=2
	v_add_nc_u64_e32 v[142:143], v[92:93], v[20:21]
	global_load_b32 v141, v[142:143], off
.LBB73_114:                             ;   in Loop: Header=BB73_69 Depth=2
	s_wait_xcnt 0x0
	s_or_b32 exec_lo, exec_lo, s67
	s_mov_b32 s67, 0
.LBB73_115:                             ;   in Loop: Header=BB73_69 Depth=2
	s_delay_alu instid0(SALU_CYCLE_1)
	s_and_b32 vcc_lo, exec_lo, s67
	s_cbranch_vccz .LBB73_117
; %bb.116:                              ;   in Loop: Header=BB73_69 Depth=2
	s_wait_loadcnt 0x0
	global_load_b32 v139, v[104:105], off
	s_wait_xcnt 0x0
	v_add_nc_u64_e32 v[104:105], v[88:89], v[20:21]
	global_load_b32 v138, v[104:105], off
	s_wait_xcnt 0x0
	v_add_nc_u64_e32 v[104:105], v[90:91], v[20:21]
	;; [unrolled: 3-line block ×3, first 2 shown]
	global_load_b32 v141, v[104:105], off
.LBB73_117:                             ;   in Loop: Header=BB73_69 Depth=2
	v_add_f32_e32 v102, 0, v102
	v_cmp_gt_i32_e32 vcc_lo, s66, v106
	v_add_f32_e32 v98, 0, v98
	s_delay_alu instid0(VALU_DEP_3) | instskip(SKIP_1) | instid1(VALU_DEP_2)
	v_dual_add_f32 v14, 0, v14 :: v_dual_add_f32 v102, v102, v103
	s_or_b32 s57, s57, vcc_lo
	v_add_f32_e32 v98, v98, v99
	s_and_b32 s66, s14, s57
	s_delay_alu instid0(VALU_DEP_2) | instskip(NEXT) | instid1(VALU_DEP_1)
	v_add_f32_e32 v14, v14, v15
	v_add_f32_e32 v12, v14, v12
	s_delay_alu instid0(VALU_DEP_1) | instskip(NEXT) | instid1(VALU_DEP_1)
	v_dual_add_f32 v96, v98, v96 :: v_dual_add_f32 v99, v12, v13
	v_dual_add_f32 v100, v102, v100 :: v_dual_add_f32 v98, v96, v97
	ds_load_b32 v96, v17
	ds_load_b128 v[12:15], v125 offset:192
	s_wait_loadcnt_dscnt 0x1
	v_dual_add_f32 v100, v100, v101 :: v_dual_mul_f32 v97, v139, v96
	v_mul_f32_e32 v101, v138, v96
	ds_store_2addr_b32 v119, v97, v101 offset1:67
	v_dual_mul_f32 v97, v140, v96 :: v_dual_mul_f32 v96, v141, v96
	ds_store_2addr_b32 v119, v97, v96 offset0:134 offset1:201
	s_wait_dscnt 0x0
	s_barrier_signal -1
	s_barrier_wait -1
	ds_load_2addr_b32 v[96:97], v114 offset1:1
	s_wait_dscnt 0x0
	v_add_f32_e32 v96, 0, v96
	s_delay_alu instid0(VALU_DEP_1)
	v_add_f32_e32 v101, v96, v97
	ds_load_2addr_b32 v[96:97], v114 offset0:2 offset1:3
	s_wait_dscnt 0x0
	s_barrier_signal -1
	s_barrier_wait -1
	v_add_f32_e32 v96, v101, v96
	s_delay_alu instid0(VALU_DEP_1)
	v_add_f32_e32 v96, v96, v97
	ds_store_2addr_b32 v111, v99, v98 offset1:16
	ds_store_2addr_b32 v111, v100, v96 offset0:32 offset1:48
	s_wait_dscnt 0x0
	s_barrier_signal -1
	s_barrier_wait -1
	s_wait_xcnt 0x0
	s_and_saveexec_b32 s57, s66
	s_cbranch_execz .LBB73_119
; %bb.118:                              ;   in Loop: Header=BB73_69 Depth=2
	ds_load_2addr_b32 v[96:97], v112 offset1:1
	ds_load_2addr_b32 v[98:99], v112 offset0:2 offset1:3
	ds_load_2addr_b32 v[100:101], v112 offset0:4 offset1:5
	;; [unrolled: 1-line block ×3, first 2 shown]
	s_wait_dscnt 0x3
	v_add_f32_e32 v96, v96, v97
	s_wait_dscnt 0x2
	s_delay_alu instid0(VALU_DEP_1) | instskip(NEXT) | instid1(VALU_DEP_1)
	v_add_f32_e32 v96, v96, v98
	v_add_f32_e32 v98, v96, v99
	ds_load_2addr_b32 v[96:97], v112 offset0:8 offset1:9
	s_wait_dscnt 0x2
	v_add_f32_e32 v98, v98, v100
	s_delay_alu instid0(VALU_DEP_1) | instskip(SKIP_3) | instid1(VALU_DEP_1)
	v_add_f32_e32 v100, v98, v101
	ds_load_2addr_b32 v[98:99], v112 offset0:10 offset1:11
	s_wait_dscnt 0x2
	v_add_f32_e32 v100, v100, v102
	v_add_f32_e32 v102, v100, v103
	ds_load_2addr_b32 v[100:101], v112 offset0:12 offset1:13
	ds_load_b32 v103, v112 offset:56
	s_wait_dscnt 0x3
	v_add_f32_e32 v96, v102, v96
	s_delay_alu instid0(VALU_DEP_1) | instskip(SKIP_3) | instid1(VALU_DEP_1)
	v_add_f32_e32 v96, v96, v97
	ds_load_b32 v97, v113
	s_wait_dscnt 0x3
	v_add_f32_e32 v96, v96, v98
	v_add_f32_e32 v96, v96, v99
	s_wait_dscnt 0x2
	s_delay_alu instid0(VALU_DEP_1) | instskip(NEXT) | instid1(VALU_DEP_1)
	v_add_f32_e32 v96, v96, v100
	v_add_f32_e32 v96, v96, v101
	s_wait_dscnt 0x1
	s_delay_alu instid0(VALU_DEP_1) | instskip(SKIP_1) | instid1(VALU_DEP_1)
	v_add_f32_e32 v96, v96, v103
	s_wait_dscnt 0x0
	v_dual_add_f32 v96, v96, v97 :: v_dual_add_nc_u32 v97, s56, v106
	global_store_b32 v97, v96, s[54:55] scale_offset
.LBB73_119:                             ;   in Loop: Header=BB73_69 Depth=2
	s_wait_xcnt 0x0
	s_or_b32 exec_lo, exec_lo, s57
	v_fmac_f32_e32 v126, v127, v0
	v_add_nc_u64_e32 v[62:63], s[20:21], v[62:63]
	v_add_nc_u64_e32 v[64:65], s[20:21], v[64:65]
	v_add_nc_u64_e32 v[66:67], s[20:21], v[66:67]
	v_add_nc_u64_e32 v[68:69], s[20:21], v[68:69]
	v_fmac_f32_e32 v126, v18, v1
	v_add_nc_u64_e32 v[70:71], s[20:21], v[70:71]
	v_add_nc_u64_e32 v[72:73], s[20:21], v[72:73]
	v_add_nc_u64_e32 v[74:75], s[20:21], v[74:75]
	v_add_nc_u64_e32 v[76:77], s[20:21], v[76:77]
	;; [unrolled: 5-line block ×4, first 2 shown]
	v_fmac_f32_e32 v126, v131, v4
	s_add_co_i32 s57, s65, 1
	s_add_co_i32 s65, s65, 2
	;; [unrolled: 1-line block ×3, first 2 shown]
	s_cmp_ge_u32 s65, s36
	v_fmac_f32_e32 v126, v130, v5
	s_wait_storecnt 0x0
	s_barrier_signal -1
	s_barrier_wait -1
	s_delay_alu instid0(VALU_DEP_1) | instskip(NEXT) | instid1(VALU_DEP_1)
	v_fmac_f32_e32 v126, v133, v6
	v_fmac_f32_e32 v126, v132, v7
	s_delay_alu instid0(VALU_DEP_1) | instskip(NEXT) | instid1(VALU_DEP_1)
	v_fmac_f32_e32 v126, v135, v8
	v_fmac_f32_e32 v126, v134, v9
	s_delay_alu instid0(VALU_DEP_1) | instskip(NEXT) | instid1(VALU_DEP_1)
	v_fmac_f32_e32 v126, v137, v10
	v_fmac_f32_e32 v126, v136, v11
	s_delay_alu instid0(VALU_DEP_1) | instskip(NEXT) | instid1(VALU_DEP_1)
	v_fmac_f32_e32 v126, v139, v12
	v_fmac_f32_e32 v126, v138, v13
	s_delay_alu instid0(VALU_DEP_1) | instskip(NEXT) | instid1(VALU_DEP_1)
	v_fmac_f32_e32 v126, v140, v14
	v_fmac_f32_e32 v126, v141, v15
	s_cbranch_scc1 .LBB73_121
; %bb.120:                              ;   in Loop: Header=BB73_69 Depth=2
	s_mov_b32 s65, s57
	s_delay_alu instid0(SALU_CYCLE_1)
	s_cmp_eq_u32 s62, s65
	s_cselect_b32 s66, s60, 0
	s_and_saveexec_b32 s67, s0
	s_cbranch_execnz .LBB73_66
	s_branch .LBB73_69
.LBB73_121:                             ;   in Loop: Header=BB73_4 Depth=1
	ds_store_b32 v120, v126
	s_wait_dscnt 0x0
	s_barrier_signal -1
	s_barrier_wait -1
	s_and_saveexec_b32 s56, s63
	s_cbranch_execz .LBB73_2
; %bb.122:                              ;   in Loop: Header=BB73_4 Depth=1
	ds_load_2addr_b32 v[0:1], v20 offset1:67
	ds_load_2addr_b32 v[2:3], v20 offset0:134 offset1:201
	s_wait_dscnt 0x1
	v_add_f32_e32 v0, v0, v1
	s_wait_dscnt 0x0
	s_delay_alu instid0(VALU_DEP_1) | instskip(NEXT) | instid1(VALU_DEP_1)
	v_add_f32_e32 v0, v0, v2
	v_add_f32_e32 v2, v0, v3
	v_lshl_add_u64 v[0:1], v[22:23], 2, s[54:55]
	global_store_b32 v[0:1], v2, off
	s_branch .LBB73_2
.LBB73_123:                             ;   in Loop: Header=BB73_4 Depth=1
	ds_load_b32 v2, v123
	s_wait_dscnt 0x0
	ds_store_b32 v110, v2
	s_or_b32 exec_lo, exec_lo, s54
	s_and_saveexec_b32 s54, s15
	s_cbranch_execz .LBB73_24
.LBB73_124:                             ;   in Loop: Header=BB73_4 Depth=1
	ds_load_b32 v2, v124
	s_wait_dscnt 0x0
	ds_store_b32 v110, v2 offset:4
	s_or_b32 exec_lo, exec_lo, s54
	s_and_saveexec_b32 s54, s6
	s_cbranch_execz .LBB73_25
.LBB73_125:                             ;   in Loop: Header=BB73_4 Depth=1
	ds_load_b32 v2, v124 offset:132
	s_wait_dscnt 0x0
	ds_store_b32 v110, v2 offset:8
	s_or_b32 exec_lo, exec_lo, s54
	s_and_saveexec_b32 s54, s7
	s_cbranch_execnz .LBB73_26
	s_branch .LBB73_27
.LBB73_126:                             ;   in Loop: Header=BB73_4 Depth=1
	ds_load_b32 v2, v123
	s_wait_dscnt 0x0
	ds_store_b32 v110, v2
	s_or_b32 exec_lo, exec_lo, s54
	s_and_saveexec_b32 s54, s15
	s_cbranch_execz .LBB73_43
.LBB73_127:                             ;   in Loop: Header=BB73_4 Depth=1
	ds_load_b32 v2, v124
	s_wait_dscnt 0x0
	ds_store_b32 v110, v2 offset:4
	s_or_b32 exec_lo, exec_lo, s54
	s_and_saveexec_b32 s54, s6
	s_cbranch_execz .LBB73_44
.LBB73_128:                             ;   in Loop: Header=BB73_4 Depth=1
	ds_load_b32 v2, v124 offset:132
	s_wait_dscnt 0x0
	ds_store_b32 v110, v2 offset:8
	s_or_b32 exec_lo, exec_lo, s54
	s_and_saveexec_b32 s54, s7
	s_cbranch_execnz .LBB73_45
	s_branch .LBB73_46
.LBB73_129:
	s_sendmsg sendmsg(MSG_DEALLOC_VGPRS)
	s_endpgm
	.section	.rodata,"a",@progbits
	.p2align	6, 0x0
	.amdhsa_kernel _ZL26rocblas_hemvn_kernel_upperILb0ELi64ELi4ELi33ELi32ELi16ElfPKfPfEviT6_lT7_lT5_lS4_lS5_lS3_lT8_i
		.amdhsa_group_segment_fixed_size 4800
		.amdhsa_private_segment_fixed_size 0
		.amdhsa_kernarg_size 368
		.amdhsa_user_sgpr_count 2
		.amdhsa_user_sgpr_dispatch_ptr 0
		.amdhsa_user_sgpr_queue_ptr 0
		.amdhsa_user_sgpr_kernarg_segment_ptr 1
		.amdhsa_user_sgpr_dispatch_id 0
		.amdhsa_user_sgpr_kernarg_preload_length 0
		.amdhsa_user_sgpr_kernarg_preload_offset 0
		.amdhsa_user_sgpr_private_segment_size 0
		.amdhsa_wavefront_size32 1
		.amdhsa_uses_dynamic_stack 0
		.amdhsa_enable_private_segment 0
		.amdhsa_system_sgpr_workgroup_id_x 1
		.amdhsa_system_sgpr_workgroup_id_y 0
		.amdhsa_system_sgpr_workgroup_id_z 1
		.amdhsa_system_sgpr_workgroup_info 0
		.amdhsa_system_vgpr_workitem_id 1
		.amdhsa_next_free_vgpr 144
		.amdhsa_next_free_sgpr 72
		.amdhsa_named_barrier_count 0
		.amdhsa_reserve_vcc 1
		.amdhsa_float_round_mode_32 0
		.amdhsa_float_round_mode_16_64 0
		.amdhsa_float_denorm_mode_32 3
		.amdhsa_float_denorm_mode_16_64 3
		.amdhsa_fp16_overflow 0
		.amdhsa_memory_ordered 1
		.amdhsa_forward_progress 1
		.amdhsa_inst_pref_size 52
		.amdhsa_round_robin_scheduling 0
		.amdhsa_exception_fp_ieee_invalid_op 0
		.amdhsa_exception_fp_denorm_src 0
		.amdhsa_exception_fp_ieee_div_zero 0
		.amdhsa_exception_fp_ieee_overflow 0
		.amdhsa_exception_fp_ieee_underflow 0
		.amdhsa_exception_fp_ieee_inexact 0
		.amdhsa_exception_int_div_zero 0
	.end_amdhsa_kernel
	.section	.text._ZL26rocblas_hemvn_kernel_upperILb0ELi64ELi4ELi33ELi32ELi16ElfPKfPfEviT6_lT7_lT5_lS4_lS5_lS3_lT8_i,"axG",@progbits,_ZL26rocblas_hemvn_kernel_upperILb0ELi64ELi4ELi33ELi32ELi16ElfPKfPfEviT6_lT7_lT5_lS4_lS5_lS3_lT8_i,comdat
.Lfunc_end73:
	.size	_ZL26rocblas_hemvn_kernel_upperILb0ELi64ELi4ELi33ELi32ELi16ElfPKfPfEviT6_lT7_lT5_lS4_lS5_lS3_lT8_i, .Lfunc_end73-_ZL26rocblas_hemvn_kernel_upperILb0ELi64ELi4ELi33ELi32ELi16ElfPKfPfEviT6_lT7_lT5_lS4_lS5_lS3_lT8_i
                                        ; -- End function
	.set _ZL26rocblas_hemvn_kernel_upperILb0ELi64ELi4ELi33ELi32ELi16ElfPKfPfEviT6_lT7_lT5_lS4_lS5_lS3_lT8_i.num_vgpr, 144
	.set _ZL26rocblas_hemvn_kernel_upperILb0ELi64ELi4ELi33ELi32ELi16ElfPKfPfEviT6_lT7_lT5_lS4_lS5_lS3_lT8_i.num_agpr, 0
	.set _ZL26rocblas_hemvn_kernel_upperILb0ELi64ELi4ELi33ELi32ELi16ElfPKfPfEviT6_lT7_lT5_lS4_lS5_lS3_lT8_i.numbered_sgpr, 72
	.set _ZL26rocblas_hemvn_kernel_upperILb0ELi64ELi4ELi33ELi32ELi16ElfPKfPfEviT6_lT7_lT5_lS4_lS5_lS3_lT8_i.num_named_barrier, 0
	.set _ZL26rocblas_hemvn_kernel_upperILb0ELi64ELi4ELi33ELi32ELi16ElfPKfPfEviT6_lT7_lT5_lS4_lS5_lS3_lT8_i.private_seg_size, 0
	.set _ZL26rocblas_hemvn_kernel_upperILb0ELi64ELi4ELi33ELi32ELi16ElfPKfPfEviT6_lT7_lT5_lS4_lS5_lS3_lT8_i.uses_vcc, 1
	.set _ZL26rocblas_hemvn_kernel_upperILb0ELi64ELi4ELi33ELi32ELi16ElfPKfPfEviT6_lT7_lT5_lS4_lS5_lS3_lT8_i.uses_flat_scratch, 0
	.set _ZL26rocblas_hemvn_kernel_upperILb0ELi64ELi4ELi33ELi32ELi16ElfPKfPfEviT6_lT7_lT5_lS4_lS5_lS3_lT8_i.has_dyn_sized_stack, 0
	.set _ZL26rocblas_hemvn_kernel_upperILb0ELi64ELi4ELi33ELi32ELi16ElfPKfPfEviT6_lT7_lT5_lS4_lS5_lS3_lT8_i.has_recursion, 0
	.set _ZL26rocblas_hemvn_kernel_upperILb0ELi64ELi4ELi33ELi32ELi16ElfPKfPfEviT6_lT7_lT5_lS4_lS5_lS3_lT8_i.has_indirect_call, 0
	.section	.AMDGPU.csdata,"",@progbits
; Kernel info:
; codeLenInByte = 6568
; TotalNumSgprs: 74
; NumVgprs: 144
; ScratchSize: 0
; MemoryBound: 0
; FloatMode: 240
; IeeeMode: 1
; LDSByteSize: 4800 bytes/workgroup (compile time only)
; SGPRBlocks: 0
; VGPRBlocks: 8
; NumSGPRsForWavesPerEU: 74
; NumVGPRsForWavesPerEU: 144
; NamedBarCnt: 0
; Occupancy: 7
; WaveLimiterHint : 0
; COMPUTE_PGM_RSRC2:SCRATCH_EN: 0
; COMPUTE_PGM_RSRC2:USER_SGPR: 2
; COMPUTE_PGM_RSRC2:TRAP_HANDLER: 0
; COMPUTE_PGM_RSRC2:TGID_X_EN: 1
; COMPUTE_PGM_RSRC2:TGID_Y_EN: 0
; COMPUTE_PGM_RSRC2:TGID_Z_EN: 1
; COMPUTE_PGM_RSRC2:TIDIG_COMP_CNT: 1
	.section	.text._ZL36rocblas_hemvn_kernel_upper_block_sumILi64ElfPffEviT1_lS1_lT2_lT0_lPT3_i,"axG",@progbits,_ZL36rocblas_hemvn_kernel_upper_block_sumILi64ElfPffEviT1_lS1_lT2_lT0_lPT3_i,comdat
	.globl	_ZL36rocblas_hemvn_kernel_upper_block_sumILi64ElfPffEviT1_lS1_lT2_lT0_lPT3_i ; -- Begin function _ZL36rocblas_hemvn_kernel_upper_block_sumILi64ElfPffEviT1_lS1_lT2_lT0_lPT3_i
	.p2align	8
	.type	_ZL36rocblas_hemvn_kernel_upper_block_sumILi64ElfPffEviT1_lS1_lT2_lT0_lPT3_i,@function
_ZL36rocblas_hemvn_kernel_upper_block_sumILi64ElfPffEviT1_lS1_lT2_lT0_lPT3_i: ; @_ZL36rocblas_hemvn_kernel_upper_block_sumILi64ElfPffEviT1_lS1_lT2_lT0_lPT3_i
; %bb.0:
	s_load_b32 s3, s[0:1], 0x48
	s_bfe_u32 s2, ttmp6, 0x40014
	s_lshr_b32 s4, ttmp7, 16
	s_add_co_i32 s2, s2, 1
	s_bfe_u32 s6, ttmp6, 0x40008
	s_mul_i32 s5, s4, s2
	s_getreg_b32 s2, hwreg(HW_REG_IB_STS2, 6, 4)
	s_add_co_i32 s6, s6, s5
	s_cmp_eq_u32 s2, 0
	s_mov_b32 s13, 0
	s_cselect_b32 s12, s4, s6
	s_wait_kmcnt 0x0
	s_cmp_ge_u32 s12, s3
	s_cbranch_scc1 .LBB74_25
; %bb.1:
	s_clause 0x3
	s_load_b256 s[4:11], s[0:1], 0x28
	s_load_b64 s[14:15], s[0:1], 0x0
	s_load_b32 s17, s[0:1], 0x10
	s_load_b64 s[22:23], s[0:1], 0x20
	s_wait_xcnt 0x0
	s_add_nc_u64 s[0:1], s[0:1], 0x50
	s_wait_kmcnt 0x0
	s_lshl_b64 s[4:5], s[4:5], 2
	s_cmp_eq_f32 s15, 0
	s_add_nc_u64 s[4:5], s[22:23], s[4:5]
	s_cselect_b32 s18, -1, 0
	s_cmp_neq_f32 s15, 0
	s_cselect_b32 s16, -1, 0
	s_cmp_neq_f32 s17, 1.0
	s_cselect_b32 s19, -1, 0
	s_bfe_u32 s20, ttmp6, 0x4000c
	s_and_b32 s21, ttmp6, 15
	s_add_co_i32 s20, s20, 1
	s_or_b32 s19, s16, s19
	s_mul_i32 s20, ttmp9, s20
	s_mov_b32 s16, s15
	s_add_co_i32 s21, s21, s20
	s_cmp_eq_u32 s2, 0
	s_cselect_b32 s24, ttmp9, s21
	s_cmp_neq_f32 s17, 0
	v_lshl_or_b32 v2, s24, 6, v0
	s_cselect_b32 s20, -1, 0
	s_cmp_eq_f32 s17, 0
	s_delay_alu instid0(VALU_DEP_1)
	v_ashrrev_i32_e32 v3, 31, v2
	v_cmp_gt_i32_e64 s2, s14, v2
	s_cselect_b32 s21, -1, 0
	v_mul_u64_e32 v[0:1], s[6:7], v[2:3]
	s_ashr_i32 s7, s14, 31
	v_lshl_add_u64 v[2:3], v[2:3], 2, s[10:11]
	s_mov_b32 s6, s14
	s_cmp_gt_i32 s24, -1
	s_cselect_b32 s14, -1, 0
	s_add_co_i32 s22, s24, 1
	s_lshl_b64 s[6:7], s[6:7], 2
	s_branch .LBB74_4
.LBB74_2:                               ;   in Loop: Header=BB74_4 Depth=1
	s_wait_xcnt 0x0
	s_or_b32 exec_lo, exec_lo, s24
.LBB74_3:                               ;   in Loop: Header=BB74_4 Depth=1
	s_add_co_i32 s12, s12, 0x10000
	s_delay_alu instid0(SALU_CYCLE_1)
	s_cmp_lt_u32 s12, s3
	s_cbranch_scc0 .LBB74_25
.LBB74_4:                               ; =>This Loop Header: Depth=1
                                        ;     Child Loop BB74_16 Depth 2
	s_and_not1_b32 vcc_lo, exec_lo, s19
	s_cbranch_vccnz .LBB74_3
; %bb.5:                                ;   in Loop: Header=BB74_4 Depth=1
	s_mul_u64 s[10:11], s[8:9], s[12:13]
	s_and_not1_b32 vcc_lo, exec_lo, s18
	s_lshl_b64 s[10:11], s[10:11], 2
	s_delay_alu instid0(SALU_CYCLE_1)
	s_add_nc_u64 s[10:11], s[4:5], s[10:11]
	s_cbranch_vccnz .LBB74_9
; %bb.6:                                ;   in Loop: Header=BB74_4 Depth=1
	s_mov_b32 s24, 0
	s_mov_b32 s23, 0
                                        ; implicit-def: $vgpr5
	s_and_saveexec_b32 s25, s2
	s_cbranch_execz .LBB74_10
; %bb.7:                                ;   in Loop: Header=BB74_4 Depth=1
	s_and_not1_b32 vcc_lo, exec_lo, s20
	s_cbranch_vccnz .LBB74_11
; %bb.8:                                ;   in Loop: Header=BB74_4 Depth=1
	s_delay_alu instid0(VALU_DEP_2)
	v_lshl_add_u64 v[4:5], v[0:1], 2, s[10:11]
	global_load_b32 v4, v[4:5], off
	s_wait_loadcnt 0x0
	s_wait_xcnt 0x0
	v_mul_f32_e32 v5, s17, v4
	s_branch .LBB74_12
.LBB74_9:                               ;   in Loop: Header=BB74_4 Depth=1
	s_mov_b32 s23, 0
                                        ; implicit-def: $vgpr5
	s_cbranch_execnz .LBB74_13
	s_branch .LBB74_23
.LBB74_10:                              ;   in Loop: Header=BB74_4 Depth=1
	s_or_b32 exec_lo, exec_lo, s25
	s_delay_alu instid0(SALU_CYCLE_1)
	s_and_b32 vcc_lo, exec_lo, s24
	s_cbranch_vccnz .LBB74_13
	s_branch .LBB74_23
.LBB74_11:                              ;   in Loop: Header=BB74_4 Depth=1
	v_mov_b32_e32 v5, 0
.LBB74_12:                              ;   in Loop: Header=BB74_4 Depth=1
	s_mov_b32 s23, exec_lo
	s_or_b32 exec_lo, exec_lo, s25
	s_delay_alu instid0(SALU_CYCLE_1)
	s_and_b32 vcc_lo, exec_lo, s24
	s_cbranch_vccz .LBB74_23
.LBB74_13:                              ;   in Loop: Header=BB74_4 Depth=1
                                        ; implicit-def: $vgpr5
	s_and_saveexec_b32 s24, s2
	s_cbranch_execz .LBB74_22
; %bb.14:                               ;   in Loop: Header=BB74_4 Depth=1
	v_mov_b32_e32 v4, 0
	s_and_not1_b32 vcc_lo, exec_lo, s14
	s_cbranch_vccnz .LBB74_17
; %bb.15:                               ;   in Loop: Header=BB74_4 Depth=1
	s_load_b32 s26, s[0:1], 0x0
	s_mov_b32 s27, s13
	v_mov_b32_e32 v4, 0
	s_mov_b32 s25, s22
	s_wait_kmcnt 0x0
	s_mul_u64 s[26:27], s[6:7], s[26:27]
	s_delay_alu instid0(SALU_CYCLE_1) | instskip(NEXT) | instid1(VALU_DEP_1)
	v_mad_nc_u64_u32 v[6:7], s26, s12, v[2:3]
	v_mad_u32 v7, s27, s12, v7
.LBB74_16:                              ;   Parent Loop BB74_4 Depth=1
                                        ; =>  This Inner Loop Header: Depth=2
	global_load_b32 v5, v[6:7], off
	s_wait_xcnt 0x0
	v_add_nc_u64_e32 v[6:7], s[6:7], v[6:7]
	s_add_co_i32 s25, s25, -1
	s_delay_alu instid0(SALU_CYCLE_1)
	s_cmp_eq_u32 s25, 0
	s_wait_loadcnt 0x0
	v_add_f32_e32 v4, v4, v5
	s_cbranch_scc0 .LBB74_16
.LBB74_17:                              ;   in Loop: Header=BB74_4 Depth=1
	s_and_b32 vcc_lo, exec_lo, s21
	s_mov_b32 s25, -1
                                        ; implicit-def: $vgpr5
	s_cbranch_vccz .LBB74_19
; %bb.18:                               ;   in Loop: Header=BB74_4 Depth=1
	v_mul_f32_e32 v5, s15, v4
	s_mov_b32 s25, 0
.LBB74_19:                              ;   in Loop: Header=BB74_4 Depth=1
	s_delay_alu instid0(SALU_CYCLE_1)
	s_and_not1_b32 vcc_lo, exec_lo, s25
	s_cbranch_vccnz .LBB74_21
; %bb.20:                               ;   in Loop: Header=BB74_4 Depth=1
	s_delay_alu instid0(VALU_DEP_3) | instskip(SKIP_4) | instid1(VALU_DEP_1)
	v_lshl_add_u64 v[6:7], v[0:1], 2, s[10:11]
	global_load_b32 v5, v[6:7], off
	s_wait_xcnt 0x0
	v_mov_b64_e32 v[6:7], s[16:17]
	s_wait_loadcnt 0x0
	v_pk_mul_f32 v[4:5], v[6:7], v[4:5]
	s_delay_alu instid0(VALU_DEP_1)
	v_add_f32_e32 v5, v4, v5
.LBB74_21:                              ;   in Loop: Header=BB74_4 Depth=1
	s_or_b32 s23, s23, exec_lo
.LBB74_22:                              ;   in Loop: Header=BB74_4 Depth=1
	s_or_b32 exec_lo, exec_lo, s24
.LBB74_23:                              ;   in Loop: Header=BB74_4 Depth=1
	s_and_saveexec_b32 s24, s23
	s_cbranch_execz .LBB74_2
; %bb.24:                               ;   in Loop: Header=BB74_4 Depth=1
	s_delay_alu instid0(VALU_DEP_2)
	v_lshl_add_u64 v[6:7], v[0:1], 2, s[10:11]
	global_store_b32 v[6:7], v5, off
	s_branch .LBB74_2
.LBB74_25:
	s_endpgm
	.section	.rodata,"a",@progbits
	.p2align	6, 0x0
	.amdhsa_kernel _ZL36rocblas_hemvn_kernel_upper_block_sumILi64ElfPffEviT1_lS1_lT2_lT0_lPT3_i
		.amdhsa_group_segment_fixed_size 0
		.amdhsa_private_segment_fixed_size 0
		.amdhsa_kernarg_size 336
		.amdhsa_user_sgpr_count 2
		.amdhsa_user_sgpr_dispatch_ptr 0
		.amdhsa_user_sgpr_queue_ptr 0
		.amdhsa_user_sgpr_kernarg_segment_ptr 1
		.amdhsa_user_sgpr_dispatch_id 0
		.amdhsa_user_sgpr_kernarg_preload_length 0
		.amdhsa_user_sgpr_kernarg_preload_offset 0
		.amdhsa_user_sgpr_private_segment_size 0
		.amdhsa_wavefront_size32 1
		.amdhsa_uses_dynamic_stack 0
		.amdhsa_enable_private_segment 0
		.amdhsa_system_sgpr_workgroup_id_x 1
		.amdhsa_system_sgpr_workgroup_id_y 0
		.amdhsa_system_sgpr_workgroup_id_z 1
		.amdhsa_system_sgpr_workgroup_info 0
		.amdhsa_system_vgpr_workitem_id 0
		.amdhsa_next_free_vgpr 8
		.amdhsa_next_free_sgpr 28
		.amdhsa_named_barrier_count 0
		.amdhsa_reserve_vcc 1
		.amdhsa_float_round_mode_32 0
		.amdhsa_float_round_mode_16_64 0
		.amdhsa_float_denorm_mode_32 3
		.amdhsa_float_denorm_mode_16_64 3
		.amdhsa_fp16_overflow 0
		.amdhsa_memory_ordered 1
		.amdhsa_forward_progress 1
		.amdhsa_inst_pref_size 6
		.amdhsa_round_robin_scheduling 0
		.amdhsa_exception_fp_ieee_invalid_op 0
		.amdhsa_exception_fp_denorm_src 0
		.amdhsa_exception_fp_ieee_div_zero 0
		.amdhsa_exception_fp_ieee_overflow 0
		.amdhsa_exception_fp_ieee_underflow 0
		.amdhsa_exception_fp_ieee_inexact 0
		.amdhsa_exception_int_div_zero 0
	.end_amdhsa_kernel
	.section	.text._ZL36rocblas_hemvn_kernel_upper_block_sumILi64ElfPffEviT1_lS1_lT2_lT0_lPT3_i,"axG",@progbits,_ZL36rocblas_hemvn_kernel_upper_block_sumILi64ElfPffEviT1_lS1_lT2_lT0_lPT3_i,comdat
.Lfunc_end74:
	.size	_ZL36rocblas_hemvn_kernel_upper_block_sumILi64ElfPffEviT1_lS1_lT2_lT0_lPT3_i, .Lfunc_end74-_ZL36rocblas_hemvn_kernel_upper_block_sumILi64ElfPffEviT1_lS1_lT2_lT0_lPT3_i
                                        ; -- End function
	.set _ZL36rocblas_hemvn_kernel_upper_block_sumILi64ElfPffEviT1_lS1_lT2_lT0_lPT3_i.num_vgpr, 8
	.set _ZL36rocblas_hemvn_kernel_upper_block_sumILi64ElfPffEviT1_lS1_lT2_lT0_lPT3_i.num_agpr, 0
	.set _ZL36rocblas_hemvn_kernel_upper_block_sumILi64ElfPffEviT1_lS1_lT2_lT0_lPT3_i.numbered_sgpr, 28
	.set _ZL36rocblas_hemvn_kernel_upper_block_sumILi64ElfPffEviT1_lS1_lT2_lT0_lPT3_i.num_named_barrier, 0
	.set _ZL36rocblas_hemvn_kernel_upper_block_sumILi64ElfPffEviT1_lS1_lT2_lT0_lPT3_i.private_seg_size, 0
	.set _ZL36rocblas_hemvn_kernel_upper_block_sumILi64ElfPffEviT1_lS1_lT2_lT0_lPT3_i.uses_vcc, 1
	.set _ZL36rocblas_hemvn_kernel_upper_block_sumILi64ElfPffEviT1_lS1_lT2_lT0_lPT3_i.uses_flat_scratch, 0
	.set _ZL36rocblas_hemvn_kernel_upper_block_sumILi64ElfPffEviT1_lS1_lT2_lT0_lPT3_i.has_dyn_sized_stack, 0
	.set _ZL36rocblas_hemvn_kernel_upper_block_sumILi64ElfPffEviT1_lS1_lT2_lT0_lPT3_i.has_recursion, 0
	.set _ZL36rocblas_hemvn_kernel_upper_block_sumILi64ElfPffEviT1_lS1_lT2_lT0_lPT3_i.has_indirect_call, 0
	.section	.AMDGPU.csdata,"",@progbits
; Kernel info:
; codeLenInByte = 696
; TotalNumSgprs: 30
; NumVgprs: 8
; ScratchSize: 0
; MemoryBound: 0
; FloatMode: 240
; IeeeMode: 1
; LDSByteSize: 0 bytes/workgroup (compile time only)
; SGPRBlocks: 0
; VGPRBlocks: 0
; NumSGPRsForWavesPerEU: 30
; NumVGPRsForWavesPerEU: 8
; NamedBarCnt: 0
; Occupancy: 16
; WaveLimiterHint : 0
; COMPUTE_PGM_RSRC2:SCRATCH_EN: 0
; COMPUTE_PGM_RSRC2:USER_SGPR: 2
; COMPUTE_PGM_RSRC2:TRAP_HANDLER: 0
; COMPUTE_PGM_RSRC2:TGID_X_EN: 1
; COMPUTE_PGM_RSRC2:TGID_Y_EN: 0
; COMPUTE_PGM_RSRC2:TGID_Z_EN: 1
; COMPUTE_PGM_RSRC2:TIDIG_COMP_CNT: 0
	.section	.text._ZL26rocblas_hemvn_kernel_upperILb0ELi64ELi4ELi33ELi32ELi16EifPKfPfEviT6_lT7_lT5_lS4_lS5_lS3_lT8_i,"axG",@progbits,_ZL26rocblas_hemvn_kernel_upperILb0ELi64ELi4ELi33ELi32ELi16EifPKfPfEviT6_lT7_lT5_lS4_lS5_lS3_lT8_i,comdat
	.globl	_ZL26rocblas_hemvn_kernel_upperILb0ELi64ELi4ELi33ELi32ELi16EifPKfPfEviT6_lT7_lT5_lS4_lS5_lS3_lT8_i ; -- Begin function _ZL26rocblas_hemvn_kernel_upperILb0ELi64ELi4ELi33ELi32ELi16EifPKfPfEviT6_lT7_lT5_lS4_lS5_lS3_lT8_i
	.p2align	8
	.type	_ZL26rocblas_hemvn_kernel_upperILb0ELi64ELi4ELi33ELi32ELi16EifPKfPfEviT6_lT7_lT5_lS4_lS5_lS3_lT8_i,@function
_ZL26rocblas_hemvn_kernel_upperILb0ELi64ELi4ELi33ELi32ELi16EifPKfPfEviT6_lT7_lT5_lS4_lS5_lS3_lT8_i: ; @_ZL26rocblas_hemvn_kernel_upperILb0ELi64ELi4ELi33ELi32ELi16EifPKfPfEviT6_lT7_lT5_lS4_lS5_lS3_lT8_i
; %bb.0:
	s_clause 0x1
	s_load_b64 s[2:3], s[0:1], 0x7c
	s_load_b32 s33, s[0:1], 0x68
	s_bfe_u32 s4, ttmp6, 0x40014
	s_lshr_b32 s5, ttmp7, 16
	s_add_co_i32 s4, s4, 1
	s_bfe_u32 s6, ttmp6, 0x40008
	s_mul_i32 s4, s5, s4
	s_getreg_b32 s8, hwreg(HW_REG_IB_STS2, 6, 4)
	s_add_co_i32 s6, s6, s4
	s_mov_b32 s29, 0
	s_wait_kmcnt 0x0
	s_lshr_b32 s4, s2, 16
	s_and_b32 s2, s2, 0xffff
	s_and_b32 s3, s3, 0xffff
	s_mul_i32 s2, s4, s2
	s_cmp_eq_u32 s8, 0
	s_mul_i32 s2, s2, s3
	s_cselect_b32 s28, s5, s6
	s_cmp_lg_u32 s2, 0x100
	s_cselect_b32 s2, -1, 0
	s_cmp_ge_u32 s28, s33
	s_cselect_b32 s3, -1, 0
	s_delay_alu instid0(SALU_CYCLE_1) | instskip(NEXT) | instid1(SALU_CYCLE_1)
	s_or_b32 s2, s2, s3
	s_and_b32 vcc_lo, exec_lo, s2
	s_cbranch_vccnz .LBB75_129
; %bb.1:
	s_clause 0x4
	s_load_b32 s70, s[0:1], 0x20
	s_load_b96 s[16:18], s[0:1], 0x38
	s_load_b128 s[4:7], s[0:1], 0x10
	s_load_b96 s[24:26], s[0:1], 0x48
	s_load_b64 s[2:3], s[0:1], 0x0
	s_bfe_u32 s12, ttmp6, 0x4000c
	s_and_b32 s9, ttmp6, 15
	s_add_co_i32 s12, s12, 1
	s_add_nc_u64 s[10:11], s[0:1], 0x70
	s_mul_i32 s12, ttmp9, s12
	v_and_b32_e32 v112, 0x3ff, v0
	v_bfe_u32 v1, v0, 10, 10
	s_add_co_i32 s9, s9, s12
	s_load_b32 s30, s[10:11], 0x0
	s_load_b128 s[20:23], s[0:1], 0x28
	s_mov_b32 s31, s29
	v_lshl_add_u32 v6, v1, 6, v112
	s_wait_xcnt 0x0
	s_load_b64 s[10:11], s[0:1], 0x60
	v_and_b32_e32 v16, 31, v0
	s_wait_xcnt 0x0
	v_cmp_eq_u32_e64 s0, 0, v1
	s_wait_kmcnt 0x0
	s_ashr_i32 s71, s70, 31
	s_cmp_eq_u32 s8, 0
	v_lshrrev_b32_e32 v7, 5, v6
	s_cselect_b32 s34, ttmp9, s9
	s_lshl_b64 s[8:9], s[16:17], 2
	s_lshl_b64 s[6:7], s[6:7], 2
	s_cmp_neq_f32 s26, 1.0
	v_mad_u32 v2, s70, v7, v16
	s_add_nc_u64 s[4:5], s[4:5], s[6:7]
	v_dual_add_nc_u32 v8, 24, v7 :: v_dual_lshlrev_b32 v9, 2, v7
	s_cselect_b32 s1, -1, 0
	s_cmp_neq_f32 s3, 0
	v_lshlrev_b32_e32 v10, 4, v7
	s_add_nc_u64 s[8:9], s[22:23], s[8:9]
	v_or_b32_e32 v12, 1, v9
	s_cselect_b32 s88, -1, 0
	s_lshl_b32 s46, s34, 6
	s_delay_alu instid0(SALU_CYCLE_1)
	v_dual_lshlrev_b32 v113, 2, v112 :: v_dual_add_nc_u32 v18, s46, v112
	s_ashr_i32 s3, s2, 31
	s_add_co_i32 s13, s30, -1
	s_lshr_b32 s12, s3, 26
	s_or_b32 s89, s88, s1
	s_add_co_i32 s12, s2, s12
	v_mul_lo_u32 v4, s18, v18
	s_and_not1_b32 s12, s12, 63
	v_ashrrev_i32_e32 v3, 31, v2
	s_sub_co_i32 s90, s2, s12
	s_cmp_eq_u32 s34, s13
	v_dual_mov_b32 v23, 0 :: v_dual_add_nc_u32 v114, 0x11c0, v113
	s_cselect_b32 s22, s90, 0
	v_lshlrev_b32_e32 v115, 2, v16
	s_cmp_lg_u32 s22, 0
	v_add_nc_u32_e32 v119, 0x11c0, v10
	s_cselect_b32 s91, -1, 0
	s_cmp_eq_u32 s22, 0
	v_ashrrev_i32_e32 v5, 31, v4
	v_lshlrev_b64_e32 v[2:3], 2, v[2:3]
	s_cselect_b32 s1, -1, 0
	s_ashr_i32 s47, s46, 31
	v_mov_b32_e32 v17, v23
	s_lshl_b64 s[6:7], s[46:47], 2
	v_lshl_add_u64 v[20:21], v[4:5], 2, s[8:9]
	s_add_nc_u64 s[4:5], s[4:5], s[6:7]
	v_lshl_or_b32 v117, v16, 7, v115
	v_add_nc_u64_e32 v[4:5], s[4:5], v[2:3]
	s_mul_i32 s4, s70, s46
	s_ashr_i32 s35, s34, 31
	s_ashr_i32 s5, s4, 31
	v_dual_add_nc_u32 v118, v117, v10 :: v_dual_bitop2_b32 v13, 2, v9 bitop3:0x54
	v_dual_lshlrev_b32 v121, 2, v1 :: v_dual_bitop2_b32 v10, 32, v16 bitop3:0x54
	s_delay_alu instid0(VALU_DEP_3)
	v_lshl_add_u64 v[24:25], s[4:5], 2, v[4:5]
	v_dual_add_nc_u32 v4, 8, v7 :: v_dual_add_nc_u32 v5, 16, v7
	s_mul_u64 s[6:7], s[2:3], s[34:35]
	s_mul_u64 s[26:27], s[30:31], s[2:3]
	s_lshl_b64 s[2:3], s[6:7], 2
	s_sub_co_i32 s15, s22, 32
	s_add_nc_u64 s[36:37], s[10:11], s[2:3]
	v_cmp_gt_i32_e64 s3, s22, v4
	v_cmp_gt_i32_e64 s13, s15, v4
	v_mad_u32 v4, s70, v121, v112
	v_cmp_gt_i32_e64 s2, s22, v7
	v_mul_u32_u24_e32 v116, 0x84, v7
	v_mul_u32_u24_e32 v11, 0x210, v7
	v_cmp_gt_i32_e64 s12, s15, v7
	v_cmp_eq_u32_e64 s16, 1, v7
	v_mul_i32_i24_e32 v122, -12, v7
	v_and_b32_e32 v7, 15, v0
	v_dual_ashrrev_i32 v19, 31, v18 :: v_dual_bitop2_b32 v0, 48, v0 bitop3:0x40
	v_cmp_gt_i32_e64 s4, s22, v5
	v_or_b32_e32 v14, 3, v9
	v_cmp_gt_i32_e64 s14, s15, v5
	v_ashrrev_i32_e32 v5, 31, v4
	v_lshlrev_b32_e32 v0, 2, v0
	s_lshl_b32 s44, s70, 5
	v_cmp_gt_i32_e64 s5, s22, v8
	s_ashr_i32 s45, s44, 31
	v_cmp_gt_i32_e64 s15, s15, v8
	v_lshrrev_b32_e32 v8, 2, v6
	v_cmp_gt_u32_e64 s8, v13, v16
	v_lshl_add_u32 v123, v1, 4, 0x10c0
	v_mad_u32_u24 v124, 0x430, v1, v113
	v_or_b32_e32 v13, 60, v113
	v_mad_u32_u24 v126, 0x10c, v7, v0
	v_mad_u32_u24 v128, 0x10c, v1, v113
	v_add_nc_u64_e32 v[0:1], s[44:45], v[4:5]
	v_and_b32_e32 v8, 0x1ffc, v8
	s_lshl_b32 s40, s70, 4
	v_cmp_gt_u32_e64 s9, v14, v16
	v_cmp_gt_u32_e64 s10, 32, v6
	v_cmp_gt_i32_e64 s11, s22, v10
	v_mul_u32_u24_e32 v10, 0x10c, v7
	v_lshlrev_b64_e32 v[0:1], 2, v[0:1]
	v_and_b32_e32 v14, 0x7ff0, v6
	v_mad_u32_u24 v125, 0x10c, v7, v8
	v_cmp_gt_u32_e64 s17, 64, v6
	v_mad_u32_u24 v127, 0x10c, v7, v13
	v_lshlrev_b64_e32 v[6:7], 2, v[4:5]
	s_ashr_i32 s41, s40, 31
	v_cmp_gt_i32_e32 vcc_lo, s22, v112
	s_add_nc_u64 s[84:85], s[70:71], s[40:41]
	s_add_nc_u64 s[60:61], s[44:45], s[40:41]
	v_mad_nc_u64_u32 v[32:33], s84, 12, v[0:1]
	s_lshl_b32 s38, s70, 3
	s_mul_i32 s42, s70, 24
	s_mul_i32 s46, s18, s46
	v_sub_nc_u64_e32 v[26:27], 0, v[2:3]
	v_sub_nc_u64_e32 v[28:29], v[6:7], v[2:3]
	v_add_nc_u64_e32 v[2:3], s[60:61], v[4:5]
	s_add_co_i32 s19, s34, 1
	s_or_b32 s92, s1, vcc_lo
	s_ashr_i32 s23, s22, 31
	s_ashr_i32 s39, s38, 31
	;; [unrolled: 1-line block ×4, first 2 shown]
	v_mad_nc_i64_i32 v[40:41], s40, 12, v[0:1]
	s_cmp_lt_u32 s19, s30
	s_mul_u64 s[76:77], s[70:71], 12
	s_cselect_b32 s31, -1, 0
	s_lshl_b64 s[86:87], s[40:41], 3
	s_lshl_b32 s56, s70, 1
	s_mul_i32 s58, s70, 3
	v_add_nc_u64_e32 v[30:31], s[76:77], v[0:1]
	v_lshl_add_u64 v[34:35], v[2:3], 2, s[76:77]
	s_add_nc_u64 s[76:77], s[76:77], s[86:87]
	s_ashr_i32 s57, s56, 31
	s_ashr_i32 s59, s58, 31
	s_lshl_b64 s[74:75], s[70:71], 3
	s_lshl_b64 s[72:73], s[44:45], 2
	v_add_nc_u64_e32 v[36:37], s[76:77], v[0:1]
	s_mul_u64 s[76:77], s[40:41], 12
	v_mad_u32 v33, s85, 12, v33
	v_mul_u32_u24_e32 v15, 33, v16
	v_mul_u32_u24_e32 v12, 0x84, v12
	s_lshl_b64 s[78:79], s[70:71], 2
	s_add_nc_u64 s[52:53], s[74:75], s[72:73]
	s_lshl_b64 s[80:81], s[56:57], 2
	s_lshl_b64 s[82:83], s[58:59], 2
	s_add_nc_u64 s[74:75], s[76:77], s[74:75]
	v_sub_nc_u64_e32 v[42:43], 0, v[16:17]
	v_add_nc_u64_e32 v[38:39], s[74:75], v[0:1]
	v_add_nc_u64_e32 v[44:45], s[78:79], v[40:41]
	;; [unrolled: 1-line block ×4, first 2 shown]
	s_lshl_b64 s[68:69], s[40:41], 2
	v_cmp_gt_i32_e64 s1, s22, v16
	v_cmp_gt_u32_e64 s6, v9, v16
	v_cmp_ge_u32_e64 s7, v9, v16
	v_lshl_add_u32 v120, v15, 2, v9
	v_dual_add_nc_u32 v129, v117, v9 :: v_dual_add_nc_u32 v131, v10, v14
	v_add_nc_u32_e32 v130, 0x11c0, v9
	v_dual_add_nc_u32 v132, v115, v11 :: v_dual_add_nc_u32 v133, v115, v12
	v_dual_add_nc_u32 v134, 48, v121 :: v_dual_add_nc_u32 v135, 49, v121
	;; [unrolled: 1-line block ×3, first 2 shown]
	v_add_nc_u32_e32 v137, 64, v18
	s_lshl_b32 s93, s18, 6
	s_lshl_b64 s[50:51], s[70:71], 5
	s_mul_i32 s18, s18, s19
	s_add_nc_u64 s[54:55], s[78:79], s[72:73]
	s_add_nc_u64 s[60:61], s[72:73], s[68:69]
	;; [unrolled: 1-line block ×3, first 2 shown]
	s_sub_nc_u64 s[46:47], 0, s[46:47]
	s_add_co_i32 s35, s30, -2
	s_and_b32 s94, s0, s92
	s_sub_nc_u64 s[48:49], 0, s[22:23]
	s_lshl_b32 s95, s18, 6
	s_lshl_b64 s[18:19], s[40:41], 4
	s_add_nc_u64 s[56:57], s[72:73], s[80:81]
	s_add_nc_u64 s[58:59], s[72:73], s[82:83]
	;; [unrolled: 1-line block ×7, first 2 shown]
	s_mov_b64 s[74:75], 0xffffffffffffff80
	s_mov_b64 s[76:77], 0xffffffffffffff7c
	s_add_nc_u64 s[78:79], s[70:71], s[80:81]
	s_add_nc_u64 s[80:81], s[70:71], s[82:83]
	;; [unrolled: 1-line block ×3, first 2 shown]
	s_branch .LBB75_4
.LBB75_2:                               ;   in Loop: Header=BB75_4 Depth=1
	s_wait_xcnt 0x0
	s_or_b32 exec_lo, exec_lo, s86
.LBB75_3:                               ;   in Loop: Header=BB75_4 Depth=1
	s_add_co_i32 s28, s28, 0x10000
	s_delay_alu instid0(SALU_CYCLE_1)
	s_cmp_lt_u32 s28, s33
	s_cbranch_scc0 .LBB75_129
.LBB75_4:                               ; =>This Loop Header: Depth=1
                                        ;     Child Loop BB75_69 Depth 2
	s_and_not1_b32 vcc_lo, exec_lo, s89
	s_cbranch_vccnz .LBB75_3
; %bb.5:                                ;   in Loop: Header=BB75_4 Depth=1
	s_and_not1_b32 vcc_lo, exec_lo, s88
	s_cbranch_vccnz .LBB75_3
; %bb.6:                                ;   in Loop: Header=BB75_4 Depth=1
	s_mul_u64 s[84:85], s[24:25], s[28:29]
	s_delay_alu instid0(SALU_CYCLE_1)
	v_lshl_add_u64 v[4:5], s[84:85], 2, v[20:21]
	s_and_saveexec_b32 s84, s0
	s_cbranch_execz .LBB75_10
; %bb.7:                                ;   in Loop: Header=BB75_4 Depth=1
	v_mov_b32_e32 v0, 0
	s_and_saveexec_b32 s85, s92
	s_cbranch_execz .LBB75_9
; %bb.8:                                ;   in Loop: Header=BB75_4 Depth=1
	global_load_b32 v0, v[4:5], off
.LBB75_9:                               ;   in Loop: Header=BB75_4 Depth=1
	s_wait_xcnt 0x0
	s_or_b32 exec_lo, exec_lo, s85
	s_wait_loadcnt 0x0
	ds_store_b32 v114, v0
.LBB75_10:                              ;   in Loop: Header=BB75_4 Depth=1
	s_or_b32 exec_lo, exec_lo, s84
	s_mul_u64 s[84:85], s[20:21], s[28:29]
	s_and_b32 vcc_lo, exec_lo, s91
	v_lshl_add_u64 v[2:3], s[84:85], 2, v[24:25]
	s_mov_b32 s84, -1
                                        ; implicit-def: $vgpr0_vgpr1
	s_cbranch_vccz .LBB75_20
; %bb.11:                               ;   in Loop: Header=BB75_4 Depth=1
	s_delay_alu instid0(VALU_DEP_1) | instskip(SKIP_1) | instid1(VALU_DEP_2)
	v_lshl_add_u64 v[0:1], v[42:43], 2, v[2:3]
	v_mov_b32_e32 v7, 0
	v_lshl_add_u64 v[0:1], s[22:23], 2, v[0:1]
	s_delay_alu instid0(VALU_DEP_1) | instskip(NEXT) | instid1(VALU_DEP_1)
	v_add_nc_u64_e32 v[0:1], -4, v[0:1]
	v_dual_mov_b32 v8, 0 :: v_dual_cndmask_b32 v1, v1, v3, s1
	s_delay_alu instid0(VALU_DEP_2)
	v_cndmask_b32_e64 v0, v0, v2, s1
	s_and_saveexec_b32 s84, s2
	s_cbranch_execz .LBB75_13
; %bb.12:                               ;   in Loop: Header=BB75_4 Depth=1
	global_load_b32 v7, v[0:1], off
.LBB75_13:                              ;   in Loop: Header=BB75_4 Depth=1
	s_wait_xcnt 0x0
	s_or_b32 exec_lo, exec_lo, s84
	v_add_nc_u32_e32 v6, v115, v116
	s_wait_loadcnt 0x0
	ds_store_b32 v6, v7
	s_and_saveexec_b32 s84, s3
	s_cbranch_execz .LBB75_15
; %bb.14:                               ;   in Loop: Header=BB75_4 Depth=1
	v_lshl_add_u64 v[8:9], s[38:39], 2, v[0:1]
	global_load_b32 v8, v[8:9], off
.LBB75_15:                              ;   in Loop: Header=BB75_4 Depth=1
	s_wait_xcnt 0x0
	s_or_b32 exec_lo, exec_lo, s84
	v_dual_mov_b32 v7, 0 :: v_dual_mov_b32 v9, 0
	s_wait_loadcnt 0x0
	ds_store_b32 v6, v8 offset:1056
	s_and_saveexec_b32 s84, s4
	s_cbranch_execz .LBB75_17
; %bb.16:                               ;   in Loop: Header=BB75_4 Depth=1
	v_lshl_add_u64 v[8:9], s[40:41], 2, v[0:1]
	global_load_b32 v9, v[8:9], off
.LBB75_17:                              ;   in Loop: Header=BB75_4 Depth=1
	s_wait_xcnt 0x0
	s_or_b32 exec_lo, exec_lo, s84
	s_wait_loadcnt 0x0
	ds_store_b32 v6, v9 offset:2112
	s_and_saveexec_b32 s84, s5
	s_cbranch_execz .LBB75_19
; %bb.18:                               ;   in Loop: Header=BB75_4 Depth=1
	v_lshl_add_u64 v[8:9], s[42:43], 2, v[0:1]
	global_load_b32 v7, v[8:9], off
.LBB75_19:                              ;   in Loop: Header=BB75_4 Depth=1
	s_wait_xcnt 0x0
	s_or_b32 exec_lo, exec_lo, s84
	v_lshlrev_b32_e32 v22, 2, v16
	s_mov_b32 s84, 0
	s_wait_loadcnt 0x0
	ds_store_b32 v6, v7 offset:3168
	v_add_nc_u64_e32 v[0:1], v[0:1], v[22:23]
	s_delay_alu instid0(VALU_DEP_1) | instskip(NEXT) | instid1(VALU_DEP_1)
	v_lshl_add_u64 v[0:1], s[48:49], 2, v[0:1]
	v_add_nc_u64_e32 v[0:1], 4, v[0:1]
	s_delay_alu instid0(VALU_DEP_1)
	v_dual_cndmask_b32 v1, v1, v3, s1 :: v_dual_cndmask_b32 v0, v0, v2, s1
.LBB75_20:                              ;   in Loop: Header=BB75_4 Depth=1
	v_add_nc_u32_e32 v8, v115, v116
	s_and_b32 vcc_lo, exec_lo, s84
	s_cbranch_vccz .LBB75_22
; %bb.21:                               ;   in Loop: Header=BB75_4 Depth=1
	v_lshl_add_u64 v[0:1], s[38:39], 2, v[2:3]
	s_delay_alu instid0(VALU_DEP_1) | instskip(NEXT) | instid1(VALU_DEP_1)
	v_add_nc_u64_e32 v[6:7], s[50:51], v[0:1]
	v_add_nc_u64_e32 v[10:11], s[50:51], v[6:7]
	s_clause 0x3
	global_load_b32 v9, v[2:3], off
	global_load_b32 v12, v[0:1], off
	;; [unrolled: 1-line block ×4, first 2 shown]
	v_mov_b64_e32 v[0:1], v[2:3]
	s_wait_loadcnt 0x3
	ds_store_b32 v8, v9
	s_wait_loadcnt 0x2
	ds_store_b32 v8, v12 offset:1056
	s_wait_loadcnt 0x1
	ds_store_b32 v8, v6 offset:2112
	;; [unrolled: 2-line block ×3, first 2 shown]
.LBB75_22:                              ;   in Loop: Header=BB75_4 Depth=1
	s_wait_dscnt 0x0
	s_barrier_signal -1
	s_barrier_wait -1
	s_wait_xcnt 0x0
	s_and_saveexec_b32 s84, s6
	s_cbranch_execnz .LBB75_123
; %bb.23:                               ;   in Loop: Header=BB75_4 Depth=1
	s_or_b32 exec_lo, exec_lo, s84
	s_and_saveexec_b32 s84, s7
	s_cbranch_execnz .LBB75_124
.LBB75_24:                              ;   in Loop: Header=BB75_4 Depth=1
	s_or_b32 exec_lo, exec_lo, s84
	s_and_saveexec_b32 s84, s8
	s_cbranch_execnz .LBB75_125
.LBB75_25:                              ;   in Loop: Header=BB75_4 Depth=1
	s_or_b32 exec_lo, exec_lo, s84
	s_and_saveexec_b32 s84, s9
	s_cbranch_execz .LBB75_27
.LBB75_26:                              ;   in Loop: Header=BB75_4 Depth=1
	ds_load_b32 v2, v133 offset:264
	s_wait_dscnt 0x0
	ds_store_b32 v118, v2 offset:12
.LBB75_27:                              ;   in Loop: Header=BB75_4 Depth=1
	s_or_b32 exec_lo, exec_lo, s84
	s_wait_dscnt 0x0
	s_barrier_signal -1
	s_barrier_wait -1
	ds_load_2addr_b32 v[2:3], v133 offset1:33
	ds_load_b32 v6, v132
	ds_load_b128 v[10:13], v119
	ds_load_b32 v15, v133 offset:264
	s_wait_dscnt 0x0
	s_barrier_signal -1
	s_barrier_wait -1
	v_dual_mov_b32 v138, 0 :: v_dual_mov_b32 v7, v2
	v_mov_b32_e32 v14, v3
	s_delay_alu instid0(VALU_DEP_2) | instskip(NEXT) | instid1(VALU_DEP_2)
	v_pk_mul_f32 v[6:7], v[6:7], v[10:11]
	v_pk_mul_f32 v[2:3], v[14:15], v[12:13]
	s_delay_alu instid0(VALU_DEP_2) | instskip(NEXT) | instid1(VALU_DEP_1)
	v_add_f32_e32 v6, 0, v6
	v_add_f32_e32 v6, v6, v7
	s_delay_alu instid0(VALU_DEP_1) | instskip(NEXT) | instid1(VALU_DEP_1)
	v_add_f32_e32 v2, v6, v2
	v_add_f32_e32 v2, v2, v3
	ds_store_b32 v120, v2
	s_wait_dscnt 0x0
	s_barrier_signal -1
	s_barrier_wait -1
	s_and_saveexec_b32 s84, s10
	s_cbranch_execz .LBB75_29
; %bb.28:                               ;   in Loop: Header=BB75_4 Depth=1
	ds_load_2addr_b32 v[2:3], v117 offset1:1
	ds_load_2addr_b32 v[6:7], v117 offset0:2 offset1:3
	ds_load_2addr_b32 v[10:11], v117 offset0:4 offset1:5
	;; [unrolled: 1-line block ×3, first 2 shown]
	s_wait_dscnt 0x3
	v_add_f32_e32 v2, v2, v3
	s_wait_dscnt 0x2
	s_delay_alu instid0(VALU_DEP_1) | instskip(NEXT) | instid1(VALU_DEP_1)
	v_add_f32_e32 v2, v2, v6
	v_add_f32_e32 v2, v2, v7
	s_wait_dscnt 0x1
	s_delay_alu instid0(VALU_DEP_1) | instskip(NEXT) | instid1(VALU_DEP_1)
	v_add_f32_e32 v2, v2, v10
	;; [unrolled: 4-line block ×3, first 2 shown]
	v_add_f32_e32 v138, v2, v13
.LBB75_29:                              ;   in Loop: Header=BB75_4 Depth=1
	s_or_b32 exec_lo, exec_lo, s84
	v_lshl_add_u64 v[6:7], s[44:45], 2, v[0:1]
	s_and_b32 vcc_lo, exec_lo, s91
	s_mov_b32 s84, -1
	s_barrier_signal -1
	s_delay_alu instid0(VALU_DEP_1)
	v_add_nc_u64_e32 v[2:3], 0x80, v[6:7]
	s_barrier_wait -1
                                        ; implicit-def: $vgpr0_vgpr1
	s_cbranch_vccz .LBB75_39
; %bb.30:                               ;   in Loop: Header=BB75_4 Depth=1
	v_lshl_add_u64 v[0:1], v[42:43], 2, v[6:7]
	v_mov_b32_e32 v9, 0
	s_delay_alu instid0(VALU_DEP_2) | instskip(NEXT) | instid1(VALU_DEP_1)
	v_lshl_add_u64 v[0:1], s[22:23], 2, v[0:1]
	v_add_nc_u64_e32 v[0:1], -4, v[0:1]
	s_delay_alu instid0(VALU_DEP_1) | instskip(NEXT) | instid1(VALU_DEP_2)
	v_dual_mov_b32 v10, 0 :: v_dual_cndmask_b32 v1, v1, v3, s11
	v_cndmask_b32_e64 v0, v0, v2, s11
	s_and_saveexec_b32 s84, s12
	s_cbranch_execz .LBB75_32
; %bb.31:                               ;   in Loop: Header=BB75_4 Depth=1
	global_load_b32 v9, v[0:1], off
.LBB75_32:                              ;   in Loop: Header=BB75_4 Depth=1
	s_wait_xcnt 0x0
	s_or_b32 exec_lo, exec_lo, s84
	s_wait_loadcnt 0x0
	ds_store_b32 v8, v9
	s_and_saveexec_b32 s84, s13
	s_cbranch_execz .LBB75_34
; %bb.33:                               ;   in Loop: Header=BB75_4 Depth=1
	v_lshl_add_u64 v[10:11], s[38:39], 2, v[0:1]
	global_load_b32 v10, v[10:11], off
.LBB75_34:                              ;   in Loop: Header=BB75_4 Depth=1
	s_wait_xcnt 0x0
	s_or_b32 exec_lo, exec_lo, s84
	v_dual_mov_b32 v9, 0 :: v_dual_mov_b32 v11, 0
	s_wait_loadcnt 0x0
	ds_store_b32 v8, v10 offset:1056
	s_and_saveexec_b32 s84, s14
	s_cbranch_execz .LBB75_36
; %bb.35:                               ;   in Loop: Header=BB75_4 Depth=1
	v_lshl_add_u64 v[10:11], s[40:41], 2, v[0:1]
	global_load_b32 v11, v[10:11], off
.LBB75_36:                              ;   in Loop: Header=BB75_4 Depth=1
	s_wait_xcnt 0x0
	s_or_b32 exec_lo, exec_lo, s84
	s_wait_loadcnt 0x0
	ds_store_b32 v8, v11 offset:2112
	s_and_saveexec_b32 s84, s15
	s_cbranch_execz .LBB75_38
; %bb.37:                               ;   in Loop: Header=BB75_4 Depth=1
	v_lshl_add_u64 v[10:11], s[42:43], 2, v[0:1]
	global_load_b32 v9, v[10:11], off
.LBB75_38:                              ;   in Loop: Header=BB75_4 Depth=1
	s_wait_xcnt 0x0
	s_or_b32 exec_lo, exec_lo, s84
	v_lshlrev_b32_e32 v22, 2, v16
	s_mov_b32 s84, 0
	s_wait_loadcnt 0x0
	ds_store_b32 v8, v9 offset:3168
	v_add_nc_u64_e32 v[0:1], v[0:1], v[22:23]
	s_delay_alu instid0(VALU_DEP_1) | instskip(NEXT) | instid1(VALU_DEP_1)
	v_lshl_add_u64 v[0:1], s[48:49], 2, v[0:1]
	v_add_nc_u64_e32 v[0:1], 0x84, v[0:1]
	s_delay_alu instid0(VALU_DEP_1)
	v_dual_cndmask_b32 v1, v1, v3, s11 :: v_dual_cndmask_b32 v0, v0, v2, s11
.LBB75_39:                              ;   in Loop: Header=BB75_4 Depth=1
	s_and_b32 vcc_lo, exec_lo, s84
	s_cbranch_vccz .LBB75_41
; %bb.40:                               ;   in Loop: Header=BB75_4 Depth=1
	v_lshl_add_u64 v[0:1], s[38:39], 2, v[6:7]
	s_delay_alu instid0(VALU_DEP_1) | instskip(NEXT) | instid1(VALU_DEP_1)
	v_add_nc_u64_e32 v[10:11], s[50:51], v[0:1]
	v_add_nc_u64_e32 v[12:13], s[50:51], v[10:11]
	s_clause 0x3
	global_load_b32 v6, v[6:7], off offset:128
	global_load_b32 v7, v[0:1], off offset:128
	;; [unrolled: 1-line block ×4, first 2 shown]
	v_mov_b64_e32 v[0:1], v[2:3]
	s_wait_loadcnt 0x3
	ds_store_b32 v8, v6
	s_wait_loadcnt 0x2
	ds_store_b32 v8, v7 offset:1056
	s_wait_loadcnt 0x1
	ds_store_b32 v8, v9 offset:2112
	;; [unrolled: 2-line block ×3, first 2 shown]
.LBB75_41:                              ;   in Loop: Header=BB75_4 Depth=1
	s_wait_dscnt 0x0
	s_barrier_signal -1
	s_barrier_wait -1
	s_wait_xcnt 0x0
	s_and_saveexec_b32 s84, s6
	s_cbranch_execnz .LBB75_126
; %bb.42:                               ;   in Loop: Header=BB75_4 Depth=1
	s_or_b32 exec_lo, exec_lo, s84
	s_and_saveexec_b32 s84, s7
	s_cbranch_execnz .LBB75_127
.LBB75_43:                              ;   in Loop: Header=BB75_4 Depth=1
	s_or_b32 exec_lo, exec_lo, s84
	s_and_saveexec_b32 s84, s8
	s_cbranch_execnz .LBB75_128
.LBB75_44:                              ;   in Loop: Header=BB75_4 Depth=1
	s_or_b32 exec_lo, exec_lo, s84
	s_and_saveexec_b32 s84, s9
	s_cbranch_execz .LBB75_46
.LBB75_45:                              ;   in Loop: Header=BB75_4 Depth=1
	ds_load_b32 v2, v133 offset:264
	s_wait_dscnt 0x0
	ds_store_b32 v118, v2 offset:12
.LBB75_46:                              ;   in Loop: Header=BB75_4 Depth=1
	s_or_b32 exec_lo, exec_lo, s84
	s_wait_dscnt 0x0
	s_barrier_signal -1
	s_barrier_wait -1
	ds_load_2addr_b32 v[2:3], v133 offset1:33
	ds_load_b32 v6, v132
	ds_load_b128 v[10:13], v119 offset:128
	ds_load_b32 v15, v133 offset:264
	s_wait_dscnt 0x0
	s_barrier_signal -1
	s_barrier_wait -1
	v_dual_mov_b32 v7, v2 :: v_dual_mov_b32 v14, v3
	s_delay_alu instid0(VALU_DEP_1) | instskip(NEXT) | instid1(VALU_DEP_2)
	v_pk_mul_f32 v[6:7], v[6:7], v[10:11]
	v_pk_mul_f32 v[2:3], v[14:15], v[12:13]
	s_delay_alu instid0(VALU_DEP_2) | instskip(NEXT) | instid1(VALU_DEP_1)
	v_add_f32_e32 v6, 0, v6
	v_add_f32_e32 v6, v6, v7
	s_delay_alu instid0(VALU_DEP_1) | instskip(NEXT) | instid1(VALU_DEP_1)
	v_add_f32_e32 v2, v6, v2
	v_add_f32_e32 v2, v2, v3
	ds_store_b32 v120, v2
	s_wait_dscnt 0x0
	s_barrier_signal -1
	s_barrier_wait -1
	s_and_saveexec_b32 s84, s16
	s_cbranch_execz .LBB75_48
; %bb.47:                               ;   in Loop: Header=BB75_4 Depth=1
	ds_load_2addr_b32 v[2:3], v117 offset1:1
	ds_load_2addr_b32 v[6:7], v117 offset0:2 offset1:3
	ds_load_2addr_b32 v[10:11], v117 offset0:4 offset1:5
	;; [unrolled: 1-line block ×3, first 2 shown]
	s_wait_dscnt 0x3
	v_add_f32_e32 v2, v2, v3
	s_wait_dscnt 0x2
	s_delay_alu instid0(VALU_DEP_1) | instskip(NEXT) | instid1(VALU_DEP_1)
	v_add_f32_e32 v2, v2, v6
	v_add_f32_e32 v2, v2, v7
	s_wait_dscnt 0x1
	s_delay_alu instid0(VALU_DEP_1) | instskip(NEXT) | instid1(VALU_DEP_1)
	v_add_f32_e32 v2, v2, v10
	v_add_f32_e32 v2, v2, v11
	s_wait_dscnt 0x0
	s_delay_alu instid0(VALU_DEP_1) | instskip(NEXT) | instid1(VALU_DEP_1)
	v_add_f32_e32 v2, v2, v12
	v_add_f32_e32 v138, v2, v13
.LBB75_48:                              ;   in Loop: Header=BB75_4 Depth=1
	s_or_b32 exec_lo, exec_lo, s84
	v_add_nc_u64_e32 v[2:3], s[74:75], v[0:1]
	s_and_b32 vcc_lo, exec_lo, s91
	s_mov_b32 s84, -1
	s_barrier_signal -1
	s_barrier_wait -1
                                        ; implicit-def: $vgpr6_vgpr7
	s_cbranch_vccz .LBB75_58
; %bb.49:                               ;   in Loop: Header=BB75_4 Depth=1
	v_lshl_add_u64 v[6:7], v[42:43], 2, v[0:1]
	v_mov_b32_e32 v9, 0
	s_delay_alu instid0(VALU_DEP_2) | instskip(NEXT) | instid1(VALU_DEP_1)
	v_lshl_add_u64 v[6:7], s[22:23], 2, v[6:7]
	v_add_nc_u64_e32 v[6:7], s[76:77], v[6:7]
	s_delay_alu instid0(VALU_DEP_1) | instskip(NEXT) | instid1(VALU_DEP_2)
	v_dual_mov_b32 v10, 0 :: v_dual_cndmask_b32 v7, v7, v3, s1
	v_cndmask_b32_e64 v6, v6, v2, s1
	s_and_saveexec_b32 s84, s12
	s_cbranch_execz .LBB75_51
; %bb.50:                               ;   in Loop: Header=BB75_4 Depth=1
	global_load_b32 v9, v[6:7], off
.LBB75_51:                              ;   in Loop: Header=BB75_4 Depth=1
	s_wait_xcnt 0x0
	s_or_b32 exec_lo, exec_lo, s84
	s_wait_loadcnt 0x0
	ds_store_b32 v8, v9
	s_and_saveexec_b32 s84, s13
	s_cbranch_execz .LBB75_53
; %bb.52:                               ;   in Loop: Header=BB75_4 Depth=1
	v_lshl_add_u64 v[10:11], s[38:39], 2, v[6:7]
	global_load_b32 v10, v[10:11], off
.LBB75_53:                              ;   in Loop: Header=BB75_4 Depth=1
	s_wait_xcnt 0x0
	s_or_b32 exec_lo, exec_lo, s84
	v_dual_mov_b32 v9, 0 :: v_dual_mov_b32 v11, 0
	s_wait_loadcnt 0x0
	ds_store_b32 v8, v10 offset:1056
	s_and_saveexec_b32 s84, s14
	s_cbranch_execz .LBB75_55
; %bb.54:                               ;   in Loop: Header=BB75_4 Depth=1
	v_lshl_add_u64 v[10:11], s[40:41], 2, v[6:7]
	global_load_b32 v11, v[10:11], off
.LBB75_55:                              ;   in Loop: Header=BB75_4 Depth=1
	s_wait_xcnt 0x0
	s_or_b32 exec_lo, exec_lo, s84
	s_wait_loadcnt 0x0
	ds_store_b32 v8, v11 offset:2112
	s_and_saveexec_b32 s84, s15
	s_cbranch_execz .LBB75_57
; %bb.56:                               ;   in Loop: Header=BB75_4 Depth=1
	v_lshl_add_u64 v[10:11], s[42:43], 2, v[6:7]
	global_load_b32 v9, v[10:11], off
.LBB75_57:                              ;   in Loop: Header=BB75_4 Depth=1
	s_wait_xcnt 0x0
	s_or_b32 exec_lo, exec_lo, s84
	v_lshlrev_b32_e32 v22, 2, v16
	s_mov_b32 s84, 0
	s_wait_loadcnt 0x0
	ds_store_b32 v8, v9 offset:3168
	v_add_nc_u64_e32 v[6:7], v[6:7], v[22:23]
	s_delay_alu instid0(VALU_DEP_1) | instskip(NEXT) | instid1(VALU_DEP_1)
	v_lshl_add_u64 v[6:7], s[48:49], 2, v[6:7]
	v_add_nc_u64_e32 v[6:7], 4, v[6:7]
	s_delay_alu instid0(VALU_DEP_1)
	v_dual_cndmask_b32 v7, v7, v3, s1 :: v_dual_cndmask_b32 v6, v6, v2, s1
.LBB75_58:                              ;   in Loop: Header=BB75_4 Depth=1
	s_and_b32 vcc_lo, exec_lo, s84
	s_cbranch_vccz .LBB75_60
; %bb.59:                               ;   in Loop: Header=BB75_4 Depth=1
	v_lshl_add_u64 v[6:7], s[38:39], 2, v[0:1]
	s_delay_alu instid0(VALU_DEP_1) | instskip(NEXT) | instid1(VALU_DEP_1)
	v_add_nc_u64_e32 v[10:11], s[50:51], v[6:7]
	v_add_nc_u64_e32 v[12:13], s[50:51], v[10:11]
	s_clause 0x3
	global_load_b32 v0, v[0:1], off offset:-128
	global_load_b32 v1, v[6:7], off offset:-128
	;; [unrolled: 1-line block ×4, first 2 shown]
	v_mov_b64_e32 v[6:7], v[2:3]
	s_wait_loadcnt 0x3
	ds_store_b32 v8, v0
	s_wait_loadcnt 0x2
	ds_store_b32 v8, v1 offset:1056
	s_wait_loadcnt 0x1
	ds_store_b32 v8, v9 offset:2112
	;; [unrolled: 2-line block ×3, first 2 shown]
.LBB75_60:                              ;   in Loop: Header=BB75_4 Depth=1
	v_dual_add_nc_u32 v9, v118, v122 :: v_dual_add_nc_u32 v8, v119, v122
	s_wait_dscnt 0x0
	s_barrier_signal -1
	s_barrier_wait -1
	ds_load_2addr_b32 v[0:1], v129 offset0:8 offset1:16
	ds_load_2addr_b32 v[2:3], v130 offset0:8 offset1:16
	ds_load_b32 v8, v8
	s_wait_xcnt 0x0
	ds_load_b32 v12, v9
	ds_load_b32 v15, v129 offset:96
	ds_load_b32 v51, v130 offset:96
	;; [unrolled: 1-line block ×3, first 2 shown]
	ds_load_b32 v11, v132
	s_wait_dscnt 0x6
	v_dual_mov_b32 v13, v0 :: v_dual_mov_b32 v9, v2
	v_dual_mov_b32 v14, v1 :: v_dual_mov_b32 v50, v3
	s_wait_dscnt 0x4
	s_delay_alu instid0(VALU_DEP_2)
	v_pk_mul_f32 v[12:13], v[12:13], v[8:9]
	ds_load_2addr_b32 v[8:9], v133 offset1:33
	ds_load_b128 v[0:3], v119 offset:128
	s_wait_dscnt 0x4
	v_pk_mul_f32 v[14:15], v[14:15], v[50:51]
	s_wait_dscnt 0x0
	s_barrier_signal -1
	v_add_f32_e32 v12, 0, v12
	s_barrier_wait -1
	s_delay_alu instid0(VALU_DEP_1) | instskip(NEXT) | instid1(VALU_DEP_1)
	v_add_f32_e32 v12, v12, v13
	v_add_f32_e32 v12, v12, v14
	s_delay_alu instid0(VALU_DEP_1)
	v_add_f32_e32 v12, v12, v15
	ds_store_b32 v120, v12
	s_wait_dscnt 0x0
	s_barrier_signal -1
	s_barrier_wait -1
	s_and_saveexec_b32 s84, s16
	s_cbranch_execz .LBB75_62
; %bb.61:                               ;   in Loop: Header=BB75_4 Depth=1
	ds_load_2addr_b32 v[12:13], v117 offset1:1
	ds_load_2addr_b32 v[14:15], v117 offset0:2 offset1:3
	ds_load_2addr_b32 v[50:51], v117 offset0:4 offset1:5
	;; [unrolled: 1-line block ×3, first 2 shown]
	s_wait_dscnt 0x3
	v_add_f32_e32 v12, v138, v12
	s_delay_alu instid0(VALU_DEP_1) | instskip(SKIP_1) | instid1(VALU_DEP_1)
	v_add_f32_e32 v12, v12, v13
	s_wait_dscnt 0x2
	v_add_f32_e32 v12, v12, v14
	s_delay_alu instid0(VALU_DEP_1) | instskip(SKIP_1) | instid1(VALU_DEP_1)
	v_add_f32_e32 v12, v12, v15
	;; [unrolled: 4-line block ×3, first 2 shown]
	s_wait_dscnt 0x0
	v_add_f32_e32 v12, v12, v52
	s_delay_alu instid0(VALU_DEP_1)
	v_add_f32_e32 v138, v12, v53
.LBB75_62:                              ;   in Loop: Header=BB75_4 Depth=1
	s_or_b32 exec_lo, exec_lo, s84
	v_fma_f32 v0, v11, v0, 0
	s_barrier_signal -1
	s_barrier_wait -1
	s_delay_alu instid0(VALU_DEP_1) | instskip(NEXT) | instid1(VALU_DEP_1)
	v_fmac_f32_e32 v0, v8, v1
	v_fmac_f32_e32 v0, v9, v2
	s_delay_alu instid0(VALU_DEP_1)
	v_fmac_f32_e32 v0, v10, v3
	ds_store_b32 v120, v0
	s_wait_dscnt 0x0
	s_barrier_signal -1
	s_barrier_wait -1
	s_and_saveexec_b32 s84, s10
	s_cbranch_execz .LBB75_64
; %bb.63:                               ;   in Loop: Header=BB75_4 Depth=1
	ds_load_2addr_b32 v[0:1], v117 offset1:1
	ds_load_2addr_b32 v[2:3], v117 offset0:2 offset1:3
	ds_load_2addr_b32 v[8:9], v117 offset0:4 offset1:5
	;; [unrolled: 1-line block ×3, first 2 shown]
	s_wait_dscnt 0x3
	v_add_f32_e32 v0, v138, v0
	s_delay_alu instid0(VALU_DEP_1) | instskip(SKIP_1) | instid1(VALU_DEP_1)
	v_add_f32_e32 v0, v0, v1
	s_wait_dscnt 0x2
	v_add_f32_e32 v0, v0, v2
	s_delay_alu instid0(VALU_DEP_1) | instskip(SKIP_1) | instid1(VALU_DEP_1)
	v_add_f32_e32 v0, v0, v3
	;; [unrolled: 4-line block ×3, first 2 shown]
	s_wait_dscnt 0x0
	v_add_f32_e32 v0, v0, v10
	s_delay_alu instid0(VALU_DEP_1)
	v_add_f32_e32 v138, v0, v11
.LBB75_64:                              ;   in Loop: Header=BB75_4 Depth=1
	s_or_b32 exec_lo, exec_lo, s84
	s_mul_u64 s[84:85], s[26:27], s[28:29]
	s_and_not1_b32 vcc_lo, exec_lo, s31
	s_lshl_b64 s[84:85], s[84:85], 2
	s_delay_alu instid0(SALU_CYCLE_1)
	s_add_nc_u64 s[84:85], s[36:37], s[84:85]
	s_barrier_signal -1
	s_barrier_wait -1
	s_cbranch_vccnz .LBB75_121
; %bb.65:                               ;   in Loop: Header=BB75_4 Depth=1
	v_add_nc_u64_e32 v[52:53], s[52:53], v[6:7]
	v_add_nc_u64_e32 v[54:55], v[6:7], v[30:31]
	;; [unrolled: 1-line block ×23, first 2 shown]
	v_lshl_add_u64 v[50:51], s[46:47], 2, v[4:5]
	v_lshl_add_u64 v[98:99], s[44:45], 2, v[6:7]
	v_mov_b32_e32 v22, v137
	s_mov_b32 s86, s95
	s_mov_b32 s96, s34
	s_delay_alu instid0(SALU_CYCLE_1)
	s_cmp_eq_u32 s35, s96
	s_cselect_b32 s97, s90, 0
	s_and_saveexec_b32 s98, s0
	s_cbranch_execz .LBB75_69
.LBB75_66:                              ;   in Loop: Header=BB75_4 Depth=1
	v_cmp_gt_i32_e32 vcc_lo, s97, v112
	s_cmp_eq_u32 s97, 0
	v_mov_b32_e32 v0, 0
	s_cselect_b32 s87, -1, 0
	s_delay_alu instid0(SALU_CYCLE_1) | instskip(NEXT) | instid1(SALU_CYCLE_1)
	s_or_b32 s87, s87, vcc_lo
	s_and_saveexec_b32 s99, s87
	s_cbranch_execz .LBB75_68
; %bb.67:                               ;   in Loop: Header=BB75_4 Depth=1
	s_ashr_i32 s87, s86, 31
	s_delay_alu instid0(SALU_CYCLE_1)
	v_lshl_add_u64 v[0:1], s[86:87], 2, v[50:51]
	global_load_b32 v0, v[0:1], off
.LBB75_68:                              ;   in Loop: Header=BB75_4 Depth=1
	s_wait_xcnt 0x0
	s_or_b32 exec_lo, exec_lo, s99
	v_add_nc_u32_e32 v1, 0x10c0, v113
	s_wait_loadcnt 0x0
	ds_store_b32 v1, v0
.LBB75_69:                              ;   Parent Loop BB75_4 Depth=1
                                        ; =>  This Inner Loop Header: Depth=2
	s_or_b32 exec_lo, exec_lo, s98
	s_cmp_eq_u32 s97, 0
	v_add_nc_u64_e32 v[0:1], v[98:99], v[28:29]
	s_cselect_b32 s87, -1, 0
	s_cmp_lg_u32 s97, 0
	s_mov_b32 s99, -1
	s_cselect_b32 s98, -1, 0
	s_wait_dscnt 0x0
	s_and_b32 vcc_lo, exec_lo, s98
	s_barrier_signal -1
	s_barrier_wait -1
                                        ; implicit-def: $vgpr141
                                        ; implicit-def: $vgpr142
                                        ; implicit-def: $vgpr139
                                        ; implicit-def: $vgpr140
	s_cbranch_vccz .LBB75_79
; %bb.70:                               ;   in Loop: Header=BB75_69 Depth=2
	v_dual_mov_b32 v139, 0 :: v_dual_mov_b32 v140, 0
	s_mov_b32 s99, exec_lo
	v_cmpx_gt_i32_e64 s97, v121
	s_cbranch_execz .LBB75_72
; %bb.71:                               ;   in Loop: Header=BB75_69 Depth=2
	global_load_b32 v140, v[0:1], off
.LBB75_72:                              ;   in Loop: Header=BB75_69 Depth=2
	s_wait_xcnt 0x0
	s_or_b32 exec_lo, exec_lo, s99
	v_or_b32_e32 v2, 1, v121
	s_mov_b32 s99, exec_lo
	s_delay_alu instid0(VALU_DEP_1)
	v_cmpx_gt_i32_e64 s97, v2
	s_cbranch_execz .LBB75_74
; %bb.73:                               ;   in Loop: Header=BB75_69 Depth=2
	v_add_nc_u64_e32 v[2:3], v[56:57], v[28:29]
	global_load_b32 v139, v[2:3], off
.LBB75_74:                              ;   in Loop: Header=BB75_69 Depth=2
	s_wait_xcnt 0x0
	s_or_b32 exec_lo, exec_lo, s99
	v_dual_mov_b32 v141, 0 :: v_dual_bitop2_b32 v2, 2, v121 bitop3:0x54
	v_mov_b32_e32 v142, 0
	s_mov_b32 s99, exec_lo
	s_delay_alu instid0(VALU_DEP_2)
	v_cmpx_gt_i32_e64 s97, v2
	s_cbranch_execz .LBB75_76
; %bb.75:                               ;   in Loop: Header=BB75_69 Depth=2
	v_add_nc_u64_e32 v[2:3], v[58:59], v[28:29]
	global_load_b32 v142, v[2:3], off
.LBB75_76:                              ;   in Loop: Header=BB75_69 Depth=2
	s_wait_xcnt 0x0
	s_or_b32 exec_lo, exec_lo, s99
	v_or_b32_e32 v2, 3, v121
	s_mov_b32 s99, exec_lo
	s_delay_alu instid0(VALU_DEP_1)
	v_cmpx_gt_i32_e64 s97, v2
	s_cbranch_execz .LBB75_78
; %bb.77:                               ;   in Loop: Header=BB75_69 Depth=2
	v_add_nc_u64_e32 v[2:3], v[60:61], v[28:29]
	global_load_b32 v141, v[2:3], off
.LBB75_78:                              ;   in Loop: Header=BB75_69 Depth=2
	s_wait_xcnt 0x0
	s_or_b32 exec_lo, exec_lo, s99
	s_mov_b32 s99, 0
.LBB75_79:                              ;   in Loop: Header=BB75_69 Depth=2
	s_delay_alu instid0(SALU_CYCLE_1)
	s_and_b32 vcc_lo, exec_lo, s99
	s_cbranch_vccz .LBB75_81
; %bb.80:                               ;   in Loop: Header=BB75_69 Depth=2
	v_add_nc_u64_e32 v[2:3], v[56:57], v[28:29]
	v_add_nc_u64_e32 v[4:5], v[52:53], v[28:29]
	;; [unrolled: 1-line block ×3, first 2 shown]
	s_wait_loadcnt 0x0
	global_load_b32 v140, v[0:1], off
	global_load_b32 v139, v[2:3], off
	;; [unrolled: 1-line block ×4, first 2 shown]
.LBB75_81:                              ;   in Loop: Header=BB75_69 Depth=2
	s_wait_xcnt 0x1
	ds_load_b32 v4, v114
	ds_load_b128 v[0:3], v123
	v_cndmask_b32_e64 v12, 0, 1, s98
	s_and_not1_b32 vcc_lo, exec_lo, s98
	s_mov_b32 s98, -1
                                        ; implicit-def: $vgpr145
                                        ; implicit-def: $vgpr146
                                        ; implicit-def: $vgpr143
                                        ; implicit-def: $vgpr144
	s_wait_loadcnt_dscnt 0x1
	s_wait_xcnt 0x0
	v_dual_mul_f32 v5, v140, v4 :: v_dual_mul_f32 v6, v139, v4
	v_dual_mul_f32 v7, v142, v4 :: v_dual_mul_f32 v4, v141, v4
	ds_store_2addr_b32 v124, v5, v6 offset1:67
	ds_store_2addr_b32 v124, v7, v4 offset0:134 offset1:201
	s_wait_dscnt 0x0
	s_barrier_signal -1
	s_barrier_wait -1
	ds_load_2addr_b32 v[102:103], v131 offset1:1
	ds_load_2addr_b32 v[100:101], v131 offset0:2 offset1:3
	v_add_nc_u64_e32 v[4:5], v[62:63], v[28:29]
	s_wait_dscnt 0x0
	s_barrier_signal -1
	s_barrier_wait -1
	s_cbranch_vccnz .LBB75_91
; %bb.82:                               ;   in Loop: Header=BB75_69 Depth=2
	v_dual_mov_b32 v143, 0 :: v_dual_add_nc_u32 v6, 16, v121
	v_mov_b32_e32 v144, 0
	s_mov_b32 s98, exec_lo
	s_delay_alu instid0(VALU_DEP_2)
	v_cmpx_gt_i32_e64 s97, v6
	s_cbranch_execz .LBB75_84
; %bb.83:                               ;   in Loop: Header=BB75_69 Depth=2
	global_load_b32 v144, v[4:5], off
.LBB75_84:                              ;   in Loop: Header=BB75_69 Depth=2
	s_wait_xcnt 0x0
	s_or_b32 exec_lo, exec_lo, s98
	v_add_nc_u32_e32 v6, 17, v121
	s_mov_b32 s98, exec_lo
	s_delay_alu instid0(VALU_DEP_1)
	v_cmpx_gt_i32_e64 s97, v6
	s_cbranch_execz .LBB75_86
; %bb.85:                               ;   in Loop: Header=BB75_69 Depth=2
	v_add_nc_u64_e32 v[6:7], v[64:65], v[28:29]
	global_load_b32 v143, v[6:7], off
.LBB75_86:                              ;   in Loop: Header=BB75_69 Depth=2
	s_wait_xcnt 0x0
	s_or_b32 exec_lo, exec_lo, s98
	v_dual_mov_b32 v145, 0 :: v_dual_add_nc_u32 v6, 18, v121
	v_mov_b32_e32 v146, 0
	s_mov_b32 s98, exec_lo
	s_delay_alu instid0(VALU_DEP_2)
	v_cmpx_gt_i32_e64 s97, v6
	s_cbranch_execz .LBB75_88
; %bb.87:                               ;   in Loop: Header=BB75_69 Depth=2
	v_add_nc_u64_e32 v[6:7], v[66:67], v[28:29]
	global_load_b32 v146, v[6:7], off
.LBB75_88:                              ;   in Loop: Header=BB75_69 Depth=2
	s_wait_xcnt 0x0
	s_or_b32 exec_lo, exec_lo, s98
	v_add_nc_u32_e32 v6, 19, v121
	s_mov_b32 s98, exec_lo
	s_delay_alu instid0(VALU_DEP_1)
	v_cmpx_gt_i32_e64 s97, v6
	s_cbranch_execz .LBB75_90
; %bb.89:                               ;   in Loop: Header=BB75_69 Depth=2
	v_add_nc_u64_e32 v[6:7], v[68:69], v[28:29]
	global_load_b32 v145, v[6:7], off
.LBB75_90:                              ;   in Loop: Header=BB75_69 Depth=2
	s_wait_xcnt 0x0
	s_or_b32 exec_lo, exec_lo, s98
	s_mov_b32 s98, 0
.LBB75_91:                              ;   in Loop: Header=BB75_69 Depth=2
	s_delay_alu instid0(SALU_CYCLE_1)
	s_and_b32 vcc_lo, exec_lo, s98
	s_cbranch_vccz .LBB75_93
; %bb.92:                               ;   in Loop: Header=BB75_69 Depth=2
	v_add_nc_u64_e32 v[6:7], v[64:65], v[28:29]
	v_add_nc_u64_e32 v[8:9], v[70:71], v[28:29]
	;; [unrolled: 1-line block ×3, first 2 shown]
	s_wait_loadcnt 0x0
	global_load_b32 v144, v[4:5], off
	global_load_b32 v143, v[6:7], off
	;; [unrolled: 1-line block ×4, first 2 shown]
.LBB75_93:                              ;   in Loop: Header=BB75_69 Depth=2
	s_wait_xcnt 0x1
	ds_load_b32 v8, v114
	ds_load_b128 v[4:7], v123 offset:64
	v_cmp_ne_u32_e32 vcc_lo, 1, v12
	s_mov_b32 s98, -1
                                        ; implicit-def: $vgpr148
                                        ; implicit-def: $vgpr150
                                        ; implicit-def: $vgpr147
                                        ; implicit-def: $vgpr149
	s_and_b32 vcc_lo, exec_lo, vcc_lo
	s_wait_loadcnt_dscnt 0x1
	s_wait_xcnt 0x0
	v_dual_mul_f32 v9, v144, v8 :: v_dual_mul_f32 v10, v143, v8
	v_dual_mul_f32 v11, v146, v8 :: v_dual_mul_f32 v8, v145, v8
	ds_store_2addr_b32 v124, v9, v10 offset1:67
	ds_store_2addr_b32 v124, v11, v8 offset0:134 offset1:201
	s_wait_dscnt 0x0
	s_barrier_signal -1
	s_barrier_wait -1
	ds_load_2addr_b32 v[106:107], v131 offset1:1
	ds_load_2addr_b32 v[104:105], v131 offset0:2 offset1:3
	v_add_nc_u64_e32 v[8:9], v[74:75], v[28:29]
	s_wait_dscnt 0x0
	s_barrier_signal -1
	s_barrier_wait -1
	s_cbranch_vccnz .LBB75_103
; %bb.94:                               ;   in Loop: Header=BB75_69 Depth=2
	v_dual_mov_b32 v147, 0 :: v_dual_add_nc_u32 v10, 32, v121
	v_mov_b32_e32 v149, 0
	s_mov_b32 s98, exec_lo
	s_delay_alu instid0(VALU_DEP_2)
	v_cmpx_gt_i32_e64 s97, v10
	s_cbranch_execz .LBB75_96
; %bb.95:                               ;   in Loop: Header=BB75_69 Depth=2
	global_load_b32 v149, v[8:9], off
.LBB75_96:                              ;   in Loop: Header=BB75_69 Depth=2
	s_wait_xcnt 0x0
	s_or_b32 exec_lo, exec_lo, s98
	v_add_nc_u32_e32 v10, 33, v121
	s_mov_b32 s98, exec_lo
	s_delay_alu instid0(VALU_DEP_1)
	v_cmpx_gt_i32_e64 s97, v10
	s_cbranch_execz .LBB75_98
; %bb.97:                               ;   in Loop: Header=BB75_69 Depth=2
	v_add_nc_u64_e32 v[10:11], v[76:77], v[28:29]
	global_load_b32 v147, v[10:11], off
.LBB75_98:                              ;   in Loop: Header=BB75_69 Depth=2
	s_wait_xcnt 0x0
	s_or_b32 exec_lo, exec_lo, s98
	v_dual_add_nc_u32 v10, 34, v121 :: v_dual_mov_b32 v148, 0
	v_mov_b32_e32 v150, 0
	s_mov_b32 s98, exec_lo
	s_delay_alu instid0(VALU_DEP_2)
	v_cmpx_gt_i32_e64 s97, v10
	s_cbranch_execz .LBB75_100
; %bb.99:                               ;   in Loop: Header=BB75_69 Depth=2
	v_add_nc_u64_e32 v[10:11], v[78:79], v[28:29]
	global_load_b32 v150, v[10:11], off
.LBB75_100:                             ;   in Loop: Header=BB75_69 Depth=2
	s_wait_xcnt 0x0
	s_or_b32 exec_lo, exec_lo, s98
	v_add_nc_u32_e32 v10, 35, v121
	s_mov_b32 s98, exec_lo
	s_delay_alu instid0(VALU_DEP_1)
	v_cmpx_gt_i32_e64 s97, v10
	s_cbranch_execz .LBB75_102
; %bb.101:                              ;   in Loop: Header=BB75_69 Depth=2
	v_add_nc_u64_e32 v[10:11], v[80:81], v[28:29]
	global_load_b32 v148, v[10:11], off
.LBB75_102:                             ;   in Loop: Header=BB75_69 Depth=2
	s_wait_xcnt 0x0
	s_or_b32 exec_lo, exec_lo, s98
	s_mov_b32 s98, 0
.LBB75_103:                             ;   in Loop: Header=BB75_69 Depth=2
	s_delay_alu instid0(SALU_CYCLE_1)
	s_and_b32 vcc_lo, exec_lo, s98
	s_cbranch_vccz .LBB75_105
; %bb.104:                              ;   in Loop: Header=BB75_69 Depth=2
	v_add_nc_u64_e32 v[10:11], v[76:77], v[28:29]
	v_add_nc_u64_e32 v[14:15], v[82:83], v[28:29]
	;; [unrolled: 1-line block ×3, first 2 shown]
	s_wait_loadcnt 0x0
	global_load_b32 v149, v[8:9], off
	global_load_b32 v147, v[10:11], off
	;; [unrolled: 1-line block ×4, first 2 shown]
.LBB75_105:                             ;   in Loop: Header=BB75_69 Depth=2
	ds_load_b32 v13, v114
	s_wait_xcnt 0x2
	ds_load_b128 v[8:11], v123 offset:128
	v_cmp_ne_u32_e32 vcc_lo, 1, v12
	s_mov_b32 s98, -1
                                        ; implicit-def: $vgpr153
                                        ; implicit-def: $vgpr154
                                        ; implicit-def: $vgpr151
                                        ; implicit-def: $vgpr152
	s_and_b32 vcc_lo, exec_lo, vcc_lo
	s_wait_loadcnt_dscnt 0x1
	s_wait_xcnt 0x1
	v_dual_mul_f32 v14, v149, v13 :: v_dual_mul_f32 v15, v147, v13
	s_wait_xcnt 0x0
	v_dual_mul_f32 v108, v150, v13 :: v_dual_mul_f32 v13, v148, v13
	ds_store_2addr_b32 v124, v14, v15 offset1:67
	ds_store_2addr_b32 v124, v108, v13 offset0:134 offset1:201
	s_wait_dscnt 0x0
	s_barrier_signal -1
	s_barrier_wait -1
	ds_load_2addr_b32 v[110:111], v131 offset1:1
	ds_load_2addr_b32 v[108:109], v131 offset0:2 offset1:3
	v_add_nc_u64_e32 v[12:13], v[86:87], v[26:27]
	s_wait_dscnt 0x0
	s_barrier_signal -1
	s_barrier_wait -1
	s_cbranch_vccnz .LBB75_115
; %bb.106:                              ;   in Loop: Header=BB75_69 Depth=2
	v_dual_mov_b32 v151, 0 :: v_dual_mov_b32 v152, 0
	s_mov_b32 s98, exec_lo
	v_cmpx_gt_i32_e64 s97, v134
	s_cbranch_execz .LBB75_108
; %bb.107:                              ;   in Loop: Header=BB75_69 Depth=2
	global_load_b32 v152, v[12:13], off
.LBB75_108:                             ;   in Loop: Header=BB75_69 Depth=2
	s_wait_xcnt 0x0
	s_or_b32 exec_lo, exec_lo, s98
	s_delay_alu instid0(SALU_CYCLE_1)
	s_mov_b32 s98, exec_lo
	v_cmpx_gt_i32_e64 s97, v135
	s_cbranch_execz .LBB75_110
; %bb.109:                              ;   in Loop: Header=BB75_69 Depth=2
	v_add_nc_u64_e32 v[14:15], v[88:89], v[26:27]
	global_load_b32 v151, v[14:15], off
.LBB75_110:                             ;   in Loop: Header=BB75_69 Depth=2
	s_wait_xcnt 0x0
	s_or_b32 exec_lo, exec_lo, s98
	v_dual_mov_b32 v153, 0 :: v_dual_mov_b32 v154, 0
	s_mov_b32 s98, exec_lo
	v_cmpx_gt_i32_e64 s97, v136
	s_cbranch_execz .LBB75_112
; %bb.111:                              ;   in Loop: Header=BB75_69 Depth=2
	v_add_nc_u64_e32 v[14:15], v[90:91], v[26:27]
	global_load_b32 v154, v[14:15], off
.LBB75_112:                             ;   in Loop: Header=BB75_69 Depth=2
	s_wait_xcnt 0x0
	s_or_b32 exec_lo, exec_lo, s98
	s_delay_alu instid0(SALU_CYCLE_1)
	s_mov_b32 s98, exec_lo
	v_cmpx_gt_i32_e64 s97, v17
	s_cbranch_execz .LBB75_114
; %bb.113:                              ;   in Loop: Header=BB75_69 Depth=2
	v_add_nc_u64_e32 v[14:15], v[92:93], v[26:27]
	global_load_b32 v153, v[14:15], off
.LBB75_114:                             ;   in Loop: Header=BB75_69 Depth=2
	s_wait_xcnt 0x0
	s_or_b32 exec_lo, exec_lo, s98
	s_mov_b32 s98, 0
.LBB75_115:                             ;   in Loop: Header=BB75_69 Depth=2
	s_delay_alu instid0(SALU_CYCLE_1)
	s_and_b32 vcc_lo, exec_lo, s98
	s_cbranch_vccz .LBB75_117
; %bb.116:                              ;   in Loop: Header=BB75_69 Depth=2
	v_add_nc_u64_e32 v[14:15], v[88:89], v[26:27]
	s_wait_loadcnt 0x0
	v_add_nc_u64_e32 v[154:155], v[94:95], v[26:27]
	v_add_nc_u64_e32 v[156:157], v[96:97], v[26:27]
	global_load_b32 v152, v[12:13], off
	global_load_b32 v151, v[14:15], off
	;; [unrolled: 1-line block ×4, first 2 shown]
.LBB75_117:                             ;   in Loop: Header=BB75_69 Depth=2
	s_wait_xcnt 0x1
	ds_load_b32 v155, v114
	ds_load_b128 v[12:15], v123 offset:192
	v_cmp_gt_i32_e32 vcc_lo, s97, v112
	s_or_b32 s87, s87, vcc_lo
	s_delay_alu instid0(SALU_CYCLE_1)
	s_and_b32 s97, s17, s87
	s_wait_loadcnt_dscnt 0x1
	s_wait_xcnt 0x0
	v_dual_mul_f32 v156, v152, v155 :: v_dual_mul_f32 v157, v151, v155
	v_dual_mul_f32 v158, v154, v155 :: v_dual_mul_f32 v155, v153, v155
	ds_store_2addr_b32 v124, v156, v157 offset1:67
	ds_store_2addr_b32 v124, v158, v155 offset0:134 offset1:201
	s_wait_dscnt 0x0
	s_barrier_signal -1
	s_barrier_wait -1
	ds_load_2addr_b32 v[156:157], v131 offset1:1
	ds_load_2addr_b32 v[158:159], v131 offset0:2 offset1:3
	v_add_f32_e32 v110, 0, v110
	s_wait_dscnt 0x0
	s_barrier_signal -1
	s_barrier_wait -1
	v_dual_add_f32 v155, 0, v156 :: v_dual_add_f32 v106, 0, v106
	v_dual_add_f32 v110, v110, v111 :: v_dual_add_f32 v102, 0, v102
	s_delay_alu instid0(VALU_DEP_2) | instskip(NEXT) | instid1(VALU_DEP_2)
	v_add_f32_e32 v106, v106, v107
	v_dual_add_f32 v102, v102, v103 :: v_dual_add_f32 v103, v155, v157
	s_delay_alu instid0(VALU_DEP_3) | instskip(NEXT) | instid1(VALU_DEP_3)
	v_add_f32_e32 v107, v110, v108
	v_add_f32_e32 v104, v106, v104
	s_delay_alu instid0(VALU_DEP_3) | instskip(NEXT) | instid1(VALU_DEP_3)
	v_dual_add_f32 v100, v102, v100 :: v_dual_add_f32 v102, v103, v158
	v_add_f32_e32 v103, v107, v109
	s_delay_alu instid0(VALU_DEP_3) | instskip(NEXT) | instid1(VALU_DEP_3)
	v_add_f32_e32 v104, v104, v105
	v_dual_add_f32 v100, v100, v101 :: v_dual_add_f32 v101, v102, v159
	ds_store_2addr_b32 v125, v100, v104 offset1:16
	ds_store_2addr_b32 v125, v103, v101 offset0:32 offset1:48
	s_wait_dscnt 0x0
	s_barrier_signal -1
	s_barrier_wait -1
	s_and_saveexec_b32 s87, s97
	s_cbranch_execz .LBB75_119
; %bb.118:                              ;   in Loop: Header=BB75_69 Depth=2
	ds_load_2addr_b32 v[100:101], v126 offset1:1
	ds_load_2addr_b32 v[102:103], v126 offset0:2 offset1:3
	ds_load_2addr_b32 v[104:105], v126 offset0:4 offset1:5
	;; [unrolled: 1-line block ×3, first 2 shown]
	s_wait_dscnt 0x3
	v_add_f32_e32 v100, v100, v101
	s_wait_dscnt 0x2
	s_delay_alu instid0(VALU_DEP_1) | instskip(NEXT) | instid1(VALU_DEP_1)
	v_add_f32_e32 v100, v100, v102
	v_add_f32_e32 v102, v100, v103
	ds_load_2addr_b32 v[100:101], v126 offset0:8 offset1:9
	s_wait_dscnt 0x2
	v_add_f32_e32 v102, v102, v104
	s_delay_alu instid0(VALU_DEP_1) | instskip(SKIP_3) | instid1(VALU_DEP_1)
	v_add_f32_e32 v104, v102, v105
	ds_load_2addr_b32 v[102:103], v126 offset0:10 offset1:11
	s_wait_dscnt 0x2
	v_add_f32_e32 v104, v104, v106
	v_add_f32_e32 v106, v104, v107
	ds_load_2addr_b32 v[104:105], v126 offset0:12 offset1:13
	ds_load_b32 v107, v126 offset:56
	s_wait_dscnt 0x3
	v_add_f32_e32 v100, v106, v100
	s_delay_alu instid0(VALU_DEP_1) | instskip(SKIP_3) | instid1(VALU_DEP_1)
	v_add_f32_e32 v100, v100, v101
	ds_load_b32 v101, v127
	s_wait_dscnt 0x3
	v_add_f32_e32 v100, v100, v102
	v_add_f32_e32 v100, v100, v103
	s_wait_dscnt 0x2
	s_delay_alu instid0(VALU_DEP_1) | instskip(NEXT) | instid1(VALU_DEP_1)
	v_add_f32_e32 v100, v100, v104
	v_add_f32_e32 v100, v100, v105
	s_wait_dscnt 0x1
	s_delay_alu instid0(VALU_DEP_1) | instskip(SKIP_1) | instid1(VALU_DEP_1)
	v_add_f32_e32 v100, v100, v107
	s_wait_dscnt 0x0
	v_add_f32_e32 v100, v100, v101
	global_store_b32 v22, v100, s[84:85] scale_offset
.LBB75_119:                             ;   in Loop: Header=BB75_69 Depth=2
	s_wait_xcnt 0x0
	s_or_b32 exec_lo, exec_lo, s87
	v_dual_fmac_f32 v138, v140, v0 :: v_dual_add_nc_u32 v22, 64, v22
	v_add_nc_u64_e32 v[98:99], s[18:19], v[98:99]
	v_add_nc_u64_e32 v[52:53], s[18:19], v[52:53]
	;; [unrolled: 1-line block ×3, first 2 shown]
	s_delay_alu instid0(VALU_DEP_4)
	v_fmac_f32_e32 v138, v139, v1
	v_add_nc_u64_e32 v[56:57], s[18:19], v[56:57]
	v_add_nc_u64_e32 v[58:59], s[18:19], v[58:59]
	v_add_nc_u64_e32 v[60:61], s[18:19], v[60:61]
	v_add_nc_u64_e32 v[62:63], s[18:19], v[62:63]
	v_fmac_f32_e32 v138, v142, v2
	v_add_nc_u64_e32 v[64:65], s[18:19], v[64:65]
	v_add_nc_u64_e32 v[66:67], s[18:19], v[66:67]
	v_add_nc_u64_e32 v[68:69], s[18:19], v[68:69]
	v_add_nc_u64_e32 v[70:71], s[18:19], v[70:71]
	;; [unrolled: 5-line block ×5, first 2 shown]
	v_fmac_f32_e32 v138, v146, v6
	v_add_nc_u64_e32 v[96:97], s[18:19], v[96:97]
	s_add_co_i32 s87, s96, 1
	s_add_co_i32 s96, s96, 2
	;; [unrolled: 1-line block ×3, first 2 shown]
	v_fmac_f32_e32 v138, v145, v7
	s_cmp_ge_u32 s96, s30
	s_wait_storecnt 0x0
	s_barrier_signal -1
	s_barrier_wait -1
	v_fmac_f32_e32 v138, v149, v8
	s_delay_alu instid0(VALU_DEP_1) | instskip(NEXT) | instid1(VALU_DEP_1)
	v_fmac_f32_e32 v138, v147, v9
	v_fmac_f32_e32 v138, v150, v10
	s_delay_alu instid0(VALU_DEP_1) | instskip(NEXT) | instid1(VALU_DEP_1)
	v_fmac_f32_e32 v138, v148, v11
	;; [unrolled: 3-line block ×3, first 2 shown]
	v_fmac_f32_e32 v138, v154, v14
	s_delay_alu instid0(VALU_DEP_1)
	v_fmac_f32_e32 v138, v153, v15
	s_cbranch_scc1 .LBB75_121
; %bb.120:                              ;   in Loop: Header=BB75_69 Depth=2
	s_mov_b32 s96, s87
	s_delay_alu instid0(SALU_CYCLE_1)
	s_cmp_eq_u32 s35, s96
	s_cselect_b32 s97, s90, 0
	s_and_saveexec_b32 s98, s0
	s_cbranch_execnz .LBB75_66
	s_branch .LBB75_69
.LBB75_121:                             ;   in Loop: Header=BB75_4 Depth=1
	ds_store_b32 v128, v138
	s_wait_dscnt 0x0
	s_barrier_signal -1
	s_barrier_wait -1
	s_and_saveexec_b32 s86, s94
	s_cbranch_execz .LBB75_2
; %bb.122:                              ;   in Loop: Header=BB75_4 Depth=1
	ds_load_2addr_b32 v[0:1], v113 offset1:67
	ds_load_2addr_b32 v[2:3], v113 offset0:134 offset1:201
	s_wait_dscnt 0x1
	v_add_f32_e32 v0, v0, v1
	s_wait_dscnt 0x0
	s_delay_alu instid0(VALU_DEP_1) | instskip(NEXT) | instid1(VALU_DEP_1)
	v_add_f32_e32 v0, v0, v2
	v_add_f32_e32 v2, v0, v3
	v_lshl_add_u64 v[0:1], v[18:19], 2, s[84:85]
	global_store_b32 v[0:1], v2, off
	s_branch .LBB75_2
.LBB75_123:                             ;   in Loop: Header=BB75_4 Depth=1
	ds_load_b32 v2, v132
	s_wait_dscnt 0x0
	ds_store_b32 v118, v2
	s_or_b32 exec_lo, exec_lo, s84
	s_and_saveexec_b32 s84, s7
	s_cbranch_execz .LBB75_24
.LBB75_124:                             ;   in Loop: Header=BB75_4 Depth=1
	ds_load_b32 v2, v133
	s_wait_dscnt 0x0
	ds_store_b32 v118, v2 offset:4
	s_or_b32 exec_lo, exec_lo, s84
	s_and_saveexec_b32 s84, s8
	s_cbranch_execz .LBB75_25
.LBB75_125:                             ;   in Loop: Header=BB75_4 Depth=1
	ds_load_b32 v2, v133 offset:132
	s_wait_dscnt 0x0
	ds_store_b32 v118, v2 offset:8
	s_or_b32 exec_lo, exec_lo, s84
	s_and_saveexec_b32 s84, s9
	s_cbranch_execnz .LBB75_26
	s_branch .LBB75_27
.LBB75_126:                             ;   in Loop: Header=BB75_4 Depth=1
	ds_load_b32 v2, v132
	s_wait_dscnt 0x0
	ds_store_b32 v118, v2
	s_or_b32 exec_lo, exec_lo, s84
	s_and_saveexec_b32 s84, s7
	s_cbranch_execz .LBB75_43
.LBB75_127:                             ;   in Loop: Header=BB75_4 Depth=1
	ds_load_b32 v2, v133
	s_wait_dscnt 0x0
	ds_store_b32 v118, v2 offset:4
	s_or_b32 exec_lo, exec_lo, s84
	s_and_saveexec_b32 s84, s8
	s_cbranch_execz .LBB75_44
.LBB75_128:                             ;   in Loop: Header=BB75_4 Depth=1
	ds_load_b32 v2, v133 offset:132
	s_wait_dscnt 0x0
	ds_store_b32 v118, v2 offset:8
	s_or_b32 exec_lo, exec_lo, s84
	s_and_saveexec_b32 s84, s9
	s_cbranch_execnz .LBB75_45
	s_branch .LBB75_46
.LBB75_129:
	s_sendmsg sendmsg(MSG_DEALLOC_VGPRS)
	s_endpgm
	.section	.rodata,"a",@progbits
	.p2align	6, 0x0
	.amdhsa_kernel _ZL26rocblas_hemvn_kernel_upperILb0ELi64ELi4ELi33ELi32ELi16EifPKfPfEviT6_lT7_lT5_lS4_lS5_lS3_lT8_i
		.amdhsa_group_segment_fixed_size 4800
		.amdhsa_private_segment_fixed_size 0
		.amdhsa_kernarg_size 368
		.amdhsa_user_sgpr_count 2
		.amdhsa_user_sgpr_dispatch_ptr 0
		.amdhsa_user_sgpr_queue_ptr 0
		.amdhsa_user_sgpr_kernarg_segment_ptr 1
		.amdhsa_user_sgpr_dispatch_id 0
		.amdhsa_user_sgpr_kernarg_preload_length 0
		.amdhsa_user_sgpr_kernarg_preload_offset 0
		.amdhsa_user_sgpr_private_segment_size 0
		.amdhsa_wavefront_size32 1
		.amdhsa_uses_dynamic_stack 0
		.amdhsa_enable_private_segment 0
		.amdhsa_system_sgpr_workgroup_id_x 1
		.amdhsa_system_sgpr_workgroup_id_y 0
		.amdhsa_system_sgpr_workgroup_id_z 1
		.amdhsa_system_sgpr_workgroup_info 0
		.amdhsa_system_vgpr_workitem_id 1
		.amdhsa_next_free_vgpr 160
		.amdhsa_next_free_sgpr 100
		.amdhsa_named_barrier_count 0
		.amdhsa_reserve_vcc 1
		.amdhsa_float_round_mode_32 0
		.amdhsa_float_round_mode_16_64 0
		.amdhsa_float_denorm_mode_32 3
		.amdhsa_float_denorm_mode_16_64 3
		.amdhsa_fp16_overflow 0
		.amdhsa_memory_ordered 1
		.amdhsa_forward_progress 1
		.amdhsa_inst_pref_size 53
		.amdhsa_round_robin_scheduling 0
		.amdhsa_exception_fp_ieee_invalid_op 0
		.amdhsa_exception_fp_denorm_src 0
		.amdhsa_exception_fp_ieee_div_zero 0
		.amdhsa_exception_fp_ieee_overflow 0
		.amdhsa_exception_fp_ieee_underflow 0
		.amdhsa_exception_fp_ieee_inexact 0
		.amdhsa_exception_int_div_zero 0
	.end_amdhsa_kernel
	.section	.text._ZL26rocblas_hemvn_kernel_upperILb0ELi64ELi4ELi33ELi32ELi16EifPKfPfEviT6_lT7_lT5_lS4_lS5_lS3_lT8_i,"axG",@progbits,_ZL26rocblas_hemvn_kernel_upperILb0ELi64ELi4ELi33ELi32ELi16EifPKfPfEviT6_lT7_lT5_lS4_lS5_lS3_lT8_i,comdat
.Lfunc_end75:
	.size	_ZL26rocblas_hemvn_kernel_upperILb0ELi64ELi4ELi33ELi32ELi16EifPKfPfEviT6_lT7_lT5_lS4_lS5_lS3_lT8_i, .Lfunc_end75-_ZL26rocblas_hemvn_kernel_upperILb0ELi64ELi4ELi33ELi32ELi16EifPKfPfEviT6_lT7_lT5_lS4_lS5_lS3_lT8_i
                                        ; -- End function
	.set _ZL26rocblas_hemvn_kernel_upperILb0ELi64ELi4ELi33ELi32ELi16EifPKfPfEviT6_lT7_lT5_lS4_lS5_lS3_lT8_i.num_vgpr, 160
	.set _ZL26rocblas_hemvn_kernel_upperILb0ELi64ELi4ELi33ELi32ELi16EifPKfPfEviT6_lT7_lT5_lS4_lS5_lS3_lT8_i.num_agpr, 0
	.set _ZL26rocblas_hemvn_kernel_upperILb0ELi64ELi4ELi33ELi32ELi16EifPKfPfEviT6_lT7_lT5_lS4_lS5_lS3_lT8_i.numbered_sgpr, 100
	.set _ZL26rocblas_hemvn_kernel_upperILb0ELi64ELi4ELi33ELi32ELi16EifPKfPfEviT6_lT7_lT5_lS4_lS5_lS3_lT8_i.num_named_barrier, 0
	.set _ZL26rocblas_hemvn_kernel_upperILb0ELi64ELi4ELi33ELi32ELi16EifPKfPfEviT6_lT7_lT5_lS4_lS5_lS3_lT8_i.private_seg_size, 0
	.set _ZL26rocblas_hemvn_kernel_upperILb0ELi64ELi4ELi33ELi32ELi16EifPKfPfEviT6_lT7_lT5_lS4_lS5_lS3_lT8_i.uses_vcc, 1
	.set _ZL26rocblas_hemvn_kernel_upperILb0ELi64ELi4ELi33ELi32ELi16EifPKfPfEviT6_lT7_lT5_lS4_lS5_lS3_lT8_i.uses_flat_scratch, 0
	.set _ZL26rocblas_hemvn_kernel_upperILb0ELi64ELi4ELi33ELi32ELi16EifPKfPfEviT6_lT7_lT5_lS4_lS5_lS3_lT8_i.has_dyn_sized_stack, 0
	.set _ZL26rocblas_hemvn_kernel_upperILb0ELi64ELi4ELi33ELi32ELi16EifPKfPfEviT6_lT7_lT5_lS4_lS5_lS3_lT8_i.has_recursion, 0
	.set _ZL26rocblas_hemvn_kernel_upperILb0ELi64ELi4ELi33ELi32ELi16EifPKfPfEviT6_lT7_lT5_lS4_lS5_lS3_lT8_i.has_indirect_call, 0
	.section	.AMDGPU.csdata,"",@progbits
; Kernel info:
; codeLenInByte = 6696
; TotalNumSgprs: 102
; NumVgprs: 160
; ScratchSize: 0
; MemoryBound: 0
; FloatMode: 240
; IeeeMode: 1
; LDSByteSize: 4800 bytes/workgroup (compile time only)
; SGPRBlocks: 0
; VGPRBlocks: 9
; NumSGPRsForWavesPerEU: 102
; NumVGPRsForWavesPerEU: 160
; NamedBarCnt: 0
; Occupancy: 6
; WaveLimiterHint : 0
; COMPUTE_PGM_RSRC2:SCRATCH_EN: 0
; COMPUTE_PGM_RSRC2:USER_SGPR: 2
; COMPUTE_PGM_RSRC2:TRAP_HANDLER: 0
; COMPUTE_PGM_RSRC2:TGID_X_EN: 1
; COMPUTE_PGM_RSRC2:TGID_Y_EN: 0
; COMPUTE_PGM_RSRC2:TGID_Z_EN: 1
; COMPUTE_PGM_RSRC2:TIDIG_COMP_CNT: 1
	.section	.text._ZL36rocblas_hemvn_kernel_upper_block_sumILi64EifPffEviT1_lS1_lT2_lT0_lPT3_i,"axG",@progbits,_ZL36rocblas_hemvn_kernel_upper_block_sumILi64EifPffEviT1_lS1_lT2_lT0_lPT3_i,comdat
	.globl	_ZL36rocblas_hemvn_kernel_upper_block_sumILi64EifPffEviT1_lS1_lT2_lT0_lPT3_i ; -- Begin function _ZL36rocblas_hemvn_kernel_upper_block_sumILi64EifPffEviT1_lS1_lT2_lT0_lPT3_i
	.p2align	8
	.type	_ZL36rocblas_hemvn_kernel_upper_block_sumILi64EifPffEviT1_lS1_lT2_lT0_lPT3_i,@function
_ZL36rocblas_hemvn_kernel_upper_block_sumILi64EifPffEviT1_lS1_lT2_lT0_lPT3_i: ; @_ZL36rocblas_hemvn_kernel_upper_block_sumILi64EifPffEviT1_lS1_lT2_lT0_lPT3_i
; %bb.0:
	s_load_b32 s18, s[0:1], 0x48
	s_bfe_u32 s2, ttmp6, 0x40014
	s_lshr_b32 s3, ttmp7, 16
	s_add_co_i32 s2, s2, 1
	s_bfe_u32 s4, ttmp6, 0x40008
	s_mul_i32 s2, s3, s2
	s_getreg_b32 s10, hwreg(HW_REG_IB_STS2, 6, 4)
	s_add_co_i32 s4, s4, s2
	s_cmp_eq_u32 s10, 0
	s_cselect_b32 s2, s3, s4
	s_mov_b32 s3, 0
	s_wait_kmcnt 0x0
	s_cmp_ge_u32 s2, s18
	s_cbranch_scc1 .LBB76_25
; %bb.1:
	s_clause 0x4
	s_load_b128 s[24:27], s[0:1], 0x20
	s_load_b64 s[8:9], s[0:1], 0x0
	s_load_b32 s11, s[0:1], 0x10
	s_load_b32 s17, s[0:1], 0x30
	s_load_b128 s[4:7], s[0:1], 0x38
	s_wait_kmcnt 0x0
	s_lshl_b64 s[14:15], s[26:27], 2
	s_cmp_eq_f32 s9, 0
	s_add_nc_u64 s[14:15], s[24:25], s[14:15]
	s_cselect_b32 s19, -1, 0
	s_cmp_neq_f32 s9, 0
	s_cselect_b32 s12, -1, 0
	s_cmp_neq_f32 s11, 1.0
	s_cselect_b32 s13, -1, 0
	s_bfe_u32 s16, ttmp6, 0x4000c
	s_and_b32 s21, ttmp6, 15
	s_add_co_i32 s16, s16, 1
	s_or_b32 s20, s12, s13
	s_mul_i32 s16, ttmp9, s16
	s_add_nc_u64 s[12:13], s[0:1], 0x50
	s_add_co_i32 s21, s21, s16
	s_cmp_eq_u32 s10, 0
	s_mov_b32 s16, s8
	s_cselect_b32 s22, ttmp9, s21
	s_cmp_neq_f32 s11, 0
	v_lshl_or_b32 v2, s22, 6, v0
	s_mov_b32 s10, s9
	s_cselect_b32 s1, -1, 0
	s_cmp_eq_f32 s11, 0
	s_delay_alu instid0(VALU_DEP_1)
	v_mul_lo_u32 v0, s17, v2
	v_ashrrev_i32_e32 v3, 31, v2
	v_cmp_gt_i32_e64 s0, s8, v2
	s_cselect_b32 s21, -1, 0
	s_ashr_i32 s17, s8, 31
	s_cmp_gt_i32 s22, -1
	s_cselect_b32 s8, -1, 0
	s_add_co_i32 s22, s22, 1
	v_ashrrev_i32_e32 v1, 31, v0
	v_lshl_add_u64 v[2:3], v[2:3], 2, s[6:7]
	s_lshl_b64 s[6:7], s[16:17], 2
	s_branch .LBB76_4
.LBB76_2:                               ;   in Loop: Header=BB76_4 Depth=1
	s_wait_xcnt 0x0
	s_or_b32 exec_lo, exec_lo, s24
.LBB76_3:                               ;   in Loop: Header=BB76_4 Depth=1
	s_add_co_i32 s2, s2, 0x10000
	s_delay_alu instid0(SALU_CYCLE_1)
	s_cmp_lt_u32 s2, s18
	s_cbranch_scc0 .LBB76_25
.LBB76_4:                               ; =>This Loop Header: Depth=1
                                        ;     Child Loop BB76_16 Depth 2
	s_and_not1_b32 vcc_lo, exec_lo, s20
	s_cbranch_vccnz .LBB76_3
; %bb.5:                                ;   in Loop: Header=BB76_4 Depth=1
	s_mul_u64 s[16:17], s[4:5], s[2:3]
	s_and_not1_b32 vcc_lo, exec_lo, s19
	s_lshl_b64 s[16:17], s[16:17], 2
	s_delay_alu instid0(SALU_CYCLE_1)
	s_add_nc_u64 s[16:17], s[14:15], s[16:17]
	s_cbranch_vccnz .LBB76_9
; %bb.6:                                ;   in Loop: Header=BB76_4 Depth=1
	s_mov_b32 s24, 0
	s_mov_b32 s23, 0
                                        ; implicit-def: $vgpr5
	s_and_saveexec_b32 s25, s0
	s_cbranch_execz .LBB76_10
; %bb.7:                                ;   in Loop: Header=BB76_4 Depth=1
	s_and_not1_b32 vcc_lo, exec_lo, s1
	s_cbranch_vccnz .LBB76_11
; %bb.8:                                ;   in Loop: Header=BB76_4 Depth=1
	v_lshl_add_u64 v[4:5], v[0:1], 2, s[16:17]
	global_load_b32 v4, v[4:5], off
	s_wait_loadcnt 0x0
	s_wait_xcnt 0x0
	v_mul_f32_e32 v5, s11, v4
	s_branch .LBB76_12
.LBB76_9:                               ;   in Loop: Header=BB76_4 Depth=1
	s_mov_b32 s23, 0
                                        ; implicit-def: $vgpr5
	s_cbranch_execnz .LBB76_13
	s_branch .LBB76_23
.LBB76_10:                              ;   in Loop: Header=BB76_4 Depth=1
	s_or_b32 exec_lo, exec_lo, s25
	s_delay_alu instid0(SALU_CYCLE_1)
	s_and_b32 vcc_lo, exec_lo, s24
	s_cbranch_vccnz .LBB76_13
	s_branch .LBB76_23
.LBB76_11:                              ;   in Loop: Header=BB76_4 Depth=1
	v_mov_b32_e32 v5, 0
.LBB76_12:                              ;   in Loop: Header=BB76_4 Depth=1
	s_mov_b32 s23, exec_lo
	s_or_b32 exec_lo, exec_lo, s25
	s_delay_alu instid0(SALU_CYCLE_1)
	s_and_b32 vcc_lo, exec_lo, s24
	s_cbranch_vccz .LBB76_23
.LBB76_13:                              ;   in Loop: Header=BB76_4 Depth=1
                                        ; implicit-def: $vgpr5
	s_and_saveexec_b32 s24, s0
	s_cbranch_execz .LBB76_22
; %bb.14:                               ;   in Loop: Header=BB76_4 Depth=1
	v_mov_b32_e32 v4, 0
	s_and_not1_b32 vcc_lo, exec_lo, s8
	s_cbranch_vccnz .LBB76_17
; %bb.15:                               ;   in Loop: Header=BB76_4 Depth=1
	s_load_b32 s26, s[12:13], 0x0
	s_mov_b32 s27, s3
	v_mov_b32_e32 v4, 0
	s_mov_b32 s25, s22
	s_wait_kmcnt 0x0
	s_mul_u64 s[26:27], s[6:7], s[26:27]
	s_delay_alu instid0(SALU_CYCLE_1) | instskip(NEXT) | instid1(VALU_DEP_1)
	v_mad_nc_u64_u32 v[6:7], s26, s2, v[2:3]
	v_mad_u32 v7, s27, s2, v7
.LBB76_16:                              ;   Parent Loop BB76_4 Depth=1
                                        ; =>  This Inner Loop Header: Depth=2
	global_load_b32 v5, v[6:7], off
	s_wait_xcnt 0x0
	v_add_nc_u64_e32 v[6:7], s[6:7], v[6:7]
	s_add_co_i32 s25, s25, -1
	s_delay_alu instid0(SALU_CYCLE_1)
	s_cmp_eq_u32 s25, 0
	s_wait_loadcnt 0x0
	v_add_f32_e32 v4, v4, v5
	s_cbranch_scc0 .LBB76_16
.LBB76_17:                              ;   in Loop: Header=BB76_4 Depth=1
	s_and_b32 vcc_lo, exec_lo, s21
	s_mov_b32 s25, -1
                                        ; implicit-def: $vgpr5
	s_cbranch_vccz .LBB76_19
; %bb.18:                               ;   in Loop: Header=BB76_4 Depth=1
	v_mul_f32_e32 v5, s9, v4
	s_mov_b32 s25, 0
.LBB76_19:                              ;   in Loop: Header=BB76_4 Depth=1
	s_delay_alu instid0(SALU_CYCLE_1)
	s_and_not1_b32 vcc_lo, exec_lo, s25
	s_cbranch_vccnz .LBB76_21
; %bb.20:                               ;   in Loop: Header=BB76_4 Depth=1
	v_lshl_add_u64 v[6:7], v[0:1], 2, s[16:17]
	global_load_b32 v5, v[6:7], off
	s_wait_xcnt 0x0
	v_mov_b64_e32 v[6:7], s[10:11]
	s_wait_loadcnt 0x0
	s_delay_alu instid0(VALU_DEP_1) | instskip(NEXT) | instid1(VALU_DEP_1)
	v_pk_mul_f32 v[4:5], v[6:7], v[4:5]
	v_add_f32_e32 v5, v4, v5
.LBB76_21:                              ;   in Loop: Header=BB76_4 Depth=1
	s_or_b32 s23, s23, exec_lo
.LBB76_22:                              ;   in Loop: Header=BB76_4 Depth=1
	s_or_b32 exec_lo, exec_lo, s24
.LBB76_23:                              ;   in Loop: Header=BB76_4 Depth=1
	s_and_saveexec_b32 s24, s23
	s_cbranch_execz .LBB76_2
; %bb.24:                               ;   in Loop: Header=BB76_4 Depth=1
	v_lshl_add_u64 v[6:7], v[0:1], 2, s[16:17]
	global_store_b32 v[6:7], v5, off
	s_branch .LBB76_2
.LBB76_25:
	s_endpgm
	.section	.rodata,"a",@progbits
	.p2align	6, 0x0
	.amdhsa_kernel _ZL36rocblas_hemvn_kernel_upper_block_sumILi64EifPffEviT1_lS1_lT2_lT0_lPT3_i
		.amdhsa_group_segment_fixed_size 0
		.amdhsa_private_segment_fixed_size 0
		.amdhsa_kernarg_size 336
		.amdhsa_user_sgpr_count 2
		.amdhsa_user_sgpr_dispatch_ptr 0
		.amdhsa_user_sgpr_queue_ptr 0
		.amdhsa_user_sgpr_kernarg_segment_ptr 1
		.amdhsa_user_sgpr_dispatch_id 0
		.amdhsa_user_sgpr_kernarg_preload_length 0
		.amdhsa_user_sgpr_kernarg_preload_offset 0
		.amdhsa_user_sgpr_private_segment_size 0
		.amdhsa_wavefront_size32 1
		.amdhsa_uses_dynamic_stack 0
		.amdhsa_enable_private_segment 0
		.amdhsa_system_sgpr_workgroup_id_x 1
		.amdhsa_system_sgpr_workgroup_id_y 0
		.amdhsa_system_sgpr_workgroup_id_z 1
		.amdhsa_system_sgpr_workgroup_info 0
		.amdhsa_system_vgpr_workitem_id 0
		.amdhsa_next_free_vgpr 8
		.amdhsa_next_free_sgpr 28
		.amdhsa_named_barrier_count 0
		.amdhsa_reserve_vcc 1
		.amdhsa_float_round_mode_32 0
		.amdhsa_float_round_mode_16_64 0
		.amdhsa_float_denorm_mode_32 3
		.amdhsa_float_denorm_mode_16_64 3
		.amdhsa_fp16_overflow 0
		.amdhsa_memory_ordered 1
		.amdhsa_forward_progress 1
		.amdhsa_inst_pref_size 6
		.amdhsa_round_robin_scheduling 0
		.amdhsa_exception_fp_ieee_invalid_op 0
		.amdhsa_exception_fp_denorm_src 0
		.amdhsa_exception_fp_ieee_div_zero 0
		.amdhsa_exception_fp_ieee_overflow 0
		.amdhsa_exception_fp_ieee_underflow 0
		.amdhsa_exception_fp_ieee_inexact 0
		.amdhsa_exception_int_div_zero 0
	.end_amdhsa_kernel
	.section	.text._ZL36rocblas_hemvn_kernel_upper_block_sumILi64EifPffEviT1_lS1_lT2_lT0_lPT3_i,"axG",@progbits,_ZL36rocblas_hemvn_kernel_upper_block_sumILi64EifPffEviT1_lS1_lT2_lT0_lPT3_i,comdat
.Lfunc_end76:
	.size	_ZL36rocblas_hemvn_kernel_upper_block_sumILi64EifPffEviT1_lS1_lT2_lT0_lPT3_i, .Lfunc_end76-_ZL36rocblas_hemvn_kernel_upper_block_sumILi64EifPffEviT1_lS1_lT2_lT0_lPT3_i
                                        ; -- End function
	.set _ZL36rocblas_hemvn_kernel_upper_block_sumILi64EifPffEviT1_lS1_lT2_lT0_lPT3_i.num_vgpr, 8
	.set _ZL36rocblas_hemvn_kernel_upper_block_sumILi64EifPffEviT1_lS1_lT2_lT0_lPT3_i.num_agpr, 0
	.set _ZL36rocblas_hemvn_kernel_upper_block_sumILi64EifPffEviT1_lS1_lT2_lT0_lPT3_i.numbered_sgpr, 28
	.set _ZL36rocblas_hemvn_kernel_upper_block_sumILi64EifPffEviT1_lS1_lT2_lT0_lPT3_i.num_named_barrier, 0
	.set _ZL36rocblas_hemvn_kernel_upper_block_sumILi64EifPffEviT1_lS1_lT2_lT0_lPT3_i.private_seg_size, 0
	.set _ZL36rocblas_hemvn_kernel_upper_block_sumILi64EifPffEviT1_lS1_lT2_lT0_lPT3_i.uses_vcc, 1
	.set _ZL36rocblas_hemvn_kernel_upper_block_sumILi64EifPffEviT1_lS1_lT2_lT0_lPT3_i.uses_flat_scratch, 0
	.set _ZL36rocblas_hemvn_kernel_upper_block_sumILi64EifPffEviT1_lS1_lT2_lT0_lPT3_i.has_dyn_sized_stack, 0
	.set _ZL36rocblas_hemvn_kernel_upper_block_sumILi64EifPffEviT1_lS1_lT2_lT0_lPT3_i.has_recursion, 0
	.set _ZL36rocblas_hemvn_kernel_upper_block_sumILi64EifPffEviT1_lS1_lT2_lT0_lPT3_i.has_indirect_call, 0
	.section	.AMDGPU.csdata,"",@progbits
; Kernel info:
; codeLenInByte = 696
; TotalNumSgprs: 30
; NumVgprs: 8
; ScratchSize: 0
; MemoryBound: 0
; FloatMode: 240
; IeeeMode: 1
; LDSByteSize: 0 bytes/workgroup (compile time only)
; SGPRBlocks: 0
; VGPRBlocks: 0
; NumSGPRsForWavesPerEU: 30
; NumVGPRsForWavesPerEU: 8
; NamedBarCnt: 0
; Occupancy: 16
; WaveLimiterHint : 0
; COMPUTE_PGM_RSRC2:SCRATCH_EN: 0
; COMPUTE_PGM_RSRC2:USER_SGPR: 2
; COMPUTE_PGM_RSRC2:TRAP_HANDLER: 0
; COMPUTE_PGM_RSRC2:TGID_X_EN: 1
; COMPUTE_PGM_RSRC2:TGID_Y_EN: 0
; COMPUTE_PGM_RSRC2:TGID_Z_EN: 1
; COMPUTE_PGM_RSRC2:TIDIG_COMP_CNT: 0
	.section	.text._ZL50rocblas_symv_kernel_lower_double_buffered_diagonalILi32ELi4E24rocblas_internal_val_ptrIfEPKfPfEvbiT1_lT2_lllS6_lllS5_lT3_llli,"axG",@progbits,_ZL50rocblas_symv_kernel_lower_double_buffered_diagonalILi32ELi4E24rocblas_internal_val_ptrIfEPKfPfEvbiT1_lT2_lllS6_lllS5_lT3_llli,comdat
	.globl	_ZL50rocblas_symv_kernel_lower_double_buffered_diagonalILi32ELi4E24rocblas_internal_val_ptrIfEPKfPfEvbiT1_lT2_lllS6_lllS5_lT3_llli ; -- Begin function _ZL50rocblas_symv_kernel_lower_double_buffered_diagonalILi32ELi4E24rocblas_internal_val_ptrIfEPKfPfEvbiT1_lT2_lllS6_lllS5_lT3_llli
	.p2align	8
	.type	_ZL50rocblas_symv_kernel_lower_double_buffered_diagonalILi32ELi4E24rocblas_internal_val_ptrIfEPKfPfEvbiT1_lT2_lllS6_lllS5_lT3_llli,@function
_ZL50rocblas_symv_kernel_lower_double_buffered_diagonalILi32ELi4E24rocblas_internal_val_ptrIfEPKfPfEvbiT1_lT2_lllS6_lllS5_lT3_llli: ; @_ZL50rocblas_symv_kernel_lower_double_buffered_diagonalILi32ELi4E24rocblas_internal_val_ptrIfEPKfPfEvbiT1_lT2_lllS6_lllS5_lT3_llli
; %bb.0:
	s_load_b64 s[4:5], s[0:1], 0x4
	s_clause 0x1
	s_load_b512 s[8:23], s[2:3], 0x8
	s_load_b256 s[24:31], s[2:3], 0x48
	v_bfe_u32 v6, v0, 10, 10
	s_load_b32 s33, s[2:3], 0x88
	v_and_b32_e32 v8, 0x3ff, v0
	v_bfe_u32 v0, v0, 20, 10
	s_wait_xcnt 0x0
	s_bfe_u32 s1, ttmp6, 0x40014
	s_lshr_b32 s0, ttmp7, 16
	s_add_co_i32 s1, s1, 1
	s_wait_kmcnt 0x0
	v_mul_u32_u24_e32 v1, s5, v6
	s_lshr_b32 s4, s4, 16
	v_dual_mov_b32 v2, s8 :: v_dual_mov_b32 v3, s9
	s_mul_i32 s4, s4, s5
	s_bfe_u32 s5, ttmp6, 0x40008
	v_mad_u32_u24 v1, s4, v8, v1
	s_mul_i32 s4, s0, s1
	s_getreg_b32 s1, hwreg(HW_REG_IB_STS2, 6, 4)
	s_add_co_i32 s5, s5, s4
	s_cmp_eq_u32 s1, 0
	v_add_lshl_u32 v0, v1, v0, 3
	v_dual_mov_b32 v4, s28 :: v_dual_mov_b32 v5, s29
	s_cselect_b32 s28, s0, s5
	s_mov_b32 s29, 0
	s_delay_alu instid0(VALU_DEP_2)
	v_add_nc_u32_e32 v1, 0x80, v0
	s_cmp_ge_u32 s28, s33
	ds_store_2addr_stride64_b64 v1, v[4:5], v[2:3] offset0:10 offset1:12
	s_cbranch_scc1 .LBB77_42
; %bb.1:
	s_load_b32 s37, s[2:3], 0x0
	v_dual_mov_b32 v9, 0 :: v_dual_add_nc_u32 v10, 0x1880, v0
	s_clause 0x2
	s_load_b64 s[8:9], s[2:3], 0x68
	s_load_b128 s[4:7], s[2:3], 0x70
	s_load_b64 s[34:35], s[2:3], 0x80
	v_add_nc_u32_e32 v11, 0x1480, v0
	v_dual_mov_b32 v7, v9 :: v_dual_lshlrev_b32 v22, 2, v8
	v_mul_u64_e32 v[4:5], s[24:25], v[8:9]
	s_wait_xcnt 0x0
	s_add_nc_u64 s[2:3], s[16:17], 1
	v_sub_co_u32 v13, s36, v8, v6
	v_mul_u64_e32 v[2:3], s[16:17], v[6:7]
	v_dual_lshlrev_b32 v7, 7, v6 :: v_dual_mov_b32 v23, v9
	v_lshl_add_u32 v16, v6, 5, v8
	v_cmp_eq_u32_e64 s0, 0, v6
	v_add_nc_u32_e32 v12, 0x1400, v22
	s_delay_alu instid0(VALU_DEP_4)
	v_add_nc_u32_e32 v17, 0x200, v7
	v_add_nc_u32_e32 v18, 0x400, v7
	v_lshlrev_b32_e32 v6, 2, v6
	s_wait_kmcnt 0x0
	s_bitcmp1_b32 s37, 0
	v_add_nc_u32_e32 v19, 0x600, v7
	s_cselect_b32 s37, -1, 0
	s_lshl_b64 s[38:39], s[22:23], 2
	s_bfe_u32 s22, ttmp6, 0x4000c
	s_and_b32 s23, ttmp6, 15
	s_add_co_i32 s22, s22, 1
	s_lshl_b64 s[14:15], s[14:15], 2
	s_mul_i32 s40, ttmp9, s22
	s_lshl_b64 s[4:5], s[4:5], 2
	s_xor_b32 s22, s37, -1
	s_add_co_i32 s23, s23, s40
	s_cmp_eq_u32 s1, 0
	v_mul_u64_e32 v[0:1], s[6:7], v[8:9]
	s_cselect_b32 s1, ttmp9, s23
	s_add_nc_u64 s[12:13], s[12:13], s[14:15]
	s_lshl_b32 s40, s1, 5
	s_add_nc_u64 s[14:15], s[20:21], s[38:39]
	s_ashr_i32 s41, s40, 31
	s_add_nc_u64 s[20:21], s[8:9], s[4:5]
	s_mul_u64 s[2:3], s[2:3], s[40:41]
	s_mul_u64 s[4:5], s[24:25], s[40:41]
	s_lshl_b64 s[2:3], s[2:3], 2
	v_sub_nc_u32_e32 v9, 0, v13
	s_add_nc_u64 s[2:3], s[12:13], s[2:3]
	s_lshl_b64 s[4:5], s[4:5], 2
	v_lshl_add_u64 v[14:15], v[2:3], 2, s[2:3]
	s_add_nc_u64 s[4:5], s[14:15], s[4:5]
	v_max_i32_e32 v13, v13, v9
	v_lshl_add_u64 v[2:3], v[4:5], 2, s[4:5]
	s_mul_u64 s[2:3], s[6:7], s[40:41]
	v_add_nc_u64_e32 v[4:5], v[14:15], v[22:23]
	v_mul_u32_u24_e32 v14, 0x7c, v8
	s_lshl_b64 s[12:13], s[2:3], 2
	v_cmp_lt_u32_e64 s1, 15, v8
	v_add_nc_u32_e32 v8, v22, v7
	v_cmp_gt_u32_e64 s2, 4, v13
	v_add3_u32 v9, v22, v14, v6
	v_cmp_gt_u32_e64 s3, 8, v13
	v_cmp_gt_u32_e64 s4, 12, v13
	;; [unrolled: 1-line block ×6, first 2 shown]
	v_add_nc_u32_e32 v20, 0xe00, v7
	v_add_nc_u32_e32 v13, 0x1400, v6
	v_add_nc_u32_e32 v6, 0x800, v7
	v_add_nc_u32_e32 v21, 0xa00, v7
	v_add_nc_u32_e32 v7, 0xc00, v7
	v_lshl_add_u32 v14, v16, 2, 0x1000
	v_or_b32_e32 v15, 0x1000, v22
	v_dual_add_nc_u32 v16, v22, v17 :: v_dual_add_nc_u32 v17, v22, v18
	v_dual_add_nc_u32 v18, v22, v19 :: v_dual_add_nc_u32 v19, v22, v20
	;; [unrolled: 1-line block ×3, first 2 shown]
	v_add_nc_u32_e32 v22, v22, v7
	s_add_nc_u64 s[12:13], s[20:21], s[12:13]
	s_lshl_b64 s[14:15], s[16:17], 2
	s_lshl_b64 s[16:17], s[16:17], 4
	s_branch .LBB77_4
.LBB77_2:                               ;   in Loop: Header=BB77_4 Depth=1
	s_wait_xcnt 0x0
	s_or_b32 exec_lo, exec_lo, s23
.LBB77_3:                               ;   in Loop: Header=BB77_4 Depth=1
	s_delay_alu instid0(SALU_CYCLE_1) | instskip(SKIP_1) | instid1(SALU_CYCLE_1)
	s_or_b32 exec_lo, exec_lo, s9
	s_add_co_i32 s28, s28, 0x10000
	s_cmp_lt_u32 s28, s33
	s_cbranch_scc0 .LBB77_42
.LBB77_4:                               ; =>This Inner Loop Header: Depth=1
	s_and_b32 vcc_lo, exec_lo, s22
	s_mov_b32 s9, -1
                                        ; implicit-def: $vgpr23
	s_cbranch_vccnz .LBB77_32
; %bb.5:                                ;   in Loop: Header=BB77_4 Depth=1
	s_and_not1_b32 vcc_lo, exec_lo, s9
	s_cbranch_vccz .LBB77_33
.LBB77_6:                               ;   in Loop: Header=BB77_4 Depth=1
	s_and_b32 vcc_lo, exec_lo, s22
	s_mov_b32 s9, -1
                                        ; implicit-def: $vgpr24
	s_cbranch_vccnz .LBB77_34
.LBB77_7:                               ;   in Loop: Header=BB77_4 Depth=1
	s_and_not1_b32 vcc_lo, exec_lo, s9
	s_cbranch_vccnz .LBB77_9
.LBB77_8:                               ;   in Loop: Header=BB77_4 Depth=1
	s_wait_loadcnt_dscnt 0x0
	ds_load_b32 v24, v11
.LBB77_9:                               ;   in Loop: Header=BB77_4 Depth=1
	s_wait_loadcnt_dscnt 0x0
	v_cmp_neq_f32_e32 vcc_lo, 0, v23
	v_cmp_neq_f32_e64 s9, 1.0, v24
	s_or_b32 s20, vcc_lo, s9
	s_wait_xcnt 0x0
	s_and_saveexec_b32 s9, s20
	s_cbranch_execz .LBB77_3
; %bb.10:                               ;   in Loop: Header=BB77_4 Depth=1
	s_mul_u64 s[20:21], s[34:35], s[28:29]
	s_mov_b32 s23, exec_lo
	s_lshl_b64 s[20:21], s[20:21], 2
	s_delay_alu instid0(SALU_CYCLE_1)
	s_add_nc_u64 s[20:21], s[12:13], s[20:21]
	v_cmpx_eq_f32_e32 0, v23
	s_xor_b32 s23, exec_lo, s23
	s_cbranch_execz .LBB77_14
; %bb.11:                               ;   in Loop: Header=BB77_4 Depth=1
	s_and_saveexec_b32 s24, s0
	s_cbranch_execz .LBB77_13
; %bb.12:                               ;   in Loop: Header=BB77_4 Depth=1
	v_lshl_add_u64 v[6:7], v[0:1], 2, s[20:21]
	global_load_b32 v23, v[6:7], off
	s_wait_loadcnt 0x0
	v_mul_f32_e32 v23, v24, v23
	global_store_b32 v[6:7], v23, off
.LBB77_13:                              ;   in Loop: Header=BB77_4 Depth=1
	s_wait_xcnt 0x0
	s_or_b32 exec_lo, exec_lo, s24
                                        ; implicit-def: $vgpr23
                                        ; implicit-def: $vgpr24
.LBB77_14:                              ;   in Loop: Header=BB77_4 Depth=1
	s_and_not1_saveexec_b32 s23, s23
	s_cbranch_execz .LBB77_3
; %bb.15:                               ;   in Loop: Header=BB77_4 Depth=1
	v_mov_b32_e32 v25, 0
	s_and_saveexec_b32 s23, s0
	s_cbranch_execz .LBB77_19
; %bb.16:                               ;   in Loop: Header=BB77_4 Depth=1
	v_mov_b32_e32 v25, 0
	s_mov_b32 s24, exec_lo
	v_cmpx_neq_f32_e32 0, v24
	s_cbranch_execz .LBB77_18
; %bb.17:                               ;   in Loop: Header=BB77_4 Depth=1
	v_lshl_add_u64 v[6:7], v[0:1], 2, s[20:21]
	global_load_b32 v6, v[6:7], off
	s_wait_loadcnt 0x0
	v_mul_f32_e32 v25, v24, v6
.LBB77_18:                              ;   in Loop: Header=BB77_4 Depth=1
	s_wait_xcnt 0x0
	s_or_b32 exec_lo, exec_lo, s24
	s_mul_u64 s[24:25], s[26:27], s[28:29]
	s_delay_alu instid0(SALU_CYCLE_1)
	v_lshl_add_u64 v[6:7], s[24:25], 2, v[2:3]
	global_load_b32 v6, v[6:7], off
	s_wait_loadcnt 0x0
	ds_store_b32 v12, v6
.LBB77_19:                              ;   in Loop: Header=BB77_4 Depth=1
	s_wait_xcnt 0x0
	s_or_b32 exec_lo, exec_lo, s23
	s_mul_u64 s[24:25], s[18:19], s[28:29]
	s_delay_alu instid0(SALU_CYCLE_1) | instskip(NEXT) | instid1(VALU_DEP_1)
	v_lshl_add_u64 v[26:27], s[24:25], 2, v[4:5]
	v_lshl_add_u64 v[28:29], s[14:15], 2, v[26:27]
	s_delay_alu instid0(VALU_DEP_1) | instskip(NEXT) | instid1(VALU_DEP_1)
	v_add_nc_u64_e32 v[30:31], s[16:17], v[28:29]
	v_add_nc_u64_e32 v[6:7], s[16:17], v[30:31]
	s_clause 0x3
	global_load_b32 v32, v[26:27], off
	global_load_b32 v33, v[28:29], off
	;; [unrolled: 1-line block ×4, first 2 shown]
	s_wait_loadcnt 0x3
	ds_store_b32 v8, v32
	s_wait_loadcnt 0x2
	ds_store_b32 v16, v33
	;; [unrolled: 2-line block ×4, first 2 shown]
	s_wait_xcnt 0x0
	s_and_saveexec_b32 s23, s1
	s_cbranch_execz .LBB77_21
; %bb.20:                               ;   in Loop: Header=BB77_4 Depth=1
	v_add_nc_u64_e32 v[6:7], s[16:17], v[6:7]
	s_delay_alu instid0(VALU_DEP_1) | instskip(NEXT) | instid1(VALU_DEP_1)
	v_lshl_add_u64 v[26:27], s[14:15], 2, v[6:7]
	v_add_nc_u64_e32 v[28:29], s[16:17], v[26:27]
	s_delay_alu instid0(VALU_DEP_1)
	v_add_nc_u64_e32 v[30:31], s[16:17], v[28:29]
	s_clause 0x1
	global_load_b32 v32, v[6:7], off
	global_load_b32 v33, v[26:27], off
	global_load_b32 v34, v[28:29], off
	global_load_b32 v35, v[30:31], off
	s_wait_loadcnt 0x2
	ds_store_2addr_stride64_b32 v8, v32, v33 offset0:8 offset1:10
	s_wait_loadcnt 0x0
	ds_store_2addr_stride64_b32 v8, v34, v35 offset0:12 offset1:14
.LBB77_21:                              ;   in Loop: Header=BB77_4 Depth=1
	s_wait_xcnt 0x0
	s_or_b32 exec_lo, exec_lo, s23
	s_wait_storecnt_dscnt 0x0
	s_barrier_signal -1
	s_barrier_wait -1
	s_and_saveexec_b32 s23, s36
	s_cbranch_execnz .LBB77_35
; %bb.22:                               ;   in Loop: Header=BB77_4 Depth=1
	s_or_b32 exec_lo, exec_lo, s23
	s_and_saveexec_b32 s23, s2
	s_cbranch_execnz .LBB77_36
.LBB77_23:                              ;   in Loop: Header=BB77_4 Depth=1
	s_or_b32 exec_lo, exec_lo, s23
	s_and_saveexec_b32 s23, s3
	s_cbranch_execnz .LBB77_37
.LBB77_24:                              ;   in Loop: Header=BB77_4 Depth=1
	s_or_b32 exec_lo, exec_lo, s23
	s_and_saveexec_b32 s23, s4
	s_cbranch_execnz .LBB77_38
.LBB77_25:                              ;   in Loop: Header=BB77_4 Depth=1
	s_or_b32 exec_lo, exec_lo, s23
	s_and_saveexec_b32 s23, s5
	s_cbranch_execnz .LBB77_39
.LBB77_26:                              ;   in Loop: Header=BB77_4 Depth=1
	s_or_b32 exec_lo, exec_lo, s23
	s_and_saveexec_b32 s23, s6
	s_cbranch_execnz .LBB77_40
.LBB77_27:                              ;   in Loop: Header=BB77_4 Depth=1
	s_or_b32 exec_lo, exec_lo, s23
	s_and_saveexec_b32 s23, s7
	s_cbranch_execnz .LBB77_41
.LBB77_28:                              ;   in Loop: Header=BB77_4 Depth=1
	s_or_b32 exec_lo, exec_lo, s23
	s_and_saveexec_b32 s23, s8
	s_cbranch_execz .LBB77_30
.LBB77_29:                              ;   in Loop: Header=BB77_4 Depth=1
	ds_load_b32 v6, v9 offset:112
	s_wait_dscnt 0x0
	ds_store_b32 v19, v6
.LBB77_30:                              ;   in Loop: Header=BB77_4 Depth=1
	s_or_b32 exec_lo, exec_lo, s23
	s_wait_dscnt 0x0
	s_barrier_signal -1
	s_barrier_wait -1
	ds_load_b32 v6, v8
	ds_load_b32 v7, v16
	ds_load_2addr_b32 v[26:27], v13 offset1:4
	ds_load_2addr_b32 v[28:29], v13 offset0:8 offset1:12
	ds_load_b32 v30, v17
	ds_load_b32 v31, v18
	ds_load_2addr_b32 v[32:33], v13 offset0:16 offset1:20
	ds_load_b32 v34, v20
	ds_load_b32 v35, v21
	ds_load_b32 v36, v22
	ds_load_b32 v37, v19
	s_wait_dscnt 0x8
	v_pk_mul_f32 v[6:7], v[6:7], v[26:27]
	ds_load_2addr_b32 v[26:27], v13 offset0:24 offset1:28
	s_wait_dscnt 0x6
	v_pk_mul_f32 v[28:29], v[30:31], v[28:29]
	v_add_f32_e32 v6, 0, v6
	s_delay_alu instid0(VALU_DEP_1) | instskip(NEXT) | instid1(VALU_DEP_1)
	v_add_f32_e32 v6, v6, v7
	v_add_f32_e32 v28, v6, v28
	s_wait_dscnt 0x3
	v_pk_mul_f32 v[6:7], v[34:35], v[32:33]
	s_delay_alu instid0(VALU_DEP_2) | instskip(SKIP_2) | instid1(VALU_DEP_2)
	v_add_f32_e32 v28, v28, v29
	s_wait_dscnt 0x0
	v_pk_mul_f32 v[26:27], v[36:37], v[26:27]
	v_add_f32_e32 v6, v28, v6
	s_delay_alu instid0(VALU_DEP_1) | instskip(NEXT) | instid1(VALU_DEP_1)
	v_add_f32_e32 v6, v6, v7
	v_add_f32_e32 v6, v6, v26
	s_delay_alu instid0(VALU_DEP_1)
	v_add_f32_e32 v6, v6, v27
	ds_store_b32 v14, v6
	s_wait_dscnt 0x0
	s_barrier_signal -1
	s_barrier_wait -1
	s_and_saveexec_b32 s23, s0
	s_cbranch_execz .LBB77_2
; %bb.31:                               ;   in Loop: Header=BB77_4 Depth=1
	ds_load_2addr_b32 v[6:7], v15 offset1:32
	ds_load_2addr_b32 v[26:27], v15 offset0:64 offset1:96
	v_cmp_neq_f32_e32 vcc_lo, 0, v24
	s_wait_dscnt 0x1
	v_add_f32_e32 v6, 0, v6
	s_delay_alu instid0(VALU_DEP_1) | instskip(SKIP_1) | instid1(VALU_DEP_1)
	v_add_f32_e32 v6, v6, v7
	s_wait_dscnt 0x0
	v_add_f32_e32 v6, v6, v26
	s_delay_alu instid0(VALU_DEP_1) | instskip(NEXT) | instid1(VALU_DEP_1)
	v_add_f32_e32 v6, v6, v27
	v_dual_mul_f32 v7, v23, v6 :: v_dual_fmac_f32 v25, v23, v6
	s_delay_alu instid0(VALU_DEP_1)
	v_cndmask_b32_e32 v23, v7, v25, vcc_lo
	v_lshl_add_u64 v[6:7], v[0:1], 2, s[20:21]
	global_store_b32 v[6:7], v23, off
	s_branch .LBB77_2
.LBB77_32:                              ;   in Loop: Header=BB77_4 Depth=1
	ds_load_b64 v[6:7], v10
	s_mul_u64 s[20:21], s[10:11], s[28:29]
	s_wait_dscnt 0x0
	v_lshl_add_u64 v[6:7], s[20:21], 2, v[6:7]
	flat_load_b32 v23, v[6:7]
	s_cbranch_execnz .LBB77_6
.LBB77_33:                              ;   in Loop: Header=BB77_4 Depth=1
	s_wait_loadcnt_dscnt 0x0
	ds_load_b32 v23, v10
	s_and_b32 vcc_lo, exec_lo, s22
	s_mov_b32 s9, -1
                                        ; implicit-def: $vgpr24
	s_cbranch_vccz .LBB77_7
.LBB77_34:                              ;   in Loop: Header=BB77_4 Depth=1
	s_wait_xcnt 0x0
	ds_load_b64 v[6:7], v11
	s_mul_u64 s[20:21], s[30:31], s[28:29]
	s_wait_dscnt 0x0
	v_lshl_add_u64 v[6:7], s[20:21], 2, v[6:7]
	flat_load_b32 v24, v[6:7]
	s_cbranch_execz .LBB77_8
	s_branch .LBB77_9
.LBB77_35:                              ;   in Loop: Header=BB77_4 Depth=1
	ds_load_b32 v6, v9
	s_wait_dscnt 0x0
	ds_store_b32 v8, v6
	s_or_b32 exec_lo, exec_lo, s23
	s_and_saveexec_b32 s23, s2
	s_cbranch_execz .LBB77_23
.LBB77_36:                              ;   in Loop: Header=BB77_4 Depth=1
	ds_load_b32 v6, v9 offset:16
	s_wait_dscnt 0x0
	ds_store_b32 v16, v6
	s_or_b32 exec_lo, exec_lo, s23
	s_and_saveexec_b32 s23, s3
	s_cbranch_execz .LBB77_24
.LBB77_37:                              ;   in Loop: Header=BB77_4 Depth=1
	ds_load_b32 v6, v9 offset:32
	s_wait_dscnt 0x0
	ds_store_b32 v17, v6
	s_or_b32 exec_lo, exec_lo, s23
	s_and_saveexec_b32 s23, s4
	s_cbranch_execz .LBB77_25
.LBB77_38:                              ;   in Loop: Header=BB77_4 Depth=1
	ds_load_b32 v6, v9 offset:48
	s_wait_dscnt 0x0
	ds_store_b32 v18, v6
	s_or_b32 exec_lo, exec_lo, s23
	s_and_saveexec_b32 s23, s5
	s_cbranch_execz .LBB77_26
.LBB77_39:                              ;   in Loop: Header=BB77_4 Depth=1
	ds_load_b32 v6, v9 offset:64
	s_wait_dscnt 0x0
	ds_store_b32 v8, v6 offset:2048
	s_or_b32 exec_lo, exec_lo, s23
	s_and_saveexec_b32 s23, s6
	s_cbranch_execz .LBB77_27
.LBB77_40:                              ;   in Loop: Header=BB77_4 Depth=1
	ds_load_b32 v6, v9 offset:80
	s_wait_dscnt 0x0
	ds_store_b32 v8, v6 offset:2560
	s_or_b32 exec_lo, exec_lo, s23
	s_and_saveexec_b32 s23, s7
	s_cbranch_execz .LBB77_28
.LBB77_41:                              ;   in Loop: Header=BB77_4 Depth=1
	ds_load_b32 v6, v9 offset:96
	s_wait_dscnt 0x0
	ds_store_b32 v8, v6 offset:3072
	s_or_b32 exec_lo, exec_lo, s23
	s_and_saveexec_b32 s23, s8
	s_cbranch_execnz .LBB77_29
	s_branch .LBB77_30
.LBB77_42:
	s_endpgm
	.section	.rodata,"a",@progbits
	.p2align	6, 0x0
	.amdhsa_kernel _ZL50rocblas_symv_kernel_lower_double_buffered_diagonalILi32ELi4E24rocblas_internal_val_ptrIfEPKfPfEvbiT1_lT2_lllS6_lllS5_lT3_llli
		.amdhsa_group_segment_fixed_size 7296
		.amdhsa_private_segment_fixed_size 0
		.amdhsa_kernarg_size 140
		.amdhsa_user_sgpr_count 4
		.amdhsa_user_sgpr_dispatch_ptr 1
		.amdhsa_user_sgpr_queue_ptr 0
		.amdhsa_user_sgpr_kernarg_segment_ptr 1
		.amdhsa_user_sgpr_dispatch_id 0
		.amdhsa_user_sgpr_kernarg_preload_length 0
		.amdhsa_user_sgpr_kernarg_preload_offset 0
		.amdhsa_user_sgpr_private_segment_size 0
		.amdhsa_wavefront_size32 1
		.amdhsa_uses_dynamic_stack 0
		.amdhsa_enable_private_segment 0
		.amdhsa_system_sgpr_workgroup_id_x 1
		.amdhsa_system_sgpr_workgroup_id_y 0
		.amdhsa_system_sgpr_workgroup_id_z 1
		.amdhsa_system_sgpr_workgroup_info 0
		.amdhsa_system_vgpr_workitem_id 2
		.amdhsa_next_free_vgpr 38
		.amdhsa_next_free_sgpr 42
		.amdhsa_named_barrier_count 0
		.amdhsa_reserve_vcc 1
		.amdhsa_float_round_mode_32 0
		.amdhsa_float_round_mode_16_64 0
		.amdhsa_float_denorm_mode_32 3
		.amdhsa_float_denorm_mode_16_64 3
		.amdhsa_fp16_overflow 0
		.amdhsa_memory_ordered 1
		.amdhsa_forward_progress 1
		.amdhsa_inst_pref_size 17
		.amdhsa_round_robin_scheduling 0
		.amdhsa_exception_fp_ieee_invalid_op 0
		.amdhsa_exception_fp_denorm_src 0
		.amdhsa_exception_fp_ieee_div_zero 0
		.amdhsa_exception_fp_ieee_overflow 0
		.amdhsa_exception_fp_ieee_underflow 0
		.amdhsa_exception_fp_ieee_inexact 0
		.amdhsa_exception_int_div_zero 0
	.end_amdhsa_kernel
	.section	.text._ZL50rocblas_symv_kernel_lower_double_buffered_diagonalILi32ELi4E24rocblas_internal_val_ptrIfEPKfPfEvbiT1_lT2_lllS6_lllS5_lT3_llli,"axG",@progbits,_ZL50rocblas_symv_kernel_lower_double_buffered_diagonalILi32ELi4E24rocblas_internal_val_ptrIfEPKfPfEvbiT1_lT2_lllS6_lllS5_lT3_llli,comdat
.Lfunc_end77:
	.size	_ZL50rocblas_symv_kernel_lower_double_buffered_diagonalILi32ELi4E24rocblas_internal_val_ptrIfEPKfPfEvbiT1_lT2_lllS6_lllS5_lT3_llli, .Lfunc_end77-_ZL50rocblas_symv_kernel_lower_double_buffered_diagonalILi32ELi4E24rocblas_internal_val_ptrIfEPKfPfEvbiT1_lT2_lllS6_lllS5_lT3_llli
                                        ; -- End function
	.set _ZL50rocblas_symv_kernel_lower_double_buffered_diagonalILi32ELi4E24rocblas_internal_val_ptrIfEPKfPfEvbiT1_lT2_lllS6_lllS5_lT3_llli.num_vgpr, 38
	.set _ZL50rocblas_symv_kernel_lower_double_buffered_diagonalILi32ELi4E24rocblas_internal_val_ptrIfEPKfPfEvbiT1_lT2_lllS6_lllS5_lT3_llli.num_agpr, 0
	.set _ZL50rocblas_symv_kernel_lower_double_buffered_diagonalILi32ELi4E24rocblas_internal_val_ptrIfEPKfPfEvbiT1_lT2_lllS6_lllS5_lT3_llli.numbered_sgpr, 42
	.set _ZL50rocblas_symv_kernel_lower_double_buffered_diagonalILi32ELi4E24rocblas_internal_val_ptrIfEPKfPfEvbiT1_lT2_lllS6_lllS5_lT3_llli.num_named_barrier, 0
	.set _ZL50rocblas_symv_kernel_lower_double_buffered_diagonalILi32ELi4E24rocblas_internal_val_ptrIfEPKfPfEvbiT1_lT2_lllS6_lllS5_lT3_llli.private_seg_size, 0
	.set _ZL50rocblas_symv_kernel_lower_double_buffered_diagonalILi32ELi4E24rocblas_internal_val_ptrIfEPKfPfEvbiT1_lT2_lllS6_lllS5_lT3_llli.uses_vcc, 1
	.set _ZL50rocblas_symv_kernel_lower_double_buffered_diagonalILi32ELi4E24rocblas_internal_val_ptrIfEPKfPfEvbiT1_lT2_lllS6_lllS5_lT3_llli.uses_flat_scratch, 0
	.set _ZL50rocblas_symv_kernel_lower_double_buffered_diagonalILi32ELi4E24rocblas_internal_val_ptrIfEPKfPfEvbiT1_lT2_lllS6_lllS5_lT3_llli.has_dyn_sized_stack, 0
	.set _ZL50rocblas_symv_kernel_lower_double_buffered_diagonalILi32ELi4E24rocblas_internal_val_ptrIfEPKfPfEvbiT1_lT2_lllS6_lllS5_lT3_llli.has_recursion, 0
	.set _ZL50rocblas_symv_kernel_lower_double_buffered_diagonalILi32ELi4E24rocblas_internal_val_ptrIfEPKfPfEvbiT1_lT2_lllS6_lllS5_lT3_llli.has_indirect_call, 0
	.section	.AMDGPU.csdata,"",@progbits
; Kernel info:
; codeLenInByte = 2072
; TotalNumSgprs: 44
; NumVgprs: 38
; ScratchSize: 0
; MemoryBound: 0
; FloatMode: 240
; IeeeMode: 1
; LDSByteSize: 7296 bytes/workgroup (compile time only)
; SGPRBlocks: 0
; VGPRBlocks: 2
; NumSGPRsForWavesPerEU: 44
; NumVGPRsForWavesPerEU: 38
; NamedBarCnt: 0
; Occupancy: 16
; WaveLimiterHint : 1
; COMPUTE_PGM_RSRC2:SCRATCH_EN: 0
; COMPUTE_PGM_RSRC2:USER_SGPR: 4
; COMPUTE_PGM_RSRC2:TRAP_HANDLER: 0
; COMPUTE_PGM_RSRC2:TGID_X_EN: 1
; COMPUTE_PGM_RSRC2:TGID_Y_EN: 0
; COMPUTE_PGM_RSRC2:TGID_Z_EN: 1
; COMPUTE_PGM_RSRC2:TIDIG_COMP_CNT: 2
	.section	.text._ZL54rocblas_symv_kernel_lower_double_buffered_non_diagonalILi32ELi4ELi4E24rocblas_internal_val_ptrIfEPKfPfEvbiT2_lT3_lllS6_lllT4_llli,"axG",@progbits,_ZL54rocblas_symv_kernel_lower_double_buffered_non_diagonalILi32ELi4ELi4E24rocblas_internal_val_ptrIfEPKfPfEvbiT2_lT3_lllS6_lllT4_llli,comdat
	.globl	_ZL54rocblas_symv_kernel_lower_double_buffered_non_diagonalILi32ELi4ELi4E24rocblas_internal_val_ptrIfEPKfPfEvbiT2_lT3_lllS6_lllT4_llli ; -- Begin function _ZL54rocblas_symv_kernel_lower_double_buffered_non_diagonalILi32ELi4ELi4E24rocblas_internal_val_ptrIfEPKfPfEvbiT2_lT3_lllS6_lllT4_llli
	.p2align	8
	.type	_ZL54rocblas_symv_kernel_lower_double_buffered_non_diagonalILi32ELi4ELi4E24rocblas_internal_val_ptrIfEPKfPfEvbiT2_lT3_lllS6_lllT4_llli,@function
_ZL54rocblas_symv_kernel_lower_double_buffered_non_diagonalILi32ELi4ELi4E24rocblas_internal_val_ptrIfEPKfPfEvbiT2_lT3_lllS6_lllT4_llli: ; @_ZL54rocblas_symv_kernel_lower_double_buffered_non_diagonalILi32ELi4ELi4E24rocblas_internal_val_ptrIfEPKfPfEvbiT2_lT3_lllS6_lllT4_llli
; %bb.0:
	s_load_b64 s[20:21], s[0:1], 0x4
	s_load_b512 s[4:19], s[2:3], 0x8
	v_bfe_u32 v1, v0, 10, 10
	s_wait_xcnt 0x0
	s_load_b32 s1, s[2:3], 0x78
	v_and_b32_e32 v2, 0x3ff, v0
	s_bfe_u32 s0, ttmp6, 0x40014
	s_lshr_b32 s22, ttmp7, 16
	s_add_co_i32 s0, s0, 1
	v_bfe_u32 v0, v0, 20, 10
	s_wait_kmcnt 0x0
	v_mul_u32_u24_e32 v3, s21, v1
	s_lshr_b32 s20, s20, 16
	v_dual_mov_b32 v4, s4 :: v_dual_mov_b32 v5, s5
	s_mul_i32 s20, s20, s21
	s_mul_i32 s4, s22, s0
	v_mad_u32_u24 v3, s20, v2, v3
	s_bfe_u32 s5, ttmp6, 0x40008
	s_getreg_b32 s0, hwreg(HW_REG_IB_STS2, 6, 4)
	s_add_co_i32 s5, s5, s4
	s_cmp_eq_u32 s0, 0
	v_add_lshl_u32 v0, v3, v0, 3
	s_cselect_b32 s4, s22, s5
	s_mov_b32 s5, 0
	s_cmp_ge_u32 s4, s1
	ds_store_b64 v0, v[4:5] offset:3200
	s_cbranch_scc1 .LBB78_29
; %bb.1:
	s_clause 0x2
	s_load_b32 s33, s[2:3], 0x0
	s_load_b128 s[20:23], s[2:3], 0x60
	s_load_b64 s[30:31], s[2:3], 0x58
	v_lshl_add_u32 v10, v1, 5, v2
	v_dual_mov_b32 v3, 0 :: v_dual_add_nc_u32 v44, 0xc80, v0
	s_clause 0x1
	s_load_b128 s[24:27], s[2:3], 0x48
	s_load_b64 s[28:29], s[2:3], 0x70
	v_dual_add_nc_u32 v17, 5, v2 :: v_dual_add_nc_u32 v18, 6, v2
	v_dual_mov_b32 v5, v3 :: v_dual_lshrrev_b32 v0, 4, v10
	v_and_b32_e32 v4, 15, v2
	v_and_b32_e32 v16, 0xfff0, v10
	s_delay_alu instid0(VALU_DEP_3) | instskip(SKIP_1) | instid1(VALU_DEP_4)
	v_dual_lshlrev_b32 v11, 2, v0 :: v_dual_bitop2_b32 v17, 15, v17 bitop3:0x40
	v_dual_lshlrev_b32 v48, 7, v0 :: v_dual_lshlrev_b32 v14, 2, v2
	v_dual_lshlrev_b32 v28, 2, v4 :: v_dual_bitop2_b32 v12, 16, v4 bitop3:0x54
	v_mov_b32_e32 v13, v3
	s_wait_kmcnt 0x0
	s_bitcmp1_b32 s33, 0
	v_mad_nc_u64_u32 v[6:7], s12, v11, v[4:5]
	s_cselect_b32 s33, -1, 0
	s_bfe_u32 s36, ttmp6, 0x40010
	s_bfe_u32 s40, ttmp6, 0x4000c
	s_and_b32 s38, ttmp7, 0xffff
	s_add_co_i32 s36, s36, 1
	s_add_co_i32 s40, s40, 1
	s_bfe_u32 s37, ttmp6, 0x40004
	s_and_b32 s39, ttmp6, 15
	s_mul_i32 s36, s38, s36
	s_mul_i32 s40, ttmp9, s40
	s_lshl_b64 s[44:45], s[10:11], 2
	s_lshl_b64 s[10:11], s[18:19], 2
	;; [unrolled: 1-line block ×3, first 2 shown]
	s_xor_b32 s33, s33, -1
	s_add_co_i32 s41, s37, s36
	s_add_co_i32 s39, s39, s40
	s_cmp_eq_u32 s0, 0
	v_cmp_eq_u32_e64 s0, 0, v1
	v_add_nc_u32_e32 v1, 1, v2
	v_mad_u32 v7, s13, v11, v7
	v_mul_u64_e32 v[10:11], s[24:25], v[4:5]
	v_dual_add_nc_u32 v4, 2, v2 :: v_dual_lshlrev_b32 v5, 6, v2
	s_delay_alu instid0(VALU_DEP_4) | instskip(NEXT) | instid1(VALU_DEP_2)
	v_dual_lshlrev_b32 v30, 8, v0 :: v_dual_bitop2_b32 v1, 15, v1 bitop3:0x40
	v_dual_add_nc_u32 v19, 7, v2 :: v_dual_bitop2_b32 v4, 15, v4 bitop3:0x40
	s_delay_alu instid0(VALU_DEP_3) | instskip(NEXT) | instid1(VALU_DEP_3)
	v_or_b32_e32 v50, v5, v28
	v_lshl_or_b32 v51, v1, 2, v5
	v_add_nc_u32_e32 v1, 3, v2
	v_and_b32_e32 v18, 15, v18
	v_lshl_or_b32 v52, v4, 2, v5
	v_add_nc_u32_e32 v4, 4, v2
	s_cselect_b32 s62, ttmp9, s39
	v_and_b32_e32 v1, 15, v1
	v_mul_u64_e32 v[8:9], s[24:25], v[2:3]
	v_add_nc_u32_e32 v45, 0xc00, v14
	v_and_b32_e32 v4, 15, v4
	v_mul_u64_e32 v[12:13], s[24:25], v[12:13]
	v_lshl_or_b32 v53, v1, 2, v5
	v_dual_add_nc_u32 v19, 11, v2 :: v_dual_bitop2_b32 v1, 15, v19 bitop3:0x40
	v_add_nc_u32_e32 v49, 0x800, v14
	v_mul_u64_e32 v[14:15], s[22:23], v[2:3]
	v_mov_b32_e32 v29, v3
	s_delay_alu instid0(VALU_DEP_4)
	v_lshl_or_b32 v57, v1, 2, v5
	v_mov_b32_e32 v1, v3
	v_lshl_or_b32 v56, v18, 2, v5
	v_add_nc_u32_e32 v18, 10, v2
	v_lshl_or_b32 v55, v17, 2, v5
	v_add_nc_u32_e32 v17, 9, v2
	v_lshl_or_b32 v54, v4, 2, v5
	v_bitop3_b32 v4, v2, 8, 15 bitop3:0x6c
	v_mul_u64_e32 v[0:1], s[12:13], v[0:1]
	s_cselect_b32 s63, s38, s41
	s_lshl_b32 s40, s62, 5
	s_add_nc_u64 s[34:35], s[12:13], 1
	v_lshl_or_b32 v58, v4, 2, v5
	v_and_b32_e32 v4, 15, v17
	v_and_b32_e32 v17, 15, v18
	v_dual_add_nc_u32 v20, 13, v2 :: v_dual_bitop2_b32 v18, 15, v19 bitop3:0x40
	v_add_nc_u32_e32 v19, 12, v2
	s_delay_alu instid0(VALU_DEP_4) | instskip(NEXT) | instid1(VALU_DEP_4)
	v_lshl_or_b32 v59, v4, 2, v5
	v_lshl_or_b32 v60, v17, 2, v5
	v_add_nc_u32_e32 v17, 14, v2
	s_ashr_i32 s41, s40, 31
	v_and_b32_e32 v4, 15, v19
	s_add_nc_u64 s[38:39], s[30:31], s[20:21]
	s_mul_u64 s[20:21], s[34:35], s[40:41]
	s_mul_u64 s[30:31], s[24:25], s[40:41]
	;; [unrolled: 1-line block ×3, first 2 shown]
	v_dual_add_nc_u32 v66, v28, v30 :: v_dual_bitop2_b32 v24, 12, v16 bitop3:0x54
	v_or_b32_e32 v25, 4, v16
	v_and_b32_e32 v3, 15, v17
	s_lshl_b64 s[40:41], s[40:41], 2
	v_or_b32_e32 v23, 8, v16
	v_add_nc_u32_e32 v47, 0xc00, v16
	v_lshl_or_b32 v61, v18, 2, v5
	v_dual_add_nc_u32 v2, -1, v2 :: v_dual_bitop2_b32 v22, 15, v20 bitop3:0x40
	v_mad_nc_u64_u32 v[18:19], s12, v24, v[28:29]
	v_mad_nc_u64_u32 v[20:21], s12, v25, v[28:29]
	v_lshl_or_b32 v64, v3, 2, v5
	v_mov_b32_e32 v3, s41
	v_mad_nc_u64_u32 v[16:17], s12, v23, v[28:29]
	v_and_b32_e32 v2, 15, v2
	v_lshl_or_b32 v63, v22, 2, v5
	s_add_nc_u64 s[36:37], s[8:9], s[44:45]
	s_lshl_b64 s[46:47], s[20:21], 2
	v_or_b32_e32 v46, 0x800, v28
	v_lshl_or_b32 v65, v2, 2, v5
	v_or_b32_e32 v2, s40, v28
	v_mad_u32 v19, s13, v24, v19
	v_mad_u32 v21, s13, v25, v21
	v_lshl_or_b32 v62, v4, 2, v5
	v_mad_u32 v17, s13, v23, v17
	v_add_nc_u64_e32 v[22:23], 0x80, v[2:3]
	v_add_nc_u64_e32 v[24:25], 0xc0, v[2:3]
	v_lshl_add_u64 v[26:27], v[0:1], 4, v[28:29]
	s_add_nc_u64 s[10:11], s[16:17], s[10:11]
	s_add_nc_u64 s[20:21], s[36:37], s[46:47]
	s_lshl_b64 s[30:31], s[30:31], 2
	s_lshl_b64 s[34:35], s[34:35], 2
	s_add_nc_u64 s[46:47], s[46:47], s[44:45]
	s_add_nc_u64 s[2:3], s[2:3], 0x80
	s_not_b32 s64, s62
	s_lshl_b32 s65, s63, 5
	s_add_nc_u64 s[30:31], s[10:11], s[30:31]
	s_add_nc_u64 s[34:35], s[38:39], s[34:35]
	s_lshl_b64 s[36:37], s[24:25], 7
	s_lshl_b64 s[38:39], s[22:23], 7
	;; [unrolled: 1-line block ×4, first 2 shown]
	s_add_nc_u64 s[8:9], s[8:9], s[46:47]
	s_lshl_b64 s[46:47], s[14:15], 2
	s_branch .LBB78_3
.LBB78_2:                               ;   in Loop: Header=BB78_3 Depth=1
	s_wait_xcnt 0x0
	s_or_b32 exec_lo, exec_lo, s66
	s_add_co_i32 s4, s4, 0x10000
	s_delay_alu instid0(SALU_CYCLE_1)
	s_cmp_lt_u32 s4, s1
	s_cbranch_scc0 .LBB78_29
.LBB78_3:                               ; =>This Loop Header: Depth=1
                                        ;     Child Loop BB78_17 Depth 2
	s_and_b32 vcc_lo, exec_lo, s33
	s_mov_b32 s48, -1
                                        ; implicit-def: $vgpr67
	s_cbranch_vccz .LBB78_5
; %bb.4:                                ;   in Loop: Header=BB78_3 Depth=1
	ds_load_b64 v[0:1], v44
	s_mul_u64 s[48:49], s[6:7], s[4:5]
	s_wait_dscnt 0x0
	v_lshl_add_u64 v[0:1], s[48:49], 2, v[0:1]
	s_mov_b32 s48, 0
	flat_load_b32 v67, v[0:1]
.LBB78_5:                               ;   in Loop: Header=BB78_3 Depth=1
	s_and_not1_b32 vcc_lo, exec_lo, s48
	s_cbranch_vccnz .LBB78_7
; %bb.6:                                ;   in Loop: Header=BB78_3 Depth=1
	s_wait_loadcnt_dscnt 0x0
	ds_load_b32 v67, v44
.LBB78_7:                               ;   in Loop: Header=BB78_3 Depth=1
	s_mov_b32 s66, exec_lo
	s_wait_loadcnt_dscnt 0x0
	s_wait_xcnt 0x0
	v_cmpx_neq_f32_e32 0, v67
	s_cbranch_execz .LBB78_2
; %bb.8:                                ;   in Loop: Header=BB78_3 Depth=1
	s_load_b64 s[48:49], s[2:3], 0x0
	s_wait_kmcnt 0x0
	s_add_co_i32 s50, s48, -1
	s_delay_alu instid0(SALU_CYCLE_1)
	s_cmp_eq_u32 s62, s50
	s_cbranch_scc1 .LBB78_2
; %bb.9:                                ;   in Loop: Header=BB78_3 Depth=1
	s_mul_u64 s[54:55], s[26:27], s[4:5]
	s_delay_alu instid0(SALU_CYCLE_1) | instskip(NEXT) | instid1(SALU_CYCLE_1)
	s_lshl_b64 s[50:51], s[54:55], 2
	s_add_nc_u64 s[52:53], s[30:31], s[50:51]
	s_and_saveexec_b32 s50, s0
	s_cbranch_execz .LBB78_11
; %bb.10:                               ;   in Loop: Header=BB78_3 Depth=1
	v_lshl_add_u64 v[0:1], v[8:9], 2, s[52:53]
	global_load_b32 v0, v[0:1], off
	s_wait_loadcnt 0x0
	ds_store_b32 v45, v0
.LBB78_11:                              ;   in Loop: Header=BB78_3 Depth=1
	s_wait_xcnt 0x0
	s_or_b32 exec_lo, exec_lo, s50
	s_cvt_f32_u32 s50, s49
	s_sub_co_i32 s51, 0, s49
	s_add_co_i32 s48, s48, s64
	s_delay_alu instid0(SALU_CYCLE_1) | instskip(SKIP_1) | instid1(TRANS32_DEP_1)
	v_rcp_iflag_f32_e32 v0, s50
	v_nop
	v_readfirstlane_b32 s50, v0
	s_mul_f32 s50, s50, 0x4f7ffffe
	s_delay_alu instid0(SALU_CYCLE_3) | instskip(NEXT) | instid1(SALU_CYCLE_3)
	s_cvt_u32_f32 s50, s50
	s_mul_i32 s51, s51, s50
	s_delay_alu instid0(SALU_CYCLE_1) | instskip(NEXT) | instid1(SALU_CYCLE_1)
	s_mul_hi_u32 s51, s50, s51
	s_add_co_i32 s50, s50, s51
	s_delay_alu instid0(SALU_CYCLE_1) | instskip(NEXT) | instid1(SALU_CYCLE_1)
	s_mul_hi_u32 s50, s48, s50
	s_mul_i32 s51, s50, s49
	s_add_co_i32 s56, s50, 1
	s_sub_co_i32 s51, s48, s51
	s_delay_alu instid0(SALU_CYCLE_1)
	s_sub_co_i32 s57, s51, s49
	s_cmp_ge_u32 s51, s49
	s_cselect_b32 s50, s56, s50
	s_cselect_b32 s51, s57, s51
	s_add_co_i32 s56, s50, 1
	s_cmp_ge_u32 s51, s49
	s_cselect_b32 s50, s56, s50
	s_add_co_i32 s51, s49, -1
	s_mov_b32 s67, s50
	s_cmp_lg_u32 s63, s51
	s_cbranch_scc1 .LBB78_13
; %bb.12:                               ;   in Loop: Header=BB78_3 Depth=1
	s_mul_i32 s49, s50, s49
	s_delay_alu instid0(SALU_CYCLE_1) | instskip(NEXT) | instid1(SALU_CYCLE_1)
	s_sub_co_i32 s48, s48, s49
	s_add_co_i32 s67, s48, s50
.LBB78_13:                              ;   in Loop: Header=BB78_3 Depth=1
	s_delay_alu instid0(SALU_CYCLE_1)
	s_cmp_eq_u32 s67, 0
	s_cbranch_scc1 .LBB78_2
; %bb.14:                               ;   in Loop: Header=BB78_3 Depth=1
	s_mul_u64 s[48:49], s[28:29], s[4:5]
	s_wait_dscnt 0x0
	s_lshl_b64 s[48:49], s[48:49], 2
	s_cmp_lt_i32 s67, 1
	s_add_nc_u64 s[48:49], s[34:35], s[48:49]
	s_barrier_signal -1
	s_barrier_wait -1
	s_cbranch_scc1 .LBB78_21
; %bb.15:                               ;   in Loop: Header=BB78_3 Depth=1
	s_mul_u64 s[58:59], s[14:15], s[4:5]
	s_mul_i32 s56, s65, s50
	s_lshl_b64 s[50:51], s[58:59], 2
	s_ashr_i32 s57, s56, 31
	s_add_nc_u64 s[50:51], s[20:21], s[50:51]
	s_lshl_b64 s[58:59], s[56:57], 2
	s_mul_u64 s[60:61], s[22:23], s[56:57]
	s_add_nc_u64 s[50:51], s[50:51], s[58:59]
	s_lshl_b64 s[60:61], s[60:61], 2
	v_lshl_add_u64 v[0:1], v[6:7], 2, s[50:51]
	s_add_nc_u64 s[60:61], s[48:49], s[60:61]
	s_cmp_eq_u32 s67, 1
	s_delay_alu instid0(VALU_DEP_1) | instskip(NEXT) | instid1(VALU_DEP_1)
	v_lshl_add_u64 v[2:3], s[12:13], 2, v[0:1]
	v_add_nc_u64_e32 v[4:5], s[42:43], v[2:3]
	s_delay_alu instid0(VALU_DEP_1)
	v_add_nc_u64_e32 v[28:29], s[42:43], v[4:5]
	s_clause 0x3
	global_load_b32 v0, v[0:1], off offset:128
	global_load_b32 v1, v[2:3], off offset:128
	;; [unrolled: 1-line block ×4, first 2 shown]
	s_cbranch_scc1 .LBB78_22
; %bb.16:                               ;   in Loop: Header=BB78_3 Depth=1
	s_wait_xcnt 0x2
	v_add_nc_u64_e32 v[2:3], s[58:59], v[22:23]
	s_wait_xcnt 0x1
	v_add_nc_u64_e32 v[4:5], s[58:59], v[24:25]
	s_add_nc_u64 s[50:51], s[18:19], s[54:55]
	s_wait_xcnt 0x0
	v_mov_b32_e32 v28, 0
	s_lshl_b64 s[50:51], s[50:51], 2
	v_mov_b64_e32 v[32:33], s[60:61]
	s_mul_u64 s[54:55], s[44:45], s[4:5]
	v_mul_u64_e32 v[36:37], s[24:25], v[2:3]
	v_mul_u64_e32 v[38:39], s[24:25], v[4:5]
	s_add_nc_u64 s[52:53], s[16:17], s[50:51]
	s_add_nc_u64 s[50:51], s[40:41], s[58:59]
	s_mul_u64 s[68:69], s[46:47], s[4:5]
	v_dual_mov_b32 v29, v28 :: v_dual_mov_b32 v30, v28
	v_mov_b32_e32 v31, v28
	s_add_nc_u64 s[56:57], s[10:11], s[54:55]
	s_mul_u64 s[54:55], s[24:25], s[50:51]
	s_add_nc_u64 s[50:51], s[68:69], s[58:59]
	s_add_co_i32 s58, s67, -1
	s_add_nc_u64 s[50:51], s[8:9], s[50:51]
.LBB78_17:                              ;   Parent Loop BB78_3 Depth=1
                                        ; =>  This Inner Loop Header: Depth=2
	s_delay_alu instid0(SALU_CYCLE_1)
	v_add_nc_u64_e32 v[72:73], s[50:51], v[26:27]
	v_add_nc_u64_e32 v[2:3], s[50:51], v[20:21]
	;; [unrolled: 1-line block ×6, first 2 shown]
	s_clause 0x3
	global_load_b32 v40, v[72:73], off offset:192
	global_load_b32 v70, v[74:75], off offset:192
	;; [unrolled: 1-line block ×4, first 2 shown]
	s_clause 0x1
	global_load_b32 v42, v[4:5], off
	global_load_b32 v4, v[78:79], off
	s_clause 0x3
	global_load_b32 v5, v[76:77], off offset:256
	global_load_b32 v69, v[74:75], off offset:256
	;; [unrolled: 1-line block ×4, first 2 shown]
	s_wait_xcnt 0x0
	ds_load_b128 v[72:75], v47
	s_wait_loadcnt_dscnt 0x0
	s_barrier_signal -1
	s_barrier_wait -1
	v_fma_f32 v43, v0, v72, 0
	s_delay_alu instid0(VALU_DEP_1) | instskip(SKIP_1) | instid1(VALU_DEP_2)
	v_fmac_f32_e32 v43, v1, v73
	v_fma_f32 v71, v40, v72, 0
	v_dual_fmac_f32 v43, v68, v74 :: v_dual_add_nc_u32 v72, v46, v48
	s_delay_alu instid0(VALU_DEP_2) | instskip(NEXT) | instid1(VALU_DEP_2)
	v_fmac_f32_e32 v71, v41, v73
	v_fmac_f32_e32 v43, v34, v75
	s_delay_alu instid0(VALU_DEP_2) | instskip(NEXT) | instid1(VALU_DEP_1)
	v_fmac_f32_e32 v71, v70, v74
	v_fmac_f32_e32 v71, v35, v75
	ds_store_2addr_b32 v72, v43, v71 offset1:16
	s_wait_dscnt 0x0
	s_barrier_signal -1
	s_barrier_wait -1
	s_and_saveexec_b32 s59, s0
	s_cbranch_execz .LBB78_19
; %bb.18:                               ;   in Loop: Header=BB78_17 Depth=2
	ds_load_2addr_b32 v[72:73], v49 offset1:32
	ds_load_2addr_b32 v[74:75], v49 offset0:64 offset1:96
	ds_load_2addr_b32 v[76:77], v49 offset0:128 offset1:160
	v_add_nc_u64_e32 v[32:33], s[38:39], v[32:33]
	s_wait_dscnt 0x2
	v_add_f32_e32 v43, 0, v72
	s_delay_alu instid0(VALU_DEP_1) | instskip(SKIP_3) | instid1(VALU_DEP_1)
	v_add_f32_e32 v43, v43, v73
	ds_load_2addr_b32 v[72:73], v49 offset0:192 offset1:224
	s_wait_dscnt 0x2
	v_add_f32_e32 v43, v43, v74
	v_add_f32_e32 v43, v43, v75
	s_wait_dscnt 0x1
	s_delay_alu instid0(VALU_DEP_1) | instskip(NEXT) | instid1(VALU_DEP_1)
	v_add_f32_e32 v43, v43, v76
	v_add_f32_e32 v43, v43, v77
	s_wait_dscnt 0x0
	s_delay_alu instid0(VALU_DEP_1) | instskip(NEXT) | instid1(VALU_DEP_1)
	v_add_f32_e32 v43, v43, v72
	v_add_f32_e32 v43, v43, v73
	v_lshl_add_u64 v[72:73], v[14:15], 2, v[32:33]
	s_delay_alu instid0(VALU_DEP_2)
	v_mul_f32_e32 v43, v67, v43
	global_atomic_add_f32 v[72:73], v43, off scope:SCOPE_DEV
.LBB78_19:                              ;   in Loop: Header=BB78_17 Depth=2
	s_wait_xcnt 0x0
	s_or_b32 exec_lo, exec_lo, s59
	v_dual_mov_b32 v43, v4 :: v_dual_mul_f32 v72, v42, v68
	s_add_co_i32 s58, s58, -1
	s_add_nc_u64 s[52:53], s[52:53], s[36:37]
	s_add_nc_u64 s[56:57], s[56:57], s[36:37]
	s_delay_alu instid0(VALU_DEP_1) | instskip(SKIP_3) | instid1(VALU_DEP_2)
	v_pk_mul_f32 v[34:35], v[42:43], v[34:35]
	v_pk_fma_f32 v[0:1], v[42:43], v[0:1], v[28:29] op_sel_hi:[0,1,1]
	s_cmp_eq_u32 s58, 0
	s_add_nc_u64 s[50:51], s[50:51], 0x80
	v_dual_mov_b32 v73, v34 :: v_dual_mul_f32 v34, v4, v70
	s_delay_alu instid0(VALU_DEP_2) | instskip(NEXT) | instid1(VALU_DEP_2)
	v_pk_fma_f32 v[28:29], v[4:5], v[40:41], v[0:1] op_sel_hi:[0,1,1]
	v_pk_add_f32 v[30:31], v[30:31], v[72:73]
	s_delay_alu instid0(VALU_DEP_1)
	v_pk_add_f32 v[30:31], v[30:31], v[34:35]
	s_cbranch_scc1 .LBB78_23
; %bb.20:                               ;   in Loop: Header=BB78_17 Depth=2
	v_dual_mov_b32 v0, v2 :: v_dual_mov_b32 v1, v3
	v_dual_mov_b32 v68, v69 :: v_dual_mov_b32 v34, v5
	s_branch .LBB78_17
.LBB78_21:                              ;   in Loop: Header=BB78_3 Depth=1
	v_mov_b32_e32 v1, 0
	s_delay_alu instid0(VALU_DEP_1)
	v_dual_mov_b32 v0, v1 :: v_dual_mov_b32 v3, v1
	v_mov_b32_e32 v2, v1
	s_branch .LBB78_27
.LBB78_22:                              ;   in Loop: Header=BB78_3 Depth=1
	s_wait_loadcnt 0x0
	s_wait_xcnt 0x2
	v_dual_mov_b32 v31, 0 :: v_dual_mov_b32 v3, v34
	v_mov_b64_e32 v[32:33], s[60:61]
	s_mul_u64 s[54:55], s[24:25], s[56:57]
	s_delay_alu instid0(SALU_CYCLE_1)
	s_lshl_b64 s[54:55], s[54:55], 2
	s_wait_xcnt 0x1
	v_mov_b64_e32 v[4:5], v[2:3]
	v_mov_b64_e32 v[2:3], v[0:1]
	s_wait_xcnt 0x0
	v_dual_mov_b32 v30, v31 :: v_dual_mov_b32 v29, v31
	v_mov_b32_e32 v28, v31
	s_branch .LBB78_24
.LBB78_23:                              ;   in Loop: Header=BB78_3 Depth=1
	v_dual_mov_b32 v34, v5 :: v_dual_mov_b32 v68, v69
	v_dual_mov_b32 v1, v3 :: v_dual_mov_b32 v0, v2
.LBB78_24:                              ;   in Loop: Header=BB78_3 Depth=1
	v_lshl_add_u64 v[36:37], v[6:7], 2, s[50:51]
	s_add_nc_u64 s[52:53], s[52:53], s[54:55]
	s_delay_alu instid0(SALU_CYCLE_1) | instskip(NEXT) | instid1(SALU_CYCLE_1)
	s_add_nc_u64 s[50:51], s[52:53], s[36:37]
	v_lshl_add_u64 v[42:43], v[12:13], 2, s[50:51]
	s_delay_alu instid0(VALU_DEP_2)
	v_lshl_add_u64 v[38:39], s[12:13], 2, v[36:37]
	global_load_b32 v36, v[36:37], off offset:192
	v_add_nc_u64_e32 v[40:41], s[42:43], v[38:39]
	global_load_b32 v37, v[38:39], off offset:192
	s_wait_xcnt 0x0
	v_add_nc_u64_e32 v[38:39], s[42:43], v[40:41]
	s_clause 0x1
	global_load_b32 v40, v[40:41], off offset:192
	global_load_b32 v35, v[38:39], off offset:192
	s_wait_xcnt 0x0
	v_lshl_add_u64 v[38:39], v[10:11], 2, s[50:51]
	s_clause 0x1
	global_load_b32 v38, v[38:39], off
	global_load_b32 v4, v[42:43], off
	ds_load_b128 v[70:73], v47
	s_wait_storecnt 0x0
	s_wait_loadcnt_dscnt 0x0
	s_barrier_signal -1
	s_barrier_wait -1
	v_fma_f32 v0, v0, v70, 0
	s_wait_xcnt 0x1
	v_fma_f32 v39, v36, v70, 0
	s_delay_alu instid0(VALU_DEP_1) | instskip(NEXT) | instid1(VALU_DEP_1)
	v_fmac_f32_e32 v39, v37, v71
	v_dual_fmac_f32 v0, v1, v71 :: v_dual_fmac_f32 v39, v40, v72
	s_delay_alu instid0(VALU_DEP_1) | instskip(NEXT) | instid1(VALU_DEP_2)
	v_fmac_f32_e32 v0, v68, v72
	v_dual_add_nc_u32 v1, v46, v48 :: v_dual_fmac_f32 v39, v35, v73
	s_delay_alu instid0(VALU_DEP_2)
	v_fmac_f32_e32 v0, v34, v73
	ds_store_2addr_b32 v1, v0, v39 offset1:16
	s_wait_dscnt 0x0
	s_barrier_signal -1
	s_barrier_wait -1
	s_wait_xcnt 0x0
	s_and_saveexec_b32 s50, s0
	s_cbranch_execz .LBB78_26
; %bb.25:                               ;   in Loop: Header=BB78_3 Depth=1
	ds_load_2addr_b32 v[0:1], v49 offset1:32
	ds_load_2addr_b32 v[42:43], v49 offset0:64 offset1:96
	ds_load_2addr_b32 v[70:71], v49 offset0:128 offset1:160
	v_add_nc_u64_e32 v[32:33], s[38:39], v[32:33]
	s_wait_dscnt 0x2
	v_add_f32_e32 v0, 0, v0
	s_delay_alu instid0(VALU_DEP_1) | instskip(SKIP_1) | instid1(VALU_DEP_1)
	v_add_f32_e32 v0, v0, v1
	s_wait_dscnt 0x1
	v_add_f32_e32 v34, v0, v42
	ds_load_2addr_b32 v[0:1], v49 offset0:192 offset1:224
	v_add_f32_e32 v34, v34, v43
	s_wait_dscnt 0x1
	s_delay_alu instid0(VALU_DEP_1) | instskip(NEXT) | instid1(VALU_DEP_1)
	v_add_f32_e32 v34, v34, v70
	v_add_f32_e32 v34, v34, v71
	s_wait_dscnt 0x0
	s_delay_alu instid0(VALU_DEP_1) | instskip(NEXT) | instid1(VALU_DEP_1)
	v_add_f32_e32 v0, v34, v0
	v_add_f32_e32 v34, v0, v1
	v_lshl_add_u64 v[0:1], v[14:15], 2, v[32:33]
	s_delay_alu instid0(VALU_DEP_2)
	v_mul_f32_e32 v32, v67, v34
	global_atomic_add_f32 v[0:1], v32, off scope:SCOPE_DEV
.LBB78_26:                              ;   in Loop: Header=BB78_3 Depth=1
	s_wait_xcnt 0x0
	s_or_b32 exec_lo, exec_lo, s50
	v_dual_mov_b32 v39, v4 :: v_dual_mov_b32 v34, v5
	s_delay_alu instid0(VALU_DEP_1) | instskip(NEXT) | instid1(VALU_DEP_2)
	v_pk_fma_f32 v[2:3], v[38:39], v[2:3], v[28:29] op_sel_hi:[0,1,1]
	v_pk_mul_f32 v[0:1], v[38:39], v[34:35]
	v_mul_f32_e32 v32, v38, v68
	s_delay_alu instid0(VALU_DEP_3) | instskip(NEXT) | instid1(VALU_DEP_3)
	v_pk_fma_f32 v[2:3], v[4:5], v[36:37], v[2:3] op_sel_hi:[0,1,1]
	v_mov_b32_e32 v33, v0
	v_mul_f32_e32 v0, v4, v40
	s_delay_alu instid0(VALU_DEP_2) | instskip(NEXT) | instid1(VALU_DEP_1)
	v_pk_add_f32 v[30:31], v[30:31], v[32:33]
	v_pk_add_f32 v[0:1], v[30:31], v[0:1]
.LBB78_27:                              ;   in Loop: Header=BB78_3 Depth=1
	ds_store_2addr_b32 v66, v2, v3 offset1:16
	ds_store_2addr_b32 v66, v0, v1 offset0:32 offset1:48
	s_wait_storecnt_dscnt 0x0
	s_barrier_signal -1
	s_barrier_wait -1
	s_and_b32 exec_lo, exec_lo, s0
	s_cbranch_execz .LBB78_2
; %bb.28:                               ;   in Loop: Header=BB78_3 Depth=1
	ds_load_b32 v0, v50
	ds_load_b32 v1, v51
	;; [unrolled: 1-line block ×8, first 2 shown]
	s_wait_dscnt 0x7
	v_add_f32_e32 v0, 0, v0
	s_wait_dscnt 0x6
	s_delay_alu instid0(VALU_DEP_1)
	v_add_f32_e32 v0, v0, v1
	ds_load_b32 v1, v58
	s_wait_dscnt 0x6
	v_add_f32_e32 v0, v0, v2
	ds_load_b32 v2, v59
	s_wait_dscnt 0x6
	;; [unrolled: 3-line block ×3, first 2 shown]
	v_add_f32_e32 v0, v0, v4
	s_wait_dscnt 0x5
	s_delay_alu instid0(VALU_DEP_1) | instskip(SKIP_1) | instid1(VALU_DEP_1)
	v_add_f32_e32 v0, v0, v5
	s_wait_dscnt 0x4
	v_add_f32_e32 v0, v0, v28
	s_wait_dscnt 0x3
	s_delay_alu instid0(VALU_DEP_1)
	v_add_f32_e32 v0, v0, v29
	ds_load_b32 v4, v61
	ds_load_b32 v5, v62
	;; [unrolled: 1-line block ×5, first 2 shown]
	s_wait_dscnt 0x7
	v_add_f32_e32 v0, v0, v1
	s_wait_dscnt 0x6
	s_delay_alu instid0(VALU_DEP_1) | instskip(SKIP_1) | instid1(VALU_DEP_1)
	v_add_f32_e32 v0, v0, v2
	s_wait_dscnt 0x5
	v_add_f32_e32 v0, v0, v3
	s_wait_dscnt 0x4
	s_delay_alu instid0(VALU_DEP_1) | instskip(SKIP_1) | instid1(VALU_DEP_1)
	v_add_f32_e32 v0, v0, v4
	;; [unrolled: 5-line block ×3, first 2 shown]
	s_wait_dscnt 0x1
	v_add_f32_e32 v0, v0, v29
	s_wait_dscnt 0x0
	s_delay_alu instid0(VALU_DEP_1) | instskip(SKIP_1) | instid1(VALU_DEP_2)
	v_add_f32_e32 v2, v0, v30
	v_lshl_add_u64 v[0:1], v[14:15], 2, s[48:49]
	v_mul_f32_e32 v2, v67, v2
	global_atomic_add_f32 v[0:1], v2, off scope:SCOPE_DEV
	s_branch .LBB78_2
.LBB78_29:
	s_sendmsg sendmsg(MSG_DEALLOC_VGPRS)
	s_endpgm
	.section	.rodata,"a",@progbits
	.p2align	6, 0x0
	.amdhsa_kernel _ZL54rocblas_symv_kernel_lower_double_buffered_non_diagonalILi32ELi4ELi4E24rocblas_internal_val_ptrIfEPKfPfEvbiT2_lT3_lllS6_lllT4_llli
		.amdhsa_group_segment_fixed_size 4224
		.amdhsa_private_segment_fixed_size 0
		.amdhsa_kernarg_size 384
		.amdhsa_user_sgpr_count 4
		.amdhsa_user_sgpr_dispatch_ptr 1
		.amdhsa_user_sgpr_queue_ptr 0
		.amdhsa_user_sgpr_kernarg_segment_ptr 1
		.amdhsa_user_sgpr_dispatch_id 0
		.amdhsa_user_sgpr_kernarg_preload_length 0
		.amdhsa_user_sgpr_kernarg_preload_offset 0
		.amdhsa_user_sgpr_private_segment_size 0
		.amdhsa_wavefront_size32 1
		.amdhsa_uses_dynamic_stack 0
		.amdhsa_enable_private_segment 0
		.amdhsa_system_sgpr_workgroup_id_x 1
		.amdhsa_system_sgpr_workgroup_id_y 1
		.amdhsa_system_sgpr_workgroup_id_z 1
		.amdhsa_system_sgpr_workgroup_info 0
		.amdhsa_system_vgpr_workitem_id 2
		.amdhsa_next_free_vgpr 80
		.amdhsa_next_free_sgpr 70
		.amdhsa_named_barrier_count 0
		.amdhsa_reserve_vcc 1
		.amdhsa_float_round_mode_32 0
		.amdhsa_float_round_mode_16_64 0
		.amdhsa_float_denorm_mode_32 3
		.amdhsa_float_denorm_mode_16_64 3
		.amdhsa_fp16_overflow 0
		.amdhsa_memory_ordered 1
		.amdhsa_forward_progress 1
		.amdhsa_inst_pref_size 24
		.amdhsa_round_robin_scheduling 0
		.amdhsa_exception_fp_ieee_invalid_op 0
		.amdhsa_exception_fp_denorm_src 0
		.amdhsa_exception_fp_ieee_div_zero 0
		.amdhsa_exception_fp_ieee_overflow 0
		.amdhsa_exception_fp_ieee_underflow 0
		.amdhsa_exception_fp_ieee_inexact 0
		.amdhsa_exception_int_div_zero 0
	.end_amdhsa_kernel
	.section	.text._ZL54rocblas_symv_kernel_lower_double_buffered_non_diagonalILi32ELi4ELi4E24rocblas_internal_val_ptrIfEPKfPfEvbiT2_lT3_lllS6_lllT4_llli,"axG",@progbits,_ZL54rocblas_symv_kernel_lower_double_buffered_non_diagonalILi32ELi4ELi4E24rocblas_internal_val_ptrIfEPKfPfEvbiT2_lT3_lllS6_lllT4_llli,comdat
.Lfunc_end78:
	.size	_ZL54rocblas_symv_kernel_lower_double_buffered_non_diagonalILi32ELi4ELi4E24rocblas_internal_val_ptrIfEPKfPfEvbiT2_lT3_lllS6_lllT4_llli, .Lfunc_end78-_ZL54rocblas_symv_kernel_lower_double_buffered_non_diagonalILi32ELi4ELi4E24rocblas_internal_val_ptrIfEPKfPfEvbiT2_lT3_lllS6_lllT4_llli
                                        ; -- End function
	.set _ZL54rocblas_symv_kernel_lower_double_buffered_non_diagonalILi32ELi4ELi4E24rocblas_internal_val_ptrIfEPKfPfEvbiT2_lT3_lllS6_lllT4_llli.num_vgpr, 80
	.set _ZL54rocblas_symv_kernel_lower_double_buffered_non_diagonalILi32ELi4ELi4E24rocblas_internal_val_ptrIfEPKfPfEvbiT2_lT3_lllS6_lllT4_llli.num_agpr, 0
	.set _ZL54rocblas_symv_kernel_lower_double_buffered_non_diagonalILi32ELi4ELi4E24rocblas_internal_val_ptrIfEPKfPfEvbiT2_lT3_lllS6_lllT4_llli.numbered_sgpr, 70
	.set _ZL54rocblas_symv_kernel_lower_double_buffered_non_diagonalILi32ELi4ELi4E24rocblas_internal_val_ptrIfEPKfPfEvbiT2_lT3_lllS6_lllT4_llli.num_named_barrier, 0
	.set _ZL54rocblas_symv_kernel_lower_double_buffered_non_diagonalILi32ELi4ELi4E24rocblas_internal_val_ptrIfEPKfPfEvbiT2_lT3_lllS6_lllT4_llli.private_seg_size, 0
	.set _ZL54rocblas_symv_kernel_lower_double_buffered_non_diagonalILi32ELi4ELi4E24rocblas_internal_val_ptrIfEPKfPfEvbiT2_lT3_lllS6_lllT4_llli.uses_vcc, 1
	.set _ZL54rocblas_symv_kernel_lower_double_buffered_non_diagonalILi32ELi4ELi4E24rocblas_internal_val_ptrIfEPKfPfEvbiT2_lT3_lllS6_lllT4_llli.uses_flat_scratch, 0
	.set _ZL54rocblas_symv_kernel_lower_double_buffered_non_diagonalILi32ELi4ELi4E24rocblas_internal_val_ptrIfEPKfPfEvbiT2_lT3_lllS6_lllT4_llli.has_dyn_sized_stack, 0
	.set _ZL54rocblas_symv_kernel_lower_double_buffered_non_diagonalILi32ELi4ELi4E24rocblas_internal_val_ptrIfEPKfPfEvbiT2_lT3_lllS6_lllT4_llli.has_recursion, 0
	.set _ZL54rocblas_symv_kernel_lower_double_buffered_non_diagonalILi32ELi4ELi4E24rocblas_internal_val_ptrIfEPKfPfEvbiT2_lT3_lllS6_lllT4_llli.has_indirect_call, 0
	.section	.AMDGPU.csdata,"",@progbits
; Kernel info:
; codeLenInByte = 3056
; TotalNumSgprs: 72
; NumVgprs: 80
; ScratchSize: 0
; MemoryBound: 0
; FloatMode: 240
; IeeeMode: 1
; LDSByteSize: 4224 bytes/workgroup (compile time only)
; SGPRBlocks: 0
; VGPRBlocks: 4
; NumSGPRsForWavesPerEU: 72
; NumVGPRsForWavesPerEU: 80
; NamedBarCnt: 0
; Occupancy: 12
; WaveLimiterHint : 1
; COMPUTE_PGM_RSRC2:SCRATCH_EN: 0
; COMPUTE_PGM_RSRC2:USER_SGPR: 4
; COMPUTE_PGM_RSRC2:TRAP_HANDLER: 0
; COMPUTE_PGM_RSRC2:TGID_X_EN: 1
; COMPUTE_PGM_RSRC2:TGID_Y_EN: 1
; COMPUTE_PGM_RSRC2:TGID_Z_EN: 1
; COMPUTE_PGM_RSRC2:TIDIG_COMP_CNT: 2
	.section	.text._ZL58rocblas_symv_kernel_lower_double_buffered_diagonal_genericILi32ELi4E24rocblas_internal_val_ptrIfEPKfPfEvbiT1_lT2_lllS6_lllS5_lT3_lllii,"axG",@progbits,_ZL58rocblas_symv_kernel_lower_double_buffered_diagonal_genericILi32ELi4E24rocblas_internal_val_ptrIfEPKfPfEvbiT1_lT2_lllS6_lllS5_lT3_lllii,comdat
	.globl	_ZL58rocblas_symv_kernel_lower_double_buffered_diagonal_genericILi32ELi4E24rocblas_internal_val_ptrIfEPKfPfEvbiT1_lT2_lllS6_lllS5_lT3_lllii ; -- Begin function _ZL58rocblas_symv_kernel_lower_double_buffered_diagonal_genericILi32ELi4E24rocblas_internal_val_ptrIfEPKfPfEvbiT1_lT2_lllS6_lllS5_lT3_lllii
	.p2align	8
	.type	_ZL58rocblas_symv_kernel_lower_double_buffered_diagonal_genericILi32ELi4E24rocblas_internal_val_ptrIfEPKfPfEvbiT1_lT2_lllS6_lllS5_lT3_lllii,@function
_ZL58rocblas_symv_kernel_lower_double_buffered_diagonal_genericILi32ELi4E24rocblas_internal_val_ptrIfEPKfPfEvbiT1_lT2_lllS6_lllS5_lT3_lllii: ; @_ZL58rocblas_symv_kernel_lower_double_buffered_diagonal_genericILi32ELi4E24rocblas_internal_val_ptrIfEPKfPfEvbiT1_lT2_lllS6_lllS5_lT3_lllii
; %bb.0:
	s_load_b64 s[4:5], s[0:1], 0x4
	s_clause 0x1
	s_load_b512 s[12:27], s[2:3], 0x8
	s_load_b256 s[36:43], s[2:3], 0x48
	v_bfe_u32 v8, v0, 10, 10
	s_load_b64 s[10:11], s[2:3], 0x88
	v_and_b32_e32 v2, 0x3ff, v0
	v_bfe_u32 v0, v0, 20, 10
	s_wait_xcnt 0x0
	s_bfe_u32 s1, ttmp6, 0x40014
	s_lshr_b32 s0, ttmp7, 16
	s_add_co_i32 s1, s1, 1
	s_getreg_b32 s8, hwreg(HW_REG_IB_STS2, 6, 4)
	s_mul_i32 s1, s0, s1
	s_mov_b32 s29, 0
	s_wait_kmcnt 0x0
	v_mul_u32_u24_e32 v1, s5, v8
	s_lshr_b32 s4, s4, 16
	v_dual_mov_b32 v4, s12 :: v_dual_mov_b32 v5, s13
	s_mul_i32 s4, s4, s5
	v_dual_mov_b32 v6, s40 :: v_dual_mov_b32 v7, s41
	v_mad_u32_u24 v1, s4, v2, v1
	s_bfe_u32 s4, ttmp6, 0x40008
	s_delay_alu instid0(SALU_CYCLE_1) | instskip(SKIP_1) | instid1(VALU_DEP_1)
	s_add_co_i32 s4, s4, s1
	s_cmp_eq_u32 s8, 0
	v_add_lshl_u32 v0, v1, v0, 3
	s_cselect_b32 s12, s0, s4
	s_delay_alu instid0(SALU_CYCLE_1) | instskip(NEXT) | instid1(VALU_DEP_1)
	s_cmp_ge_u32 s12, s11
	v_add_nc_u32_e32 v1, 0x80, v0
	ds_store_2addr_stride64_b64 v1, v[6:7], v[4:5] offset0:10 offset1:12
	s_cbranch_scc1 .LBB79_74
; %bb.1:
	s_load_b32 s9, s[2:3], 0x0
	v_dual_mov_b32 v3, 0 :: v_dual_add_nc_u32 v14, 0x1880, v0
	s_clause 0x2
	s_load_b128 s[4:7], s[2:3], 0x70
	s_load_b64 s[40:41], s[2:3], 0x68
	s_load_b64 s[30:31], s[2:3], 0x80
	v_add_nc_u32_e32 v15, 0x1480, v0
	v_dual_mov_b32 v9, v3 :: v_dual_lshlrev_b32 v10, 2, v2
	v_mul_u64_e32 v[0:1], s[36:37], v[2:3]
	s_add_nc_u64 s[34:35], s[2:3], 0x90
	s_wait_xcnt 0x0
	s_add_nc_u64 s[2:3], s[20:21], 1
	v_lshl_add_u32 v12, v8, 5, v2
	v_mul_u64_e32 v[6:7], s[20:21], v[8:9]
	v_sub_co_u32 v9, s50, v2, v8
	v_cmp_gt_i32_e64 s33, s10, v2
	v_lshlrev_b32_e32 v20, 7, v8
	v_cmp_le_i32_e64 s1, s10, v2
	s_delay_alu instid0(VALU_DEP_4)
	v_dual_sub_nc_u32 v13, 0, v9 :: v_dual_mov_b32 v11, v3
	v_add_nc_u32_e32 v16, 0x1400, v10
	s_wait_kmcnt 0x0
	s_bitcmp1_b32 s9, 0
	v_mul_u64_e32 v[4:5], s[6:7], v[2:3]
	s_cselect_b32 s9, -1, 0
	s_bfe_u32 s13, ttmp6, 0x4000c
	s_lshl_b64 s[44:45], s[18:19], 2
	s_add_co_i32 s13, s13, 1
	s_lshl_b64 s[18:19], s[26:27], 2
	s_and_b32 s26, ttmp6, 15
	s_mul_i32 s13, ttmp9, s13
	s_lshl_b64 s[4:5], s[4:5], 2
	s_xor_b32 s48, s9, -1
	s_add_co_i32 s26, s26, s13
	s_cmp_eq_u32 s8, 0
	s_add_nc_u64 s[4:5], s[40:41], s[4:5]
	s_cselect_b32 s49, ttmp9, s26
	s_add_nc_u64 s[26:27], s[16:17], s[44:45]
	s_lshl_b32 s8, s49, 5
	s_lshr_b32 s51, s10, 2
	s_ashr_i32 s9, s8, 31
	v_mul_u32_u24_e32 v18, 0x7c, v2
	s_mul_u64 s[2:3], s[2:3], s[8:9]
	v_dual_lshlrev_b32 v2, 2, v8 :: v_dual_max_i32 v9, v9, v13
	s_lshl_b64 s[40:41], s[2:3], 2
	s_mul_u64 s[2:3], s[6:7], s[8:9]
	s_add_nc_u64 s[6:7], s[26:27], s[40:41]
	s_mul_u64 s[8:9], s[36:37], s[8:9]
	v_lshl_add_u64 v[6:7], v[6:7], 2, s[6:7]
	s_lshl_b64 s[2:3], s[2:3], 2
	s_lshl_b64 s[6:7], s[8:9], 2
	;; [unrolled: 1-line block ×3, first 2 shown]
	s_cmp_gt_u32 s10, 3
	s_add_nc_u64 s[44:45], s[40:41], s[44:45]
	v_add_nc_u32_e32 v13, 0x200, v20
	v_add_nc_u32_e32 v26, 0x400, v20
	;; [unrolled: 1-line block ×7, first 2 shown]
	s_add_nc_u64 s[24:25], s[24:25], s[18:19]
	s_add_nc_u64 s[18:19], s[4:5], s[2:3]
	s_cselect_b32 s52, -1, 0
	s_and_b32 s2, s10, 3
	s_add_nc_u64 s[16:17], s[16:17], s[44:45]
	s_cmp_gt_u32 s10, 7
	v_cmp_eq_u32_e64 s0, 0, v8
	s_add_nc_u64 s[24:25], s[24:25], s[6:7]
	v_add_nc_u64_e32 v[6:7], v[6:7], v[10:11]
	v_cmp_gt_u32_e64 s2, s2, v8
	v_cmp_gt_u32_e64 s3, 4, v9
	;; [unrolled: 1-line block ×8, first 2 shown]
	v_add_nc_u64_e32 v[8:9], s[16:17], v[10:11]
	s_cselect_b32 s53, -1, 0
	s_and_b32 s54, s51, 0x3ffffffe
	v_dual_add_nc_u32 v17, v20, v10 :: v_dual_add_nc_u32 v23, v10, v23
	v_add3_u32 v18, v10, v18, v2
	v_add_nc_u32_e32 v19, 0x1400, v2
	v_lshl_add_u32 v20, v12, 2, 0x1000
	v_or_b32_e32 v21, 0x1000, v10
	v_dual_add_nc_u32 v22, v10, v22 :: v_dual_add_nc_u32 v24, v10, v24
	v_dual_add_nc_u32 v25, v10, v13 :: v_dual_add_nc_u32 v26, v10, v26
	v_dual_add_nc_u32 v27, v10, v27 :: v_dual_add_nc_u32 v28, v10, v28
	s_cmp_lg_u32 s51, s54
	s_mov_b32 s36, s20
	s_mov_b32 s37, s21
	;; [unrolled: 1-line block ×4, first 2 shown]
	s_cselect_b32 s55, -1, 0
	s_lshl_b64 s[16:17], s[22:23], 2
	s_branch .LBB79_4
.LBB79_2:                               ;   in Loop: Header=BB79_4 Depth=1
	s_wait_xcnt 0x0
	s_or_b32 exec_lo, exec_lo, s13
.LBB79_3:                               ;   in Loop: Header=BB79_4 Depth=1
	s_delay_alu instid0(SALU_CYCLE_1) | instskip(SKIP_1) | instid1(SALU_CYCLE_1)
	s_or_b32 exec_lo, exec_lo, s10
	s_add_co_i32 s12, s12, 0x10000
	s_cmp_lt_u32 s12, s11
	s_cbranch_scc0 .LBB79_74
.LBB79_4:                               ; =>This Loop Header: Depth=1
                                        ;     Child Loop BB79_41 Depth 2
                                        ;     Child Loop BB79_48 Depth 2
	s_mov_b32 s13, s29
	s_and_b32 vcc_lo, exec_lo, s48
	s_mov_b32 s10, -1
                                        ; implicit-def: $vgpr30
	s_cbranch_vccnz .LBB79_43
; %bb.5:                                ;   in Loop: Header=BB79_4 Depth=1
	s_and_not1_b32 vcc_lo, exec_lo, s10
	s_cbranch_vccz .LBB79_44
.LBB79_6:                               ;   in Loop: Header=BB79_4 Depth=1
	s_and_b32 vcc_lo, exec_lo, s48
	s_mov_b32 s10, -1
                                        ; implicit-def: $vgpr29
	s_cbranch_vccnz .LBB79_45
.LBB79_7:                               ;   in Loop: Header=BB79_4 Depth=1
	s_and_not1_b32 vcc_lo, exec_lo, s10
	s_cbranch_vccnz .LBB79_9
.LBB79_8:                               ;   in Loop: Header=BB79_4 Depth=1
	s_wait_loadcnt_dscnt 0x0
	ds_load_b32 v29, v15
.LBB79_9:                               ;   in Loop: Header=BB79_4 Depth=1
	s_wait_loadcnt_dscnt 0x0
	v_cmp_neq_f32_e32 vcc_lo, 0, v30
	v_cmp_neq_f32_e64 s10, 1.0, v29
	s_or_b32 s28, vcc_lo, s10
	s_wait_xcnt 0x0
	s_and_saveexec_b32 s10, s28
	s_cbranch_execz .LBB79_3
; %bb.10:                               ;   in Loop: Header=BB79_4 Depth=1
	s_mul_u64 s[44:45], s[30:31], s[12:13]
	s_mov_b32 s28, exec_lo
	s_lshl_b64 s[44:45], s[44:45], 2
	s_delay_alu instid0(SALU_CYCLE_1)
	s_add_nc_u64 s[44:45], s[18:19], s[44:45]
	v_cmpx_eq_f32_e32 0, v30
	s_xor_b32 s28, exec_lo, s28
	s_cbranch_execz .LBB79_17
; %bb.11:                               ;   in Loop: Header=BB79_4 Depth=1
	s_and_saveexec_b32 s46, s0
	s_cbranch_execz .LBB79_16
; %bb.12:                               ;   in Loop: Header=BB79_4 Depth=1
	s_mov_b32 s56, s33
	s_and_saveexec_b32 s47, s1
	s_cbranch_execz .LBB79_14
; %bb.13:                               ;   in Loop: Header=BB79_4 Depth=1
	s_load_b32 s56, s[34:35], 0x0
	s_wait_kmcnt 0x0
	s_add_co_i32 s56, s56, -1
	s_delay_alu instid0(SALU_CYCLE_1) | instskip(SKIP_3) | instid1(SALU_CYCLE_1)
	s_cmp_lt_u32 s49, s56
	s_cselect_b32 s56, -1, 0
	s_and_not1_b32 s57, s33, exec_lo
	s_and_b32 s56, s56, exec_lo
	s_or_b32 s56, s57, s56
.LBB79_14:                              ;   in Loop: Header=BB79_4 Depth=1
	s_or_b32 exec_lo, exec_lo, s47
	s_delay_alu instid0(SALU_CYCLE_1)
	s_and_b32 exec_lo, exec_lo, s56
	s_cbranch_execz .LBB79_16
; %bb.15:                               ;   in Loop: Header=BB79_4 Depth=1
	v_lshl_add_u64 v[10:11], v[4:5], 2, s[44:45]
	global_load_b32 v12, v[10:11], off
	s_wait_loadcnt 0x0
	v_mul_f32_e32 v12, v29, v12
	global_store_b32 v[10:11], v12, off
.LBB79_16:                              ;   in Loop: Header=BB79_4 Depth=1
	s_wait_xcnt 0x0
	s_or_b32 exec_lo, exec_lo, s46
                                        ; implicit-def: $vgpr30
                                        ; implicit-def: $vgpr29
.LBB79_17:                              ;   in Loop: Header=BB79_4 Depth=1
	s_and_not1_saveexec_b32 s28, s28
	s_cbranch_execz .LBB79_3
; %bb.18:                               ;   in Loop: Header=BB79_4 Depth=1
	s_load_b32 s28, s[34:35], 0x0
	s_mul_u64 s[46:47], s[38:39], s[12:13]
                                        ; implicit-def: $vgpr31
	s_delay_alu instid0(SALU_CYCLE_1) | instskip(NEXT) | instid1(SALU_CYCLE_1)
	s_lshl_b64 s[46:47], s[46:47], 2
	s_add_nc_u64 s[46:47], s[24:25], s[46:47]
	s_wait_kmcnt 0x0
	s_add_co_i32 s28, s28, -1
	s_delay_alu instid0(SALU_CYCLE_1) | instskip(SKIP_2) | instid1(SALU_CYCLE_1)
	s_cmp_lg_u32 s49, s28
	s_mov_b32 s28, -1
	s_cselect_b32 s56, -1, 0
	s_and_b32 vcc_lo, exec_lo, s56
	s_cbranch_vccz .LBB79_24
; %bb.19:                               ;   in Loop: Header=BB79_4 Depth=1
	v_mov_b32_e32 v31, 0
	s_and_saveexec_b32 s28, s0
	s_cbranch_execz .LBB79_23
; %bb.20:                               ;   in Loop: Header=BB79_4 Depth=1
	v_lshl_add_u64 v[10:11], v[0:1], 2, s[46:47]
	v_mov_b32_e32 v31, 0
	s_mov_b32 s57, exec_lo
	global_load_b32 v10, v[10:11], off
	s_wait_loadcnt 0x0
	ds_store_b32 v16, v10
	s_wait_xcnt 0x0
	v_cmpx_neq_f32_e32 0, v29
	s_cbranch_execz .LBB79_22
; %bb.21:                               ;   in Loop: Header=BB79_4 Depth=1
	v_lshl_add_u64 v[10:11], v[4:5], 2, s[44:45]
	global_load_b32 v10, v[10:11], off
	s_wait_loadcnt 0x0
	v_mul_f32_e32 v31, v29, v10
.LBB79_22:                              ;   in Loop: Header=BB79_4 Depth=1
	s_wait_xcnt 0x0
	s_or_b32 exec_lo, exec_lo, s57
.LBB79_23:                              ;   in Loop: Header=BB79_4 Depth=1
	s_delay_alu instid0(SALU_CYCLE_1)
	s_or_b32 exec_lo, exec_lo, s28
	s_mov_b32 s28, 0
.LBB79_24:                              ;   in Loop: Header=BB79_4 Depth=1
	s_delay_alu instid0(SALU_CYCLE_1)
	s_and_not1_b32 vcc_lo, exec_lo, s28
	s_cbranch_vccnz .LBB79_34
; %bb.25:                               ;   in Loop: Header=BB79_4 Depth=1
	v_mov_b32_e32 v31, 0
	s_and_saveexec_b32 s28, s0
	s_cbranch_execz .LBB79_33
; %bb.26:                               ;   in Loop: Header=BB79_4 Depth=1
	s_and_saveexec_b32 s57, s1
	s_delay_alu instid0(SALU_CYCLE_1)
	s_xor_b32 s57, exec_lo, s57
; %bb.27:                               ;   in Loop: Header=BB79_4 Depth=1
	ds_store_b32 v16, v3
; %bb.28:                               ;   in Loop: Header=BB79_4 Depth=1
	s_or_saveexec_b32 s57, s57
	v_mov_b32_e32 v31, 0
	s_xor_b32 exec_lo, exec_lo, s57
	s_cbranch_execz .LBB79_32
; %bb.29:                               ;   in Loop: Header=BB79_4 Depth=1
	v_lshl_add_u64 v[10:11], v[0:1], 2, s[46:47]
	v_mov_b32_e32 v31, 0
	s_mov_b32 s46, exec_lo
	global_load_b32 v10, v[10:11], off
	s_wait_loadcnt 0x0
	ds_store_b32 v16, v10
	s_wait_xcnt 0x0
	v_cmpx_neq_f32_e32 0, v29
	s_cbranch_execz .LBB79_31
; %bb.30:                               ;   in Loop: Header=BB79_4 Depth=1
	v_lshl_add_u64 v[10:11], v[4:5], 2, s[44:45]
	global_load_b32 v10, v[10:11], off
	s_wait_loadcnt 0x0
	v_mul_f32_e32 v31, v29, v10
.LBB79_31:                              ;   in Loop: Header=BB79_4 Depth=1
	s_wait_xcnt 0x0
	s_or_b32 exec_lo, exec_lo, s46
.LBB79_32:                              ;   in Loop: Header=BB79_4 Depth=1
	s_delay_alu instid0(SALU_CYCLE_1)
	s_or_b32 exec_lo, exec_lo, s57
.LBB79_33:                              ;   in Loop: Header=BB79_4 Depth=1
	s_delay_alu instid0(SALU_CYCLE_1)
	s_or_b32 exec_lo, exec_lo, s28
.LBB79_34:                              ;   in Loop: Header=BB79_4 Depth=1
	s_mul_u64 s[46:47], s[22:23], s[12:13]
	s_and_not1_b32 vcc_lo, exec_lo, s56
	v_lshl_add_u64 v[10:11], s[46:47], 2, v[6:7]
	s_mov_b32 s13, -1
	s_cbranch_vccnz .LBB79_36
; %bb.35:                               ;   in Loop: Header=BB79_4 Depth=1
	s_delay_alu instid0(VALU_DEP_1) | instskip(SKIP_1) | instid1(VALU_DEP_1)
	v_add_nc_u64_e32 v[12:13], s[26:27], v[10:11]
	s_mov_b32 s13, 0
	v_add_nc_u64_e32 v[32:33], s[26:27], v[12:13]
	s_delay_alu instid0(VALU_DEP_1) | instskip(NEXT) | instid1(VALU_DEP_1)
	v_add_nc_u64_e32 v[34:35], s[26:27], v[32:33]
	v_add_nc_u64_e32 v[36:37], s[26:27], v[34:35]
	s_delay_alu instid0(VALU_DEP_1) | instskip(NEXT) | instid1(VALU_DEP_1)
	v_add_nc_u64_e32 v[38:39], s[26:27], v[36:37]
	v_add_nc_u64_e32 v[40:41], s[26:27], v[38:39]
	s_delay_alu instid0(VALU_DEP_1)
	v_add_nc_u64_e32 v[42:43], s[26:27], v[40:41]
	s_clause 0x5
	global_load_b32 v44, v[10:11], off
	global_load_b32 v45, v[12:13], off
	;; [unrolled: 1-line block ×8, first 2 shown]
	s_wait_loadcnt 0x6
	ds_store_2addr_stride64_b32 v17, v44, v45 offset1:2
	s_wait_loadcnt 0x4
	ds_store_2addr_stride64_b32 v17, v46, v47 offset0:4 offset1:6
	s_wait_loadcnt 0x2
	ds_store_2addr_stride64_b32 v17, v48, v49 offset0:8 offset1:10
	;; [unrolled: 2-line block ×3, first 2 shown]
.LBB79_36:                              ;   in Loop: Header=BB79_4 Depth=1
	s_and_not1_b32 vcc_lo, exec_lo, s13
	s_cbranch_vccnz .LBB79_52
; %bb.37:                               ;   in Loop: Header=BB79_4 Depth=1
	ds_store_2addr_stride64_b32 v17, v3, v3 offset1:2
	ds_store_2addr_stride64_b32 v17, v3, v3 offset0:4 offset1:6
	ds_store_2addr_stride64_b32 v17, v3, v3 offset0:8 offset1:10
	ds_store_2addr_stride64_b32 v17, v3, v3 offset0:12 offset1:14
	s_wait_xcnt 0x0
	s_and_saveexec_b32 s13, s33
	s_cbranch_execz .LBB79_51
; %bb.38:                               ;   in Loop: Header=BB79_4 Depth=1
	s_and_not1_b32 vcc_lo, exec_lo, s52
	s_mov_b32 s46, 0
	s_cbranch_vccnz .LBB79_49
; %bb.39:                               ;   in Loop: Header=BB79_4 Depth=1
	s_and_not1_b32 vcc_lo, exec_lo, s53
	s_cbranch_vccnz .LBB79_46
; %bb.40:                               ;   in Loop: Header=BB79_4 Depth=1
	s_mov_b32 s46, 1
	s_mov_b32 s47, 0
	;; [unrolled: 1-line block ×3, first 2 shown]
.LBB79_41:                              ;   Parent Loop BB79_4 Depth=1
                                        ; =>  This Inner Loop Header: Depth=2
	s_lshl_b32 s28, s47, 2
	s_lshl_b32 s58, s46, 2
	s_mov_b32 s59, s29
	s_mul_u64 s[60:61], s[36:37], s[28:29]
	s_mul_u64 s[58:59], s[40:41], s[58:59]
	v_lshl_add_u64 v[12:13], s[60:61], 2, v[10:11]
	v_lshl_add_u64 v[32:33], s[58:59], 2, v[10:11]
	s_add_co_i32 s57, s57, -2
	s_mov_b32 s58, s55
	s_clause 0x1
	global_load_b32 v12, v[12:13], off
	global_load_b32 v13, v[32:33], off
	s_wait_xcnt 0x0
	v_lshl_add_u32 v32, s47, 9, v17
	v_lshl_add_u32 v33, s46, 9, v17
	s_add_co_i32 s47, s47, 2
	s_add_co_i32 s46, s46, 2
	s_cmp_lg_u32 s57, 0
	s_mov_b32 s28, s54
	s_wait_loadcnt 0x1
	ds_store_b32 v32, v12
	s_wait_loadcnt 0x0
	ds_store_b32 v33, v13
	s_cbranch_scc1 .LBB79_41
; %bb.42:                               ;   in Loop: Header=BB79_4 Depth=1
	s_and_b32 vcc_lo, exec_lo, s58
	s_mov_b32 s46, s51
	s_cbranch_vccnz .LBB79_47
	s_branch .LBB79_49
.LBB79_43:                              ;   in Loop: Header=BB79_4 Depth=1
	ds_load_b64 v[10:11], v14
	s_mul_u64 s[44:45], s[14:15], s[12:13]
	s_wait_dscnt 0x0
	v_lshl_add_u64 v[10:11], s[44:45], 2, v[10:11]
	flat_load_b32 v30, v[10:11]
	s_cbranch_execnz .LBB79_6
.LBB79_44:                              ;   in Loop: Header=BB79_4 Depth=1
	s_wait_loadcnt_dscnt 0x0
	ds_load_b32 v30, v14
	s_and_b32 vcc_lo, exec_lo, s48
	s_mov_b32 s10, -1
                                        ; implicit-def: $vgpr29
	s_cbranch_vccz .LBB79_7
.LBB79_45:                              ;   in Loop: Header=BB79_4 Depth=1
	s_wait_xcnt 0x0
	ds_load_b64 v[10:11], v15
	s_mul_u64 s[44:45], s[42:43], s[12:13]
	s_wait_dscnt 0x0
	v_lshl_add_u64 v[10:11], s[44:45], 2, v[10:11]
	flat_load_b32 v29, v[10:11]
	s_cbranch_execz .LBB79_8
	s_branch .LBB79_9
.LBB79_46:                              ;   in Loop: Header=BB79_4 Depth=1
	s_mov_b32 s28, 0
	s_mov_b32 s46, s51
	s_cbranch_execz .LBB79_49
.LBB79_47:                              ;   in Loop: Header=BB79_4 Depth=1
	v_lshl_add_u64 v[12:13], s[28:29], 4, v[2:3]
	v_lshl_add_u32 v32, s28, 9, v17
	s_sub_co_i32 s28, s51, s28
	s_delay_alu instid0(VALU_DEP_2) | instskip(NEXT) | instid1(VALU_DEP_1)
	v_mul_u64_e32 v[12:13], s[20:21], v[12:13]
	v_mad_nc_u64_u32 v[12:13], s16, s12, v[12:13]
	s_delay_alu instid0(VALU_DEP_1) | instskip(NEXT) | instid1(VALU_DEP_1)
	v_mad_u32 v13, s17, s12, v13
	v_add_nc_u64_e32 v[12:13], v[8:9], v[12:13]
.LBB79_48:                              ;   Parent Loop BB79_4 Depth=1
                                        ; =>  This Inner Loop Header: Depth=2
	global_load_b32 v33, v[12:13], off
	s_wait_xcnt 0x0
	v_add_nc_u64_e32 v[12:13], s[26:27], v[12:13]
	s_add_co_i32 s28, s28, -1
	s_mov_b32 s46, s51
	s_cmp_lg_u32 s28, 0
	s_wait_loadcnt 0x0
	ds_store_b32 v32, v33
	v_add_nc_u32_e32 v32, 0x200, v32
	s_cbranch_scc1 .LBB79_48
.LBB79_49:                              ;   in Loop: Header=BB79_4 Depth=1
	s_and_b32 exec_lo, exec_lo, s2
	s_cbranch_execz .LBB79_51
; %bb.50:                               ;   in Loop: Header=BB79_4 Depth=1
	s_lshl_b32 s28, s46, 2
	s_delay_alu instid0(SALU_CYCLE_1) | instskip(NEXT) | instid1(SALU_CYCLE_1)
	s_mul_u64 s[58:59], s[20:21], s[28:29]
	v_lshl_add_u64 v[10:11], s[58:59], 2, v[10:11]
	global_load_b32 v10, v[10:11], off
	s_wait_xcnt 0x0
	v_lshl_add_u32 v11, s46, 9, v17
	s_wait_loadcnt 0x0
	ds_store_b32 v11, v10
.LBB79_51:                              ;   in Loop: Header=BB79_4 Depth=1
	s_or_b32 exec_lo, exec_lo, s13
.LBB79_52:                              ;   in Loop: Header=BB79_4 Depth=1
	s_wait_storecnt_dscnt 0x0
	s_barrier_signal -1
	s_barrier_wait -1
	s_wait_xcnt 0x0
	s_and_saveexec_b32 s13, s50
	s_cbranch_execnz .LBB79_67
; %bb.53:                               ;   in Loop: Header=BB79_4 Depth=1
	s_or_b32 exec_lo, exec_lo, s13
	s_and_saveexec_b32 s13, s3
	s_cbranch_execnz .LBB79_68
.LBB79_54:                              ;   in Loop: Header=BB79_4 Depth=1
	s_or_b32 exec_lo, exec_lo, s13
	s_and_saveexec_b32 s13, s4
	s_cbranch_execnz .LBB79_69
.LBB79_55:                              ;   in Loop: Header=BB79_4 Depth=1
	s_or_b32 exec_lo, exec_lo, s13
	s_and_saveexec_b32 s13, s5
	s_cbranch_execnz .LBB79_70
.LBB79_56:                              ;   in Loop: Header=BB79_4 Depth=1
	s_or_b32 exec_lo, exec_lo, s13
	s_and_saveexec_b32 s13, s6
	s_cbranch_execnz .LBB79_71
.LBB79_57:                              ;   in Loop: Header=BB79_4 Depth=1
	s_or_b32 exec_lo, exec_lo, s13
	s_and_saveexec_b32 s13, s7
	s_cbranch_execnz .LBB79_72
.LBB79_58:                              ;   in Loop: Header=BB79_4 Depth=1
	s_or_b32 exec_lo, exec_lo, s13
	s_and_saveexec_b32 s13, s8
	s_cbranch_execnz .LBB79_73
.LBB79_59:                              ;   in Loop: Header=BB79_4 Depth=1
	s_or_b32 exec_lo, exec_lo, s13
	s_and_saveexec_b32 s13, s9
	s_cbranch_execz .LBB79_61
.LBB79_60:                              ;   in Loop: Header=BB79_4 Depth=1
	ds_load_b32 v10, v18 offset:112
	s_wait_dscnt 0x0
	ds_store_b32 v28, v10
.LBB79_61:                              ;   in Loop: Header=BB79_4 Depth=1
	s_or_b32 exec_lo, exec_lo, s13
	s_wait_dscnt 0x0
	s_barrier_signal -1
	s_barrier_wait -1
	ds_load_b32 v10, v17
	ds_load_b32 v11, v25
	ds_load_2addr_b32 v[12:13], v19 offset1:4
	ds_load_2addr_b32 v[32:33], v19 offset0:8 offset1:12
	ds_load_b32 v34, v26
	ds_load_b32 v35, v27
	ds_load_2addr_b32 v[36:37], v19 offset0:16 offset1:20
	ds_load_b32 v38, v22
	ds_load_b32 v39, v23
	;; [unrolled: 1-line block ×4, first 2 shown]
	s_wait_dscnt 0x8
	v_pk_mul_f32 v[10:11], v[10:11], v[12:13]
	ds_load_2addr_b32 v[12:13], v19 offset0:24 offset1:28
	s_wait_dscnt 0x6
	v_pk_mul_f32 v[32:33], v[34:35], v[32:33]
	v_add_f32_e32 v10, 0, v10
	s_delay_alu instid0(VALU_DEP_1) | instskip(NEXT) | instid1(VALU_DEP_1)
	v_add_f32_e32 v10, v10, v11
	v_add_f32_e32 v32, v10, v32
	s_wait_dscnt 0x3
	v_pk_mul_f32 v[10:11], v[38:39], v[36:37]
	s_delay_alu instid0(VALU_DEP_2) | instskip(SKIP_2) | instid1(VALU_DEP_2)
	v_add_f32_e32 v32, v32, v33
	s_wait_dscnt 0x0
	v_pk_mul_f32 v[12:13], v[40:41], v[12:13]
	v_add_f32_e32 v10, v32, v10
	s_delay_alu instid0(VALU_DEP_1) | instskip(NEXT) | instid1(VALU_DEP_1)
	v_add_f32_e32 v10, v10, v11
	v_add_f32_e32 v10, v10, v12
	s_delay_alu instid0(VALU_DEP_1)
	v_add_f32_e32 v10, v10, v13
	ds_store_b32 v20, v10
	s_wait_dscnt 0x0
	s_barrier_signal -1
	s_barrier_wait -1
	s_and_saveexec_b32 s13, s0
	s_cbranch_execz .LBB79_2
; %bb.62:                               ;   in Loop: Header=BB79_4 Depth=1
	ds_load_2addr_b32 v[10:11], v21 offset1:32
	ds_load_2addr_b32 v[12:13], v21 offset0:64 offset1:96
	v_cmp_neq_f32_e32 vcc_lo, 0, v29
	s_mov_b32 s28, -1
	s_wait_dscnt 0x1
	v_add_f32_e32 v10, 0, v10
	s_delay_alu instid0(VALU_DEP_1) | instskip(SKIP_1) | instid1(VALU_DEP_1)
	v_add_f32_e32 v10, v10, v11
	s_wait_dscnt 0x0
	v_add_f32_e32 v10, v10, v12
	s_delay_alu instid0(VALU_DEP_1) | instskip(NEXT) | instid1(VALU_DEP_1)
	v_add_f32_e32 v10, v10, v13
	v_dual_mul_f32 v11, v30, v10 :: v_dual_fmac_f32 v31, v30, v10
	s_delay_alu instid0(VALU_DEP_1)
	v_cndmask_b32_e32 v10, v11, v31, vcc_lo
	s_and_b32 vcc_lo, exec_lo, s56
	s_cbranch_vccz .LBB79_64
; %bb.63:                               ;   in Loop: Header=BB79_4 Depth=1
	v_lshl_add_u64 v[12:13], v[4:5], 2, s[44:45]
	s_mov_b32 s28, 0
	global_store_b32 v[12:13], v10, off
.LBB79_64:                              ;   in Loop: Header=BB79_4 Depth=1
	s_and_not1_b32 vcc_lo, exec_lo, s28
	s_cbranch_vccnz .LBB79_2
; %bb.65:                               ;   in Loop: Header=BB79_4 Depth=1
	s_wait_xcnt 0x0
	s_and_b32 exec_lo, exec_lo, s33
	s_cbranch_execz .LBB79_2
; %bb.66:                               ;   in Loop: Header=BB79_4 Depth=1
	v_lshl_add_u64 v[12:13], v[4:5], 2, s[44:45]
	global_store_b32 v[12:13], v10, off
	s_branch .LBB79_2
.LBB79_67:                              ;   in Loop: Header=BB79_4 Depth=1
	ds_load_b32 v10, v18
	s_wait_dscnt 0x0
	ds_store_b32 v17, v10
	s_or_b32 exec_lo, exec_lo, s13
	s_and_saveexec_b32 s13, s3
	s_cbranch_execz .LBB79_54
.LBB79_68:                              ;   in Loop: Header=BB79_4 Depth=1
	ds_load_b32 v10, v18 offset:16
	s_wait_dscnt 0x0
	ds_store_b32 v25, v10
	s_or_b32 exec_lo, exec_lo, s13
	s_and_saveexec_b32 s13, s4
	s_cbranch_execz .LBB79_55
.LBB79_69:                              ;   in Loop: Header=BB79_4 Depth=1
	ds_load_b32 v10, v18 offset:32
	s_wait_dscnt 0x0
	ds_store_b32 v26, v10
	s_or_b32 exec_lo, exec_lo, s13
	s_and_saveexec_b32 s13, s5
	s_cbranch_execz .LBB79_56
.LBB79_70:                              ;   in Loop: Header=BB79_4 Depth=1
	ds_load_b32 v10, v18 offset:48
	s_wait_dscnt 0x0
	ds_store_b32 v27, v10
	s_or_b32 exec_lo, exec_lo, s13
	s_and_saveexec_b32 s13, s6
	s_cbranch_execz .LBB79_57
.LBB79_71:                              ;   in Loop: Header=BB79_4 Depth=1
	ds_load_b32 v10, v18 offset:64
	s_wait_dscnt 0x0
	ds_store_b32 v17, v10 offset:2048
	s_or_b32 exec_lo, exec_lo, s13
	s_and_saveexec_b32 s13, s7
	s_cbranch_execz .LBB79_58
.LBB79_72:                              ;   in Loop: Header=BB79_4 Depth=1
	ds_load_b32 v10, v18 offset:80
	s_wait_dscnt 0x0
	ds_store_b32 v17, v10 offset:2560
	s_or_b32 exec_lo, exec_lo, s13
	s_and_saveexec_b32 s13, s8
	s_cbranch_execz .LBB79_59
.LBB79_73:                              ;   in Loop: Header=BB79_4 Depth=1
	ds_load_b32 v10, v18 offset:96
	s_wait_dscnt 0x0
	ds_store_b32 v17, v10 offset:3072
	s_or_b32 exec_lo, exec_lo, s13
	s_and_saveexec_b32 s13, s9
	s_cbranch_execnz .LBB79_60
	s_branch .LBB79_61
.LBB79_74:
	s_endpgm
	.section	.rodata,"a",@progbits
	.p2align	6, 0x0
	.amdhsa_kernel _ZL58rocblas_symv_kernel_lower_double_buffered_diagonal_genericILi32ELi4E24rocblas_internal_val_ptrIfEPKfPfEvbiT1_lT2_lllS6_lllS5_lT3_lllii
		.amdhsa_group_segment_fixed_size 7296
		.amdhsa_private_segment_fixed_size 0
		.amdhsa_kernarg_size 400
		.amdhsa_user_sgpr_count 4
		.amdhsa_user_sgpr_dispatch_ptr 1
		.amdhsa_user_sgpr_queue_ptr 0
		.amdhsa_user_sgpr_kernarg_segment_ptr 1
		.amdhsa_user_sgpr_dispatch_id 0
		.amdhsa_user_sgpr_kernarg_preload_length 0
		.amdhsa_user_sgpr_kernarg_preload_offset 0
		.amdhsa_user_sgpr_private_segment_size 0
		.amdhsa_wavefront_size32 1
		.amdhsa_uses_dynamic_stack 0
		.amdhsa_enable_private_segment 0
		.amdhsa_system_sgpr_workgroup_id_x 1
		.amdhsa_system_sgpr_workgroup_id_y 0
		.amdhsa_system_sgpr_workgroup_id_z 1
		.amdhsa_system_sgpr_workgroup_info 0
		.amdhsa_system_vgpr_workitem_id 2
		.amdhsa_next_free_vgpr 52
		.amdhsa_next_free_sgpr 62
		.amdhsa_named_barrier_count 0
		.amdhsa_reserve_vcc 1
		.amdhsa_float_round_mode_32 0
		.amdhsa_float_round_mode_16_64 0
		.amdhsa_float_denorm_mode_32 3
		.amdhsa_float_denorm_mode_16_64 3
		.amdhsa_fp16_overflow 0
		.amdhsa_memory_ordered 1
		.amdhsa_forward_progress 1
		.amdhsa_inst_pref_size 23
		.amdhsa_round_robin_scheduling 0
		.amdhsa_exception_fp_ieee_invalid_op 0
		.amdhsa_exception_fp_denorm_src 0
		.amdhsa_exception_fp_ieee_div_zero 0
		.amdhsa_exception_fp_ieee_overflow 0
		.amdhsa_exception_fp_ieee_underflow 0
		.amdhsa_exception_fp_ieee_inexact 0
		.amdhsa_exception_int_div_zero 0
	.end_amdhsa_kernel
	.section	.text._ZL58rocblas_symv_kernel_lower_double_buffered_diagonal_genericILi32ELi4E24rocblas_internal_val_ptrIfEPKfPfEvbiT1_lT2_lllS6_lllS5_lT3_lllii,"axG",@progbits,_ZL58rocblas_symv_kernel_lower_double_buffered_diagonal_genericILi32ELi4E24rocblas_internal_val_ptrIfEPKfPfEvbiT1_lT2_lllS6_lllS5_lT3_lllii,comdat
.Lfunc_end79:
	.size	_ZL58rocblas_symv_kernel_lower_double_buffered_diagonal_genericILi32ELi4E24rocblas_internal_val_ptrIfEPKfPfEvbiT1_lT2_lllS6_lllS5_lT3_lllii, .Lfunc_end79-_ZL58rocblas_symv_kernel_lower_double_buffered_diagonal_genericILi32ELi4E24rocblas_internal_val_ptrIfEPKfPfEvbiT1_lT2_lllS6_lllS5_lT3_lllii
                                        ; -- End function
	.set _ZL58rocblas_symv_kernel_lower_double_buffered_diagonal_genericILi32ELi4E24rocblas_internal_val_ptrIfEPKfPfEvbiT1_lT2_lllS6_lllS5_lT3_lllii.num_vgpr, 52
	.set _ZL58rocblas_symv_kernel_lower_double_buffered_diagonal_genericILi32ELi4E24rocblas_internal_val_ptrIfEPKfPfEvbiT1_lT2_lllS6_lllS5_lT3_lllii.num_agpr, 0
	.set _ZL58rocblas_symv_kernel_lower_double_buffered_diagonal_genericILi32ELi4E24rocblas_internal_val_ptrIfEPKfPfEvbiT1_lT2_lllS6_lllS5_lT3_lllii.numbered_sgpr, 62
	.set _ZL58rocblas_symv_kernel_lower_double_buffered_diagonal_genericILi32ELi4E24rocblas_internal_val_ptrIfEPKfPfEvbiT1_lT2_lllS6_lllS5_lT3_lllii.num_named_barrier, 0
	.set _ZL58rocblas_symv_kernel_lower_double_buffered_diagonal_genericILi32ELi4E24rocblas_internal_val_ptrIfEPKfPfEvbiT1_lT2_lllS6_lllS5_lT3_lllii.private_seg_size, 0
	.set _ZL58rocblas_symv_kernel_lower_double_buffered_diagonal_genericILi32ELi4E24rocblas_internal_val_ptrIfEPKfPfEvbiT1_lT2_lllS6_lllS5_lT3_lllii.uses_vcc, 1
	.set _ZL58rocblas_symv_kernel_lower_double_buffered_diagonal_genericILi32ELi4E24rocblas_internal_val_ptrIfEPKfPfEvbiT1_lT2_lllS6_lllS5_lT3_lllii.uses_flat_scratch, 0
	.set _ZL58rocblas_symv_kernel_lower_double_buffered_diagonal_genericILi32ELi4E24rocblas_internal_val_ptrIfEPKfPfEvbiT1_lT2_lllS6_lllS5_lT3_lllii.has_dyn_sized_stack, 0
	.set _ZL58rocblas_symv_kernel_lower_double_buffered_diagonal_genericILi32ELi4E24rocblas_internal_val_ptrIfEPKfPfEvbiT1_lT2_lllS6_lllS5_lT3_lllii.has_recursion, 0
	.set _ZL58rocblas_symv_kernel_lower_double_buffered_diagonal_genericILi32ELi4E24rocblas_internal_val_ptrIfEPKfPfEvbiT1_lT2_lllS6_lllS5_lT3_lllii.has_indirect_call, 0
	.section	.AMDGPU.csdata,"",@progbits
; Kernel info:
; codeLenInByte = 2904
; TotalNumSgprs: 64
; NumVgprs: 52
; ScratchSize: 0
; MemoryBound: 0
; FloatMode: 240
; IeeeMode: 1
; LDSByteSize: 7296 bytes/workgroup (compile time only)
; SGPRBlocks: 0
; VGPRBlocks: 3
; NumSGPRsForWavesPerEU: 64
; NumVGPRsForWavesPerEU: 52
; NamedBarCnt: 0
; Occupancy: 16
; WaveLimiterHint : 1
; COMPUTE_PGM_RSRC2:SCRATCH_EN: 0
; COMPUTE_PGM_RSRC2:USER_SGPR: 4
; COMPUTE_PGM_RSRC2:TRAP_HANDLER: 0
; COMPUTE_PGM_RSRC2:TGID_X_EN: 1
; COMPUTE_PGM_RSRC2:TGID_Y_EN: 0
; COMPUTE_PGM_RSRC2:TGID_Z_EN: 1
; COMPUTE_PGM_RSRC2:TIDIG_COMP_CNT: 2
	.section	.text._ZL62rocblas_symv_kernel_lower_double_buffered_non_diagonal_genericILi32ELi4ELi4E24rocblas_internal_val_ptrIfEPKfPfEvbiT2_lT3_lllS6_lllT4_lllii,"axG",@progbits,_ZL62rocblas_symv_kernel_lower_double_buffered_non_diagonal_genericILi32ELi4ELi4E24rocblas_internal_val_ptrIfEPKfPfEvbiT2_lT3_lllS6_lllT4_lllii,comdat
	.globl	_ZL62rocblas_symv_kernel_lower_double_buffered_non_diagonal_genericILi32ELi4ELi4E24rocblas_internal_val_ptrIfEPKfPfEvbiT2_lT3_lllS6_lllT4_lllii ; -- Begin function _ZL62rocblas_symv_kernel_lower_double_buffered_non_diagonal_genericILi32ELi4ELi4E24rocblas_internal_val_ptrIfEPKfPfEvbiT2_lT3_lllS6_lllT4_lllii
	.p2align	8
	.type	_ZL62rocblas_symv_kernel_lower_double_buffered_non_diagonal_genericILi32ELi4ELi4E24rocblas_internal_val_ptrIfEPKfPfEvbiT2_lT3_lllS6_lllT4_lllii,@function
_ZL62rocblas_symv_kernel_lower_double_buffered_non_diagonal_genericILi32ELi4ELi4E24rocblas_internal_val_ptrIfEPKfPfEvbiT2_lT3_lllS6_lllT4_lllii: ; @_ZL62rocblas_symv_kernel_lower_double_buffered_non_diagonal_genericILi32ELi4ELi4E24rocblas_internal_val_ptrIfEPKfPfEvbiT2_lT3_lllS6_lllT4_lllii
; %bb.0:
	s_load_b64 s[20:21], s[0:1], 0x4
	s_clause 0x1
	s_load_b512 s[4:19], s[2:3], 0x8
	s_load_b64 s[28:29], s[2:3], 0x78
	v_bfe_u32 v1, v0, 10, 10
	v_and_b32_e32 v2, 0x3ff, v0
	s_wait_xcnt 0x0
	s_bfe_u32 s0, ttmp6, 0x40014
	s_lshr_b32 s1, ttmp7, 16
	s_add_co_i32 s0, s0, 1
	v_bfe_u32 v0, v0, 20, 10
	s_wait_kmcnt 0x0
	v_mul_u32_u24_e32 v3, s21, v1
	s_lshr_b32 s20, s20, 16
	v_dual_mov_b32 v4, s4 :: v_dual_mov_b32 v5, s5
	s_mul_i32 s20, s20, s21
	s_mul_i32 s4, s1, s0
	v_mad_u32_u24 v3, s20, v2, v3
	s_bfe_u32 s5, ttmp6, 0x40008
	s_getreg_b32 s0, hwreg(HW_REG_IB_STS2, 6, 4)
	s_add_co_i32 s5, s5, s4
	s_cmp_eq_u32 s0, 0
	v_add_lshl_u32 v0, v3, v0, 3
	s_cselect_b32 s4, s1, s5
	s_mov_b32 s5, 0
	s_cmp_ge_u32 s4, s29
	ds_store_b64 v0, v[4:5] offset:3200
	s_cbranch_scc1 .LBB80_38
; %bb.1:
	s_clause 0x2
	s_load_b32 s1, s[2:3], 0x0
	s_load_b128 s[20:23], s[2:3], 0x60
	s_load_b64 s[36:37], s[2:3], 0x58
	v_lshl_add_u32 v10, v1, 5, v2
	s_clause 0x1
	s_load_b128 s[24:27], s[2:3], 0x48
	s_load_b64 s[30:31], s[2:3], 0x70
	v_dual_mov_b32 v3, 0 :: v_dual_add_nc_u32 v44, 0xc80, v0
	s_add_nc_u64 s[34:35], s[2:3], 0x80
	v_lshrrev_b32_e32 v0, 4, v10
	s_add_nc_u64 s[38:39], s[12:13], 1
	v_and_b32_e32 v18, 0xfff0, v10
	v_dual_mov_b32 v5, v3 :: v_dual_bitop2_b32 v4, 15, v2 bitop3:0x40
	s_delay_alu instid0(VALU_DEP_3) | instskip(NEXT) | instid1(VALU_DEP_3)
	v_dual_lshlrev_b32 v11, 2, v0 :: v_dual_lshlrev_b32 v14, 2, v2
	v_dual_mov_b32 v17, v3 :: v_dual_add_nc_u32 v46, 0xc00, v18
	s_delay_alu instid0(VALU_DEP_3) | instskip(NEXT) | instid1(VALU_DEP_3)
	v_lshlrev_b32_e32 v28, 2, v4
	v_mad_nc_u64_u32 v[6:7], s12, v11, v[4:5]
	v_or_b32_e32 v16, 16, v4
	s_wait_kmcnt 0x0
	s_bitcmp1_b32 s1, 0
	v_add_nc_u32_e32 v45, 0xc00, v14
	s_cselect_b32 s1, -1, 0
	s_bfe_u32 s33, ttmp6, 0x40010
	s_bfe_u32 s44, ttmp6, 0x4000c
	s_and_b32 s2, ttmp7, 0xffff
	s_add_co_i32 s33, s33, 1
	s_add_co_i32 s44, s44, 1
	s_bfe_u32 s42, ttmp6, 0x40004
	s_and_b32 s43, ttmp6, 15
	s_xor_b32 s3, s1, -1
	s_mul_i32 s1, s2, s33
	s_mul_i32 s33, ttmp9, s44
	s_lshl_b64 s[10:11], s[10:11], 2
	s_lshl_b64 s[40:41], s[18:19], 2
	s_lshl_b64 s[20:21], s[20:21], 2
	s_add_co_i32 s42, s42, s1
	s_add_co_i32 s43, s43, s33
	s_cmp_eq_u32 s0, 0
	s_add_nc_u64 s[0:1], s[8:9], s[10:11]
	s_cselect_b32 s33, ttmp9, s43
	s_cselect_b32 s70, s2, s42
	s_lshl_b32 s48, s33, 5
	s_add_nc_u64 s[8:9], s[16:17], s[40:41]
	s_ashr_i32 s49, s48, 31
	s_add_nc_u64 s[36:37], s[36:37], s[20:21]
	s_mul_u64 s[10:11], s[38:39], s[48:49]
	v_mad_u32 v7, s13, v11, v7
	s_lshl_b64 s[10:11], s[10:11], 2
	v_mul_u64_e32 v[10:11], s[24:25], v[4:5]
	s_add_nc_u64 s[10:11], s[0:1], s[10:11]
	s_mul_u64 s[0:1], s[24:25], s[48:49]
	v_lshlrev_b32_e32 v5, 7, v0
	s_lshl_b64 s[0:1], s[0:1], 2
	v_mul_u64_e32 v[12:13], s[24:25], v[16:17]
	s_add_nc_u64 s[20:21], s[8:9], s[0:1]
	v_cmp_eq_u32_e64 s0, 0, v1
	v_or_b32_e32 v1, 0x800, v28
	v_cmp_gt_i32_e64 s1, s28, v4
	v_add_nc_u32_e32 v4, 1, v2
	v_cmp_gt_i32_e64 s2, s28, v16
	s_delay_alu instid0(VALU_DEP_4) | instskip(SKIP_1) | instid1(VALU_DEP_4)
	v_dual_add_nc_u32 v16, 3, v2 :: v_dual_add_nc_u32 v48, v1, v5
	v_dual_lshlrev_b32 v5, 6, v2 :: v_dual_add_nc_u32 v1, 2, v2
	v_and_b32_e32 v4, 15, v4
	v_dual_lshlrev_b32 v30, 8, v0 :: v_dual_add_nc_u32 v17, 5, v2
	s_delay_alu instid0(VALU_DEP_3) | instskip(NEXT) | instid1(VALU_DEP_4)
	v_or_b32_e32 v49, v5, v28
	v_and_b32_e32 v1, 15, v1
	s_delay_alu instid0(VALU_DEP_4) | instskip(NEXT) | instid1(VALU_DEP_4)
	v_lshl_or_b32 v50, v4, 2, v5
	v_dual_add_nc_u32 v4, 4, v2 :: v_dual_bitop2_b32 v17, 15, v17 bitop3:0x40
	v_add_nc_u32_e32 v19, 7, v2
	s_delay_alu instid0(VALU_DEP_4) | instskip(SKIP_1) | instid1(VALU_DEP_4)
	v_lshl_or_b32 v51, v1, 2, v5
	v_dual_add_nc_u32 v16, 6, v2 :: v_dual_bitop2_b32 v1, 15, v16 bitop3:0x40
	v_and_b32_e32 v4, 15, v4
	v_mul_u64_e32 v[8:9], s[24:25], v[2:3]
	v_add_nc_u32_e32 v47, 0x800, v14
	s_delay_alu instid0(VALU_DEP_4)
	v_lshl_or_b32 v52, v1, 2, v5
	v_and_b32_e32 v1, 15, v16
	v_lshl_or_b32 v53, v4, 2, v5
	v_and_b32_e32 v4, 15, v19
	v_bitop3_b32 v16, v2, 8, 15 bitop3:0x6c
	v_add_nc_u32_e32 v19, 10, v2
	v_lshl_or_b32 v54, v17, 2, v5
	v_add_nc_u32_e32 v17, 9, v2
	v_lshl_or_b32 v56, v4, 2, v5
	v_lshl_or_b32 v57, v16, 2, v5
	v_dual_mov_b32 v29, v3 :: v_dual_bitop2_b32 v16, 15, v19 bitop3:0x40
	s_delay_alu instid0(VALU_DEP_4)
	v_dual_add_nc_u32 v19, 12, v2 :: v_dual_bitop2_b32 v4, 15, v17 bitop3:0x40
	v_add_nc_u32_e32 v17, 11, v2
	v_lshl_or_b32 v55, v1, 2, v5
	v_mov_b32_e32 v1, v3
	v_mul_u64_e32 v[14:15], s[22:23], v[2:3]
	v_lshl_or_b32 v58, v4, 2, v5
	v_lshl_or_b32 v59, v16, 2, v5
	v_dual_add_nc_u32 v16, 13, v2 :: v_dual_bitop2_b32 v4, 15, v17 bitop3:0x40
	v_or_b32_e32 v3, 8, v18
	v_mul_u64_e32 v[0:1], s[12:13], v[0:1]
	s_mul_u64 s[38:39], s[22:23], s[48:49]
	v_dual_add_nc_u32 v19, 14, v2 :: v_dual_bitop2_b32 v22, 15, v19 bitop3:0x40
	v_and_b32_e32 v23, 15, v16
	v_mad_nc_u64_u32 v[16:17], s12, v3, v[28:29]
	v_or_b32_e32 v25, 4, v18
	s_lshl_b64 s[48:49], s[48:49], 2
	v_or_b32_e32 v24, 12, v18
	v_dual_add_nc_u32 v65, v28, v30 :: v_dual_bitop2_b32 v26, 15, v19 bitop3:0x40
	s_delay_alu instid0(VALU_DEP_3)
	v_mad_nc_u64_u32 v[20:21], s12, v25, v[28:29]
	v_cmp_gt_i32_e32 vcc_lo, s28, v2
	v_add_nc_u32_e32 v2, -1, v2
	v_lshl_or_b32 v60, v4, 2, v5
	v_lshl_or_b32 v61, v22, 2, v5
	v_mad_u32 v17, s13, v3, v17
	v_mov_b32_e32 v3, s49
	v_mad_nc_u64_u32 v[18:19], s12, v24, v[28:29]
	v_and_b32_e32 v4, 15, v2
	v_or_b32_e32 v2, s48, v28
	v_lshl_or_b32 v62, v23, 2, v5
	v_mad_u32 v21, s13, v25, v21
	v_lshl_or_b32 v63, v26, 2, v5
	v_lshl_or_b32 v64, v4, 2, v5
	v_add_nc_u64_e32 v[22:23], 0xc0, v[2:3]
	s_lshl_b64 s[38:39], s[38:39], 2
	s_lshl_b64 s[54:55], s[12:13], 2
	s_not_b32 s71, s33
	v_mad_u32 v19, s13, v24, v19
	v_add_nc_u64_e32 v[24:25], 0x100, v[2:3]
	s_lshl_b32 s72, s70, 5
	v_lshl_add_u64 v[26:27], v[0:1], 4, v[28:29]
	s_add_nc_u64 s[36:37], s[36:37], s[38:39]
	s_lshl_b64 s[38:39], s[24:25], 5
	s_lshl_b64 s[40:41], s[12:13], 3
	s_mul_u64 s[42:43], s[12:13], 12
	s_lshl_b64 s[44:45], s[22:23], 7
	s_mul_u64 s[46:47], s[12:13], 3
	s_and_b32 s28, s0, vcc_lo
	s_lshl_b64 s[50:51], s[24:25], 7
	s_lshl_b64 s[52:53], s[26:27], 2
	s_sub_nc_u64 s[54:55], 0, s[54:55]
	s_branch .LBB80_3
.LBB80_2:                               ;   in Loop: Header=BB80_3 Depth=1
	s_wait_xcnt 0x0
	s_or_b32 exec_lo, exec_lo, s73
	s_add_co_i32 s4, s4, 0x10000
	s_delay_alu instid0(SALU_CYCLE_1)
	s_cmp_lt_u32 s4, s29
	s_cbranch_scc0 .LBB80_38
.LBB80_3:                               ; =>This Loop Header: Depth=1
                                        ;     Child Loop BB80_19 Depth 2
	s_and_b32 vcc_lo, exec_lo, s3
	s_mov_b32 s56, -1
                                        ; implicit-def: $vgpr66
	s_cbranch_vccz .LBB80_5
; %bb.4:                                ;   in Loop: Header=BB80_3 Depth=1
	ds_load_b64 v[0:1], v44
	s_mul_u64 s[56:57], s[6:7], s[4:5]
	s_wait_dscnt 0x0
	v_lshl_add_u64 v[0:1], s[56:57], 2, v[0:1]
	s_mov_b32 s56, 0
	flat_load_b32 v66, v[0:1]
.LBB80_5:                               ;   in Loop: Header=BB80_3 Depth=1
	s_and_not1_b32 vcc_lo, exec_lo, s56
	s_cbranch_vccnz .LBB80_7
; %bb.6:                                ;   in Loop: Header=BB80_3 Depth=1
	s_wait_loadcnt_dscnt 0x0
	ds_load_b32 v66, v44
.LBB80_7:                               ;   in Loop: Header=BB80_3 Depth=1
	s_mov_b32 s73, exec_lo
	s_wait_loadcnt_dscnt 0x0
	s_wait_xcnt 0x0
	v_cmpx_neq_f32_e32 0, v66
	s_cbranch_execz .LBB80_2
; %bb.8:                                ;   in Loop: Header=BB80_3 Depth=1
	s_load_b64 s[56:57], s[34:35], 0x0
	s_wait_kmcnt 0x0
	s_add_co_i32 s58, s56, -1
	s_delay_alu instid0(SALU_CYCLE_1)
	s_cmp_eq_u32 s33, s58
	s_cbranch_scc1 .LBB80_2
; %bb.9:                                ;   in Loop: Header=BB80_3 Depth=1
	s_mul_u64 s[62:63], s[26:27], s[4:5]
	s_delay_alu instid0(SALU_CYCLE_1) | instskip(NEXT) | instid1(SALU_CYCLE_1)
	s_lshl_b64 s[60:61], s[62:63], 2
	s_add_nc_u64 s[60:61], s[20:21], s[60:61]
	s_and_saveexec_b32 s59, s0
	s_cbranch_execz .LBB80_11
; %bb.10:                               ;   in Loop: Header=BB80_3 Depth=1
	v_lshl_add_u64 v[0:1], v[8:9], 2, s[60:61]
	global_load_b32 v0, v[0:1], off
	s_wait_loadcnt 0x0
	ds_store_b32 v45, v0
.LBB80_11:                              ;   in Loop: Header=BB80_3 Depth=1
	s_wait_xcnt 0x0
	s_or_b32 exec_lo, exec_lo, s59
	s_cvt_f32_u32 s59, s57
	s_delay_alu instid0(SALU_CYCLE_3) | instskip(SKIP_1) | instid1(TRANS32_DEP_1)
	v_rcp_iflag_f32_e32 v0, s59
	v_nop
	v_readfirstlane_b32 s59, v0
	s_mul_f32 s59, s59, 0x4f7ffffe
	s_delay_alu instid0(SALU_CYCLE_3) | instskip(SKIP_1) | instid1(SALU_CYCLE_2)
	s_cvt_u32_f32 s64, s59
	s_sub_co_i32 s59, 0, s57
	s_mul_i32 s59, s59, s64
	s_delay_alu instid0(SALU_CYCLE_1) | instskip(SKIP_2) | instid1(SALU_CYCLE_1)
	s_mul_hi_u32 s65, s64, s59
	s_add_co_i32 s59, s58, s71
	s_add_co_i32 s64, s64, s65
	s_mul_hi_u32 s58, s59, s64
	s_delay_alu instid0(SALU_CYCLE_1) | instskip(SKIP_2) | instid1(SALU_CYCLE_1)
	s_mul_i32 s64, s58, s57
	s_add_co_i32 s65, s58, 1
	s_sub_co_i32 s64, s59, s64
	s_sub_co_i32 s66, s64, s57
	s_cmp_ge_u32 s64, s57
	s_cselect_b32 s58, s65, s58
	s_cselect_b32 s64, s66, s64
	s_add_co_i32 s65, s58, 1
	s_cmp_ge_u32 s64, s57
	s_cselect_b32 s58, s65, s58
	s_add_co_i32 s64, s57, -1
	s_mov_b32 s75, s58
	s_cmp_eq_u32 s70, s64
	s_cselect_b32 s74, -1, 0
	s_cmp_lg_u32 s70, s64
	s_cbranch_scc1 .LBB80_13
; %bb.12:                               ;   in Loop: Header=BB80_3 Depth=1
	s_mul_i32 s57, s58, s57
	s_delay_alu instid0(SALU_CYCLE_1) | instskip(NEXT) | instid1(SALU_CYCLE_1)
	s_sub_co_i32 s57, s59, s57
	s_add_co_i32 s75, s57, s58
.LBB80_13:                              ;   in Loop: Header=BB80_3 Depth=1
	s_cmp_lg_u32 s70, s64
	s_cselect_b32 s57, -1, 0
	s_cmp_eq_u32 s75, 0
	s_cselect_b32 s59, -1, 0
	s_delay_alu instid0(SALU_CYCLE_1) | instskip(NEXT) | instid1(SALU_CYCLE_1)
	s_and_b32 s57, s57, s59
	s_and_b32 vcc_lo, exec_lo, s57
	s_cbranch_vccnz .LBB80_2
; %bb.14:                               ;   in Loop: Header=BB80_3 Depth=1
	s_mul_i32 s64, s72, s58
	s_mul_u64 s[66:67], s[14:15], s[4:5]
	s_ashr_i32 s65, s64, 31
	s_lshl_b64 s[58:59], s[66:67], 2
	s_mul_u64 s[68:69], s[24:25], s[64:65]
	v_dual_mov_b32 v3, 0 :: v_dual_mov_b32 v28, 0
	v_dual_mov_b32 v0, 0 :: v_dual_mov_b32 v1, 0
	;; [unrolled: 1-line block ×3, first 2 shown]
	s_add_nc_u64 s[58:59], s[10:11], s[58:59]
	s_lshl_b64 s[66:67], s[64:65], 2
	s_lshl_b64 s[68:69], s[68:69], 2
	s_add_co_i32 s56, s56, -2
	s_add_nc_u64 s[58:59], s[58:59], s[66:67]
	s_add_nc_u64 s[60:61], s[60:61], s[68:69]
	s_cmp_ge_u32 s33, s56
	s_wait_dscnt 0x0
	s_barrier_signal -1
	s_barrier_wait -1
	s_cbranch_scc1 .LBB80_16
; %bb.15:                               ;   in Loop: Header=BB80_3 Depth=1
	v_lshl_add_u64 v[0:1], v[6:7], 2, s[58:59]
	s_lshl_b64 s[56:57], s[38:39], 2
	s_delay_alu instid0(SALU_CYCLE_1) | instskip(NEXT) | instid1(SALU_CYCLE_1)
	s_add_nc_u64 s[56:57], s[60:61], s[56:57]
	v_lshl_add_u64 v[32:33], v[10:11], 2, s[56:57]
	s_delay_alu instid0(VALU_DEP_2)
	v_add_nc_u64_e32 v[28:29], s[40:41], v[0:1]
	v_lshl_add_u64 v[4:5], s[12:13], 2, v[0:1]
	v_add_nc_u64_e32 v[30:31], s[42:43], v[0:1]
	s_clause 0x3
	global_load_b32 v0, v[0:1], off offset:128
	global_load_b32 v1, v[4:5], off offset:128
	;; [unrolled: 1-line block ×4, first 2 shown]
	global_load_b32 v28, v[32:33], off
.LBB80_16:                              ;   in Loop: Header=BB80_3 Depth=1
	s_mul_u64 s[56:57], s[30:31], s[4:5]
	s_mul_u64 s[64:65], s[22:23], s[64:65]
	s_lshl_b64 s[56:57], s[56:57], 2
	s_lshl_b64 s[64:65], s[64:65], 2
	s_add_nc_u64 s[56:57], s[36:37], s[56:57]
	s_cmp_lt_i32 s75, 1
	s_add_nc_u64 s[68:69], s[56:57], s[64:65]
	s_cbranch_scc1 .LBB80_23
; %bb.17:                               ;   in Loop: Header=BB80_3 Depth=1
	s_cmp_eq_u32 s75, 1
	s_cbranch_scc1 .LBB80_24
; %bb.18:                               ;   in Loop: Header=BB80_3 Depth=1
	v_add_nc_u64_e32 v[2:3], s[66:67], v[22:23]
	v_add_nc_u64_e32 v[4:5], s[66:67], v[24:25]
	s_wait_xcnt 0x0
	v_mov_b32_e32 v32, 0
	v_mov_b64_e32 v[30:31], s[68:69]
	s_add_nc_u64 s[60:61], s[18:19], s[62:63]
	s_mul_u64 s[62:63], s[52:53], s[4:5]
	s_lshl_b64 s[60:61], s[60:61], 2
	v_mul_u64_e32 v[38:39], s[24:25], v[2:3]
	v_mul_u64_e32 v[40:41], s[24:25], v[4:5]
	v_dual_mov_b32 v33, v32 :: v_dual_mov_b32 v34, v32
	v_mov_b32_e32 v35, v32
	s_add_nc_u64 s[64:65], s[8:9], s[62:63]
	s_add_nc_u64 s[62:63], s[48:49], s[66:67]
	;; [unrolled: 1-line block ×3, first 2 shown]
	s_add_co_i32 s66, s75, -1
	s_mul_u64 s[62:63], s[24:25], s[62:63]
.LBB80_19:                              ;   Parent Loop BB80_3 Depth=1
                                        ; =>  This Inner Loop Header: Depth=2
	v_add_nc_u64_e32 v[72:73], s[58:59], v[26:27]
	v_add_nc_u64_e32 v[2:3], s[58:59], v[20:21]
	;; [unrolled: 1-line block ×6, first 2 shown]
	s_clause 0x3
	global_load_b32 v42, v[72:73], off offset:192
	global_load_b32 v43, v[2:3], off offset:192
	global_load_b32 v37, v[74:75], off offset:192
	global_load_b32 v70, v[68:69], off offset:192
	global_load_b32 v4, v[4:5], off
	s_clause 0x3
	global_load_b32 v5, v[74:75], off offset:256
	global_load_b32 v68, v[68:69], off offset:256
	;; [unrolled: 1-line block ×4, first 2 shown]
	global_load_b32 v69, v[76:77], off
	s_wait_xcnt 0x1
	ds_load_b128 v[72:75], v46
	s_wait_loadcnt_dscnt 0x0
	s_barrier_signal -1
	s_barrier_wait -1
	v_fma_f32 v29, v0, v72, 0
	v_fma_f32 v71, v42, v72, 0
	s_delay_alu instid0(VALU_DEP_1) | instskip(NEXT) | instid1(VALU_DEP_1)
	v_dual_fmac_f32 v29, v1, v73 :: v_dual_fmac_f32 v71, v43, v73
	v_dual_fmac_f32 v29, v67, v74 :: v_dual_fmac_f32 v71, v70, v74
	s_delay_alu instid0(VALU_DEP_1)
	v_dual_fmac_f32 v29, v36, v75 :: v_dual_fmac_f32 v71, v37, v75
	ds_store_2addr_b32 v48, v29, v71 offset1:16
	s_wait_dscnt 0x0
	s_barrier_signal -1
	s_barrier_wait -1
	s_wait_xcnt 0x0
	s_and_saveexec_b32 s67, s0
	s_cbranch_execz .LBB80_21
; %bb.20:                               ;   in Loop: Header=BB80_19 Depth=2
	ds_load_2addr_b32 v[72:73], v47 offset1:32
	ds_load_2addr_b32 v[74:75], v47 offset0:64 offset1:96
	ds_load_2addr_b32 v[76:77], v47 offset0:128 offset1:160
	v_add_nc_u64_e32 v[30:31], s[44:45], v[30:31]
	s_wait_dscnt 0x2
	v_add_f32_e32 v29, 0, v72
	s_delay_alu instid0(VALU_DEP_1) | instskip(SKIP_3) | instid1(VALU_DEP_1)
	v_add_f32_e32 v29, v29, v73
	ds_load_2addr_b32 v[72:73], v47 offset0:192 offset1:224
	s_wait_dscnt 0x2
	v_add_f32_e32 v29, v29, v74
	v_add_f32_e32 v29, v29, v75
	s_wait_dscnt 0x1
	s_delay_alu instid0(VALU_DEP_1) | instskip(NEXT) | instid1(VALU_DEP_1)
	v_add_f32_e32 v29, v29, v76
	v_add_f32_e32 v29, v29, v77
	s_wait_dscnt 0x0
	s_delay_alu instid0(VALU_DEP_1) | instskip(NEXT) | instid1(VALU_DEP_1)
	v_add_f32_e32 v29, v29, v72
	v_add_f32_e32 v29, v29, v73
	v_lshl_add_u64 v[72:73], v[14:15], 2, v[30:31]
	s_delay_alu instid0(VALU_DEP_2)
	v_mul_f32_e32 v29, v66, v29
	global_atomic_add_f32 v[72:73], v29, off scope:SCOPE_DEV
.LBB80_21:                              ;   in Loop: Header=BB80_19 Depth=2
	s_wait_xcnt 0x0
	s_or_b32 exec_lo, exec_lo, s67
	v_mov_b32_e32 v29, v4
	v_mul_f32_e32 v72, v28, v67
	s_add_co_i32 s66, s66, -1
	s_add_nc_u64 s[58:59], s[58:59], 0x80
	s_add_nc_u64 s[60:61], s[60:61], s[50:51]
	v_pk_mul_f32 v[36:37], v[28:29], v[36:37]
	s_cmp_eq_u32 s66, 0
	s_add_nc_u64 s[64:65], s[64:65], s[50:51]
	s_delay_alu instid0(VALU_DEP_1) | instskip(SKIP_2) | instid1(VALU_DEP_3)
	v_mov_b32_e32 v73, v36
	v_mul_f32_e32 v36, v4, v70
	v_pk_fma_f32 v[0:1], v[28:29], v[0:1], v[32:33] op_sel_hi:[0,1,1]
	v_pk_add_f32 v[28:29], v[34:35], v[72:73]
	s_delay_alu instid0(VALU_DEP_2) | instskip(NEXT) | instid1(VALU_DEP_2)
	v_pk_fma_f32 v[32:33], v[4:5], v[42:43], v[0:1] op_sel_hi:[0,1,1]
	v_pk_add_f32 v[34:35], v[28:29], v[36:37]
	s_cbranch_scc1 .LBB80_25
; %bb.22:                               ;   in Loop: Header=BB80_19 Depth=2
	v_dual_mov_b32 v28, v69 :: v_dual_mov_b32 v0, v2
	v_dual_mov_b32 v1, v3 :: v_dual_mov_b32 v67, v68
	v_mov_b32_e32 v36, v5
	s_branch .LBB80_19
.LBB80_23:                              ;   in Loop: Header=BB80_3 Depth=1
	s_wait_xcnt 0x1
	v_mov_b64_e32 v[30:31], s[68:69]
	s_wait_loadcnt 0x3
	v_dual_mov_b32 v2, 0 :: v_dual_mov_b32 v1, 0
	v_dual_mov_b32 v0, 0 :: v_dual_mov_b32 v4, 0
	s_and_b32 vcc_lo, exec_lo, s74
	s_cbranch_vccnz .LBB80_29
	s_branch .LBB80_36
.LBB80_24:                              ;   in Loop: Header=BB80_3 Depth=1
	s_wait_loadcnt 0x1
	v_dual_mov_b32 v35, 0 :: v_dual_mov_b32 v3, v36
	s_wait_xcnt 0x1
	v_mov_b64_e32 v[30:31], s[68:69]
	s_wait_xcnt 0x0
	s_delay_alu instid0(VALU_DEP_2)
	v_dual_mov_b32 v34, v35 :: v_dual_mov_b32 v33, v35
	v_mov_b64_e32 v[4:5], v[2:3]
	v_mov_b64_e32 v[2:3], v[0:1]
	v_mov_b32_e32 v32, v35
	s_branch .LBB80_26
.LBB80_25:                              ;   in Loop: Header=BB80_3 Depth=1
	v_dual_mov_b32 v36, v5 :: v_dual_mov_b32 v67, v68
	v_dual_mov_b32 v1, v3 :: v_dual_mov_b32 v0, v2
	v_mov_b32_e32 v28, v69
	s_add_nc_u64 s[60:61], s[60:61], s[62:63]
.LBB80_26:                              ;   in Loop: Header=BB80_3 Depth=1
	v_lshl_add_u64 v[42:43], v[6:7], 2, s[58:59]
	s_lshl_b64 s[62:63], s[38:39], 2
	s_delay_alu instid0(SALU_CYCLE_1) | instskip(NEXT) | instid1(VALU_DEP_1)
	s_add_nc_u64 s[60:61], s[60:61], s[62:63]
	v_lshl_add_u64 v[68:69], s[46:47], 2, v[42:43]
	s_delay_alu instid0(VALU_DEP_1) | instskip(NEXT) | instid1(VALU_DEP_1)
	v_add_nc_u64_e32 v[38:39], s[54:55], v[68:69]
	v_add_nc_u64_e32 v[70:71], s[54:55], v[38:39]
	s_clause 0x3
	global_load_b32 v40, v[38:39], off offset:192
	global_load_b32 v39, v[70:71], off offset:192
	;; [unrolled: 1-line block ×4, first 2 shown]
	s_wait_xcnt 0x1
	v_lshl_add_u64 v[42:43], v[12:13], 2, s[60:61]
	s_wait_xcnt 0x0
	ds_load_b128 v[68:71], v46
	global_load_b32 v4, v[42:43], off
	s_wait_storecnt 0x0
	s_wait_loadcnt_dscnt 0x0
	s_barrier_signal -1
	s_barrier_wait -1
	v_fma_f32 v0, v0, v68, 0
	v_fma_f32 v29, v38, v68, 0
	s_delay_alu instid0(VALU_DEP_1) | instskip(NEXT) | instid1(VALU_DEP_1)
	v_dual_fmac_f32 v0, v1, v69 :: v_dual_fmac_f32 v29, v39, v69
	v_dual_fmac_f32 v0, v67, v70 :: v_dual_fmac_f32 v29, v40, v70
	s_delay_alu instid0(VALU_DEP_1)
	v_dual_fmac_f32 v0, v36, v71 :: v_dual_fmac_f32 v29, v37, v71
	ds_store_2addr_b32 v48, v0, v29 offset1:16
	s_wait_dscnt 0x0
	s_barrier_signal -1
	s_barrier_wait -1
	s_and_saveexec_b32 s62, s0
	s_cbranch_execz .LBB80_28
; %bb.27:                               ;   in Loop: Header=BB80_3 Depth=1
	ds_load_2addr_b32 v[0:1], v47 offset1:32
	ds_load_2addr_b32 v[42:43], v47 offset0:64 offset1:96
	ds_load_2addr_b32 v[68:69], v47 offset0:128 offset1:160
	v_add_nc_u64_e32 v[30:31], s[44:45], v[30:31]
	s_wait_dscnt 0x2
	v_add_f32_e32 v0, 0, v0
	s_delay_alu instid0(VALU_DEP_1) | instskip(SKIP_1) | instid1(VALU_DEP_1)
	v_add_f32_e32 v0, v0, v1
	s_wait_dscnt 0x1
	v_add_f32_e32 v29, v0, v42
	ds_load_2addr_b32 v[0:1], v47 offset0:192 offset1:224
	v_add_f32_e32 v29, v29, v43
	s_wait_dscnt 0x1
	s_delay_alu instid0(VALU_DEP_1) | instskip(NEXT) | instid1(VALU_DEP_1)
	v_add_f32_e32 v29, v29, v68
	v_add_f32_e32 v29, v29, v69
	s_wait_dscnt 0x0
	s_delay_alu instid0(VALU_DEP_1) | instskip(NEXT) | instid1(VALU_DEP_1)
	v_add_f32_e32 v0, v29, v0
	v_add_f32_e32 v29, v0, v1
	v_lshl_add_u64 v[0:1], v[14:15], 2, v[30:31]
	s_delay_alu instid0(VALU_DEP_2)
	v_mul_f32_e32 v29, v66, v29
	global_atomic_add_f32 v[0:1], v29, off scope:SCOPE_DEV
.LBB80_28:                              ;   in Loop: Header=BB80_3 Depth=1
	s_wait_xcnt 0x0
	s_or_b32 exec_lo, exec_lo, s62
	v_dual_mov_b32 v29, v4 :: v_dual_mov_b32 v36, v5
	s_add_nc_u64 s[58:59], s[58:59], 0x80
	s_delay_alu instid0(VALU_DEP_1) | instskip(NEXT) | instid1(VALU_DEP_2)
	v_pk_fma_f32 v[32:33], v[28:29], v[2:3], v[32:33] op_sel_hi:[0,1,1]
	v_pk_mul_f32 v[0:1], v[28:29], v[36:37]
	v_mul_f32_e32 v36, v28, v67
	s_delay_alu instid0(VALU_DEP_2) | instskip(SKIP_1) | instid1(VALU_DEP_2)
	v_mov_b32_e32 v37, v0
	v_mul_f32_e32 v0, v4, v40
	v_pk_add_f32 v[34:35], v[34:35], v[36:37]
	s_delay_alu instid0(VALU_DEP_1)
	v_pk_add_f32 v[2:3], v[34:35], v[0:1]
	v_pk_fma_f32 v[0:1], v[4:5], v[38:39], v[32:33] op_sel_hi:[0,1,1]
	s_and_b32 vcc_lo, exec_lo, s74
	s_cbranch_vccz .LBB80_36
.LBB80_29:                              ;   in Loop: Header=BB80_3 Depth=1
	s_wait_loadcnt 0x1
	s_wait_xcnt 0x0
	v_dual_mov_b32 v32, 0 :: v_dual_mov_b32 v36, 0
	v_dual_mov_b32 v37, 0 :: v_dual_mov_b32 v5, 0
	v_mov_b32_e32 v34, 0
	s_lshl_b64 s[62:63], s[38:39], 2
	s_delay_alu instid0(SALU_CYCLE_1)
	s_add_nc_u64 s[60:61], s[60:61], s[62:63]
	s_and_saveexec_b32 s62, s1
	s_cbranch_execz .LBB80_31
; %bb.30:                               ;   in Loop: Header=BB80_3 Depth=1
	s_wait_loadcnt 0x0
	v_lshl_add_u64 v[28:29], v[6:7], 2, s[58:59]
	v_lshl_add_u64 v[42:43], v[10:11], 2, s[60:61]
	s_delay_alu instid0(VALU_DEP_2)
	v_add_nc_u64_e32 v[34:35], s[40:41], v[28:29]
	v_add_nc_u64_e32 v[38:39], s[42:43], v[28:29]
	v_lshl_add_u64 v[40:41], s[12:13], 2, v[28:29]
	s_clause 0x3
	global_load_b32 v36, v[28:29], off offset:128
	global_load_b32 v37, v[40:41], off offset:128
	;; [unrolled: 1-line block ×4, first 2 shown]
	global_load_b32 v28, v[42:43], off
.LBB80_31:                              ;   in Loop: Header=BB80_3 Depth=1
	s_wait_xcnt 0x0
	s_or_b32 exec_lo, exec_lo, s62
	v_dual_mov_b32 v33, 0 :: v_dual_mov_b32 v38, 0
	v_mov_b32_e32 v35, 0
	s_and_saveexec_b32 s62, s2
	s_cbranch_execz .LBB80_33
; %bb.32:                               ;   in Loop: Header=BB80_3 Depth=1
	v_lshl_add_u64 v[32:33], v[6:7], 2, s[58:59]
	v_lshl_add_u64 v[68:69], v[12:13], 2, s[60:61]
	s_delay_alu instid0(VALU_DEP_2)
	v_add_nc_u64_e32 v[38:39], s[40:41], v[32:33]
	v_add_nc_u64_e32 v[40:41], s[42:43], v[32:33]
	v_lshl_add_u64 v[42:43], s[12:13], 2, v[32:33]
	s_clause 0x3
	global_load_b32 v32, v[32:33], off offset:192
	global_load_b32 v33, v[42:43], off offset:192
	;; [unrolled: 1-line block ×4, first 2 shown]
	global_load_b32 v4, v[68:69], off
.LBB80_33:                              ;   in Loop: Header=BB80_3 Depth=1
	s_wait_xcnt 0x0
	s_or_b32 exec_lo, exec_lo, s62
	ds_load_b128 v[40:43], v46
	s_wait_storecnt 0x0
	s_wait_loadcnt_dscnt 0x0
	s_barrier_signal -1
	s_barrier_wait -1
	v_fma_f32 v39, v36, v40, 0
	v_fma_f32 v29, v32, v40, 0
	s_delay_alu instid0(VALU_DEP_2) | instskip(NEXT) | instid1(VALU_DEP_1)
	v_fmac_f32_e32 v39, v37, v41
	v_fmac_f32_e32 v39, v5, v42
	s_delay_alu instid0(VALU_DEP_1) | instskip(NEXT) | instid1(VALU_DEP_1)
	v_dual_fmac_f32 v29, v33, v41 :: v_dual_fmac_f32 v39, v34, v43
	v_fmac_f32_e32 v29, v38, v42
	s_delay_alu instid0(VALU_DEP_1)
	v_fmac_f32_e32 v29, v35, v43
	ds_store_2addr_b32 v48, v39, v29 offset1:16
	s_wait_dscnt 0x0
	s_barrier_signal -1
	s_barrier_wait -1
	s_and_saveexec_b32 s58, s28
	s_cbranch_execz .LBB80_35
; %bb.34:                               ;   in Loop: Header=BB80_3 Depth=1
	ds_load_2addr_b32 v[40:41], v47 offset1:32
	ds_load_2addr_b32 v[42:43], v47 offset0:64 offset1:96
	ds_load_2addr_b32 v[68:69], v47 offset0:128 offset1:160
	v_add_nc_u64_e32 v[30:31], s[44:45], v[30:31]
	s_delay_alu instid0(VALU_DEP_1) | instskip(SKIP_2) | instid1(VALU_DEP_1)
	v_lshl_add_u64 v[30:31], v[14:15], 2, v[30:31]
	s_wait_dscnt 0x2
	v_add_f32_e32 v29, 0, v40
	v_add_f32_e32 v29, v29, v41
	ds_load_2addr_b32 v[40:41], v47 offset0:192 offset1:224
	s_wait_dscnt 0x2
	v_add_f32_e32 v29, v29, v42
	s_delay_alu instid0(VALU_DEP_1) | instskip(SKIP_1) | instid1(VALU_DEP_1)
	v_add_f32_e32 v29, v29, v43
	s_wait_dscnt 0x1
	v_add_f32_e32 v29, v29, v68
	s_delay_alu instid0(VALU_DEP_1) | instskip(SKIP_1) | instid1(VALU_DEP_1)
	v_add_f32_e32 v29, v29, v69
	s_wait_dscnt 0x0
	v_add_f32_e32 v29, v29, v40
	s_delay_alu instid0(VALU_DEP_1) | instskip(NEXT) | instid1(VALU_DEP_1)
	v_add_f32_e32 v29, v29, v41
	v_mul_f32_e32 v29, v66, v29
	global_atomic_add_f32 v[30:31], v29, off scope:SCOPE_DEV
.LBB80_35:                              ;   in Loop: Header=BB80_3 Depth=1
	s_wait_xcnt 0x0
	s_or_b32 exec_lo, exec_lo, s58
	v_pk_fma_f32 v[0:1], v[28:29], v[36:37], v[0:1] op_sel_hi:[0,1,1]
	v_mov_b32_e32 v29, v4
	s_delay_alu instid0(VALU_DEP_2) | instskip(NEXT) | instid1(VALU_DEP_2)
	v_pk_fma_f32 v[0:1], v[4:5], v[32:33], v[0:1] op_sel_hi:[0,1,1]
	v_pk_mul_f32 v[30:31], v[28:29], v[34:35]
	s_delay_alu instid0(VALU_DEP_1) | instskip(SKIP_1) | instid1(VALU_DEP_2)
	v_dual_mul_f32 v28, v28, v5 :: v_dual_mov_b32 v29, v30
	v_mul_f32_e32 v30, v4, v38
	v_pk_add_f32 v[2:3], v[2:3], v[28:29]
	s_delay_alu instid0(VALU_DEP_1)
	v_pk_add_f32 v[2:3], v[2:3], v[30:31]
.LBB80_36:                              ;   in Loop: Header=BB80_3 Depth=1
	ds_store_2addr_b32 v65, v0, v1 offset1:16
	ds_store_2addr_b32 v65, v2, v3 offset0:32 offset1:48
	s_wait_storecnt 0x0
	s_wait_loadcnt_dscnt 0x0
	s_barrier_signal -1
	s_barrier_wait -1
	s_and_b32 exec_lo, exec_lo, s0
	s_cbranch_execz .LBB80_2
; %bb.37:                               ;   in Loop: Header=BB80_3 Depth=1
	ds_load_b32 v0, v49
	ds_load_b32 v1, v50
	;; [unrolled: 1-line block ×8, first 2 shown]
	s_wait_dscnt 0x7
	v_add_f32_e32 v0, 0, v0
	s_wait_dscnt 0x6
	s_delay_alu instid0(VALU_DEP_1)
	v_add_f32_e32 v0, v0, v1
	ds_load_b32 v1, v57
	s_wait_dscnt 0x6
	v_add_f32_e32 v0, v0, v2
	ds_load_b32 v2, v58
	s_wait_dscnt 0x6
	;; [unrolled: 3-line block ×3, first 2 shown]
	v_add_f32_e32 v0, v0, v4
	s_wait_dscnt 0x5
	s_delay_alu instid0(VALU_DEP_1) | instskip(SKIP_1) | instid1(VALU_DEP_1)
	v_add_f32_e32 v0, v0, v5
	s_wait_dscnt 0x4
	v_add_f32_e32 v0, v0, v28
	s_wait_dscnt 0x3
	s_delay_alu instid0(VALU_DEP_1)
	v_add_f32_e32 v0, v0, v29
	ds_load_b32 v4, v60
	ds_load_b32 v5, v61
	;; [unrolled: 1-line block ×5, first 2 shown]
	s_wait_dscnt 0x7
	v_add_f32_e32 v0, v0, v1
	s_wait_dscnt 0x6
	s_delay_alu instid0(VALU_DEP_1) | instskip(SKIP_1) | instid1(VALU_DEP_1)
	v_add_f32_e32 v0, v0, v2
	s_wait_dscnt 0x5
	v_add_f32_e32 v0, v0, v3
	s_wait_dscnt 0x4
	s_delay_alu instid0(VALU_DEP_1) | instskip(SKIP_1) | instid1(VALU_DEP_1)
	v_add_f32_e32 v0, v0, v4
	;; [unrolled: 5-line block ×3, first 2 shown]
	s_wait_dscnt 0x1
	v_add_f32_e32 v0, v0, v29
	s_wait_dscnt 0x0
	s_delay_alu instid0(VALU_DEP_1) | instskip(SKIP_1) | instid1(VALU_DEP_2)
	v_add_f32_e32 v2, v0, v30
	v_lshl_add_u64 v[0:1], v[14:15], 2, s[56:57]
	v_mul_f32_e32 v2, v66, v2
	global_atomic_add_f32 v[0:1], v2, off scope:SCOPE_DEV
	s_branch .LBB80_2
.LBB80_38:
	s_sendmsg sendmsg(MSG_DEALLOC_VGPRS)
	s_endpgm
	.section	.rodata,"a",@progbits
	.p2align	6, 0x0
	.amdhsa_kernel _ZL62rocblas_symv_kernel_lower_double_buffered_non_diagonal_genericILi32ELi4ELi4E24rocblas_internal_val_ptrIfEPKfPfEvbiT2_lT3_lllS6_lllT4_lllii
		.amdhsa_group_segment_fixed_size 4224
		.amdhsa_private_segment_fixed_size 0
		.amdhsa_kernarg_size 384
		.amdhsa_user_sgpr_count 4
		.amdhsa_user_sgpr_dispatch_ptr 1
		.amdhsa_user_sgpr_queue_ptr 0
		.amdhsa_user_sgpr_kernarg_segment_ptr 1
		.amdhsa_user_sgpr_dispatch_id 0
		.amdhsa_user_sgpr_kernarg_preload_length 0
		.amdhsa_user_sgpr_kernarg_preload_offset 0
		.amdhsa_user_sgpr_private_segment_size 0
		.amdhsa_wavefront_size32 1
		.amdhsa_uses_dynamic_stack 0
		.amdhsa_enable_private_segment 0
		.amdhsa_system_sgpr_workgroup_id_x 1
		.amdhsa_system_sgpr_workgroup_id_y 1
		.amdhsa_system_sgpr_workgroup_id_z 1
		.amdhsa_system_sgpr_workgroup_info 0
		.amdhsa_system_vgpr_workitem_id 2
		.amdhsa_next_free_vgpr 78
		.amdhsa_next_free_sgpr 76
		.amdhsa_named_barrier_count 0
		.amdhsa_reserve_vcc 1
		.amdhsa_float_round_mode_32 0
		.amdhsa_float_round_mode_16_64 0
		.amdhsa_float_denorm_mode_32 3
		.amdhsa_float_denorm_mode_16_64 3
		.amdhsa_fp16_overflow 0
		.amdhsa_memory_ordered 1
		.amdhsa_forward_progress 1
		.amdhsa_inst_pref_size 30
		.amdhsa_round_robin_scheduling 0
		.amdhsa_exception_fp_ieee_invalid_op 0
		.amdhsa_exception_fp_denorm_src 0
		.amdhsa_exception_fp_ieee_div_zero 0
		.amdhsa_exception_fp_ieee_overflow 0
		.amdhsa_exception_fp_ieee_underflow 0
		.amdhsa_exception_fp_ieee_inexact 0
		.amdhsa_exception_int_div_zero 0
	.end_amdhsa_kernel
	.section	.text._ZL62rocblas_symv_kernel_lower_double_buffered_non_diagonal_genericILi32ELi4ELi4E24rocblas_internal_val_ptrIfEPKfPfEvbiT2_lT3_lllS6_lllT4_lllii,"axG",@progbits,_ZL62rocblas_symv_kernel_lower_double_buffered_non_diagonal_genericILi32ELi4ELi4E24rocblas_internal_val_ptrIfEPKfPfEvbiT2_lT3_lllS6_lllT4_lllii,comdat
.Lfunc_end80:
	.size	_ZL62rocblas_symv_kernel_lower_double_buffered_non_diagonal_genericILi32ELi4ELi4E24rocblas_internal_val_ptrIfEPKfPfEvbiT2_lT3_lllS6_lllT4_lllii, .Lfunc_end80-_ZL62rocblas_symv_kernel_lower_double_buffered_non_diagonal_genericILi32ELi4ELi4E24rocblas_internal_val_ptrIfEPKfPfEvbiT2_lT3_lllS6_lllT4_lllii
                                        ; -- End function
	.set _ZL62rocblas_symv_kernel_lower_double_buffered_non_diagonal_genericILi32ELi4ELi4E24rocblas_internal_val_ptrIfEPKfPfEvbiT2_lT3_lllS6_lllT4_lllii.num_vgpr, 78
	.set _ZL62rocblas_symv_kernel_lower_double_buffered_non_diagonal_genericILi32ELi4ELi4E24rocblas_internal_val_ptrIfEPKfPfEvbiT2_lT3_lllS6_lllT4_lllii.num_agpr, 0
	.set _ZL62rocblas_symv_kernel_lower_double_buffered_non_diagonal_genericILi32ELi4ELi4E24rocblas_internal_val_ptrIfEPKfPfEvbiT2_lT3_lllS6_lllT4_lllii.numbered_sgpr, 76
	.set _ZL62rocblas_symv_kernel_lower_double_buffered_non_diagonal_genericILi32ELi4ELi4E24rocblas_internal_val_ptrIfEPKfPfEvbiT2_lT3_lllS6_lllT4_lllii.num_named_barrier, 0
	.set _ZL62rocblas_symv_kernel_lower_double_buffered_non_diagonal_genericILi32ELi4ELi4E24rocblas_internal_val_ptrIfEPKfPfEvbiT2_lT3_lllS6_lllT4_lllii.private_seg_size, 0
	.set _ZL62rocblas_symv_kernel_lower_double_buffered_non_diagonal_genericILi32ELi4ELi4E24rocblas_internal_val_ptrIfEPKfPfEvbiT2_lT3_lllS6_lllT4_lllii.uses_vcc, 1
	.set _ZL62rocblas_symv_kernel_lower_double_buffered_non_diagonal_genericILi32ELi4ELi4E24rocblas_internal_val_ptrIfEPKfPfEvbiT2_lT3_lllS6_lllT4_lllii.uses_flat_scratch, 0
	.set _ZL62rocblas_symv_kernel_lower_double_buffered_non_diagonal_genericILi32ELi4ELi4E24rocblas_internal_val_ptrIfEPKfPfEvbiT2_lT3_lllS6_lllT4_lllii.has_dyn_sized_stack, 0
	.set _ZL62rocblas_symv_kernel_lower_double_buffered_non_diagonal_genericILi32ELi4ELi4E24rocblas_internal_val_ptrIfEPKfPfEvbiT2_lT3_lllS6_lllT4_lllii.has_recursion, 0
	.set _ZL62rocblas_symv_kernel_lower_double_buffered_non_diagonal_genericILi32ELi4ELi4E24rocblas_internal_val_ptrIfEPKfPfEvbiT2_lT3_lllS6_lllT4_lllii.has_indirect_call, 0
	.section	.AMDGPU.csdata,"",@progbits
; Kernel info:
; codeLenInByte = 3792
; TotalNumSgprs: 78
; NumVgprs: 78
; ScratchSize: 0
; MemoryBound: 0
; FloatMode: 240
; IeeeMode: 1
; LDSByteSize: 4224 bytes/workgroup (compile time only)
; SGPRBlocks: 0
; VGPRBlocks: 4
; NumSGPRsForWavesPerEU: 78
; NumVGPRsForWavesPerEU: 78
; NamedBarCnt: 0
; Occupancy: 12
; WaveLimiterHint : 1
; COMPUTE_PGM_RSRC2:SCRATCH_EN: 0
; COMPUTE_PGM_RSRC2:USER_SGPR: 4
; COMPUTE_PGM_RSRC2:TRAP_HANDLER: 0
; COMPUTE_PGM_RSRC2:TGID_X_EN: 1
; COMPUTE_PGM_RSRC2:TGID_Y_EN: 1
; COMPUTE_PGM_RSRC2:TGID_Z_EN: 1
; COMPUTE_PGM_RSRC2:TIDIG_COMP_CNT: 2
	.section	.text._ZL26rocblas_hemvn_kernel_lowerILb0ELi64ELi4ELi33ELi32ELi16ElPKfS1_PfEviT6_lT7_lT5_lS4_lS5_lS3_lT8_i,"axG",@progbits,_ZL26rocblas_hemvn_kernel_lowerILb0ELi64ELi4ELi33ELi32ELi16ElPKfS1_PfEviT6_lT7_lT5_lS4_lS5_lS3_lT8_i,comdat
	.globl	_ZL26rocblas_hemvn_kernel_lowerILb0ELi64ELi4ELi33ELi32ELi16ElPKfS1_PfEviT6_lT7_lT5_lS4_lS5_lS3_lT8_i ; -- Begin function _ZL26rocblas_hemvn_kernel_lowerILb0ELi64ELi4ELi33ELi32ELi16ElPKfS1_PfEviT6_lT7_lT5_lS4_lS5_lS3_lT8_i
	.p2align	8
	.type	_ZL26rocblas_hemvn_kernel_lowerILb0ELi64ELi4ELi33ELi32ELi16ElPKfS1_PfEviT6_lT7_lT5_lS4_lS5_lS3_lT8_i,@function
_ZL26rocblas_hemvn_kernel_lowerILb0ELi64ELi4ELi33ELi32ELi16ElPKfS1_PfEviT6_lT7_lT5_lS4_lS5_lS3_lT8_i: ; @_ZL26rocblas_hemvn_kernel_lowerILb0ELi64ELi4ELi33ELi32ELi16ElPKfS1_PfEviT6_lT7_lT5_lS4_lS5_lS3_lT8_i
; %bb.0:
	s_clause 0x1
	s_load_b64 s[2:3], s[0:1], 0x84
	s_load_b32 s33, s[0:1], 0x70
	s_bfe_u32 s4, ttmp6, 0x40014
	s_lshr_b32 s5, ttmp7, 16
	s_add_co_i32 s4, s4, 1
	s_bfe_u32 s7, ttmp6, 0x40008
	s_mul_i32 s4, s5, s4
	s_getreg_b32 s6, hwreg(HW_REG_IB_STS2, 6, 4)
	s_add_co_i32 s7, s7, s4
	s_mov_b32 s31, 0
	s_wait_kmcnt 0x0
	s_lshr_b32 s4, s2, 16
	s_and_b32 s2, s2, 0xffff
	s_and_b32 s3, s3, 0xffff
	s_mul_i32 s2, s4, s2
	s_cmp_eq_u32 s6, 0
	s_mul_i32 s2, s2, s3
	s_cselect_b32 s28, s5, s7
	s_cmp_lg_u32 s2, 0x100
	s_cselect_b32 s2, -1, 0
	s_cmp_ge_u32 s28, s33
	s_cselect_b32 s3, -1, 0
	s_delay_alu instid0(SALU_CYCLE_1) | instskip(NEXT) | instid1(SALU_CYCLE_1)
	s_or_b32 s2, s2, s3
	s_and_b32 vcc_lo, exec_lo, s2
	s_cbranch_vccnz .LBB81_79
; %bb.1:
	s_load_b32 s2, s[0:1], 0x0
	s_add_nc_u64 s[8:9], s[0:1], 0x78
	s_clause 0x2
	s_load_b512 s[36:51], s[0:1], 0x8
	s_load_b64 s[4:5], s[0:1], 0x68
	s_load_b256 s[20:27], s[0:1], 0x48
	s_wait_xcnt 0x0
	s_bfe_u32 s0, ttmp6, 0x4000c
	v_and_b32_e32 v16, 0x3ff, v0
	s_add_co_i32 s0, s0, 1
	v_bfe_u32 v1, v0, 10, 10
	s_and_b32 s1, ttmp6, 15
	s_mul_i32 s3, ttmp9, s0
	v_dual_mov_b32 v21, 0 :: v_dual_bitop2_b32 v18, 31, v0 bitop3:0x40
	s_add_co_i32 s1, s1, s3
	v_lshl_add_u32 v8, v1, 6, v16
	s_load_b32 s30, s[8:9], 0x0
	s_delay_alu instid0(VALU_DEP_2) | instskip(NEXT) | instid1(VALU_DEP_2)
	v_dual_lshlrev_b32 v9, 2, v18 :: v_dual_lshlrev_b32 v17, 2, v16
	v_dual_mov_b32 v19, v21 :: v_dual_lshrrev_b32 v10, 5, v8
	v_mul_u32_u24_e32 v30, 33, v18
	s_delay_alu instid0(VALU_DEP_3)
	v_lshl_or_b32 v39, v18, 7, v9
	s_wait_kmcnt 0x0
	s_ashr_i32 s3, s2, 31
	s_cmp_eq_u32 s6, 0
	v_mad_nc_u64_u32 v[2:3], s44, v10, v[18:19]
	s_cselect_b32 s96, ttmp9, s1
	s_lshr_b32 s1, s3, 26
	s_lshl_b32 s18, s96, 6
	s_add_co_i32 s1, s2, s1
	v_dual_add_nc_u32 v24, s18, v16 :: v_dual_add_nc_u32 v12, 8, v10
	s_and_not1_b32 s1, s1, 63
	s_lshl_b64 s[6:7], s[50:51], 2
	s_lshl_b64 s[8:9], s[42:43], 2
	s_delay_alu instid0(VALU_DEP_1)
	v_ashrrev_i32_e32 v25, 31, v24
	s_mul_u64 s[52:53], s[30:31], s[2:3]
	s_add_co_i32 s3, s30, -1
	s_sub_co_i32 s1, s2, s1
	s_cmp_eq_u32 s96, s3
	v_mul_u64_e32 v[4:5], s[20:21], v[24:25]
	v_mad_u32 v3, s45, v10, v3
	s_add_nc_u64 s[8:9], s[40:41], s[8:9]
	s_cselect_b32 s40, s1, 0
	s_mul_i32 s10, s2, s96
	s_cmp_eq_u32 s40, 0
	s_add_nc_u64 s[6:7], s[48:49], s[6:7]
	s_cselect_b32 s3, -1, 0
	s_ashr_i32 s11, s10, 31
	s_ashr_i32 s19, s18, 31
	s_lshl_b64 s[10:11], s[10:11], 2
	s_lshl_b64 s[12:13], s[18:19], 2
	s_add_nc_u64 s[42:43], s[4:5], s[10:11]
	s_add_nc_u64 s[4:5], s[8:9], s[12:13]
	s_mul_u64 s[58:59], s[44:45], s[18:19]
	v_lshl_add_u64 v[6:7], v[2:3], 2, s[4:5]
	v_cmp_gt_i32_e32 vcc_lo, s40, v16
	v_mul_u32_u24_e32 v11, 0x84, v10
	v_cmp_gt_i32_e64 s2, s40, v10
	v_mul_u32_u24_e32 v14, 0x210, v10
	v_lshl_add_u64 v[26:27], s[58:59], 2, v[6:7]
	s_or_b32 s97, s3, vcc_lo
	s_cmp_lg_u32 s40, 0
	v_lshlrev_b32_e32 v7, 4, v10
	s_cselect_b32 s17, -1, 0
	s_sub_co_i32 s15, s40, 32
	v_cmp_eq_u32_e64 s16, 1, v10
	v_cmp_gt_i32_e64 s12, s15, v10
	v_cmp_gt_i32_e64 s13, s15, v12
	v_cmp_le_i32_e32 vcc_lo, s40, v16
	v_mad_u32_u24 v46, 0x430, v1, v17
	v_cmp_eq_u32_e64 s0, 0, v1
	v_lshl_add_u64 v[28:29], v[4:5], 2, s[6:7]
	v_dual_add_nc_u32 v5, 24, v10 :: v_dual_lshlrev_b32 v6, 2, v10
	v_add_nc_u32_e32 v4, 16, v10
	v_sub_nc_u64_e32 v[22:23], 0, v[18:19]
	s_and_b32 s17, s17, vcc_lo
	s_delay_alu instid0(VALU_DEP_3)
	v_cmp_gt_i32_e64 s5, s40, v5
	v_lshl_add_u32 v42, v30, 2, v6
	v_cmp_gt_i32_e64 s4, s40, v4
	v_cmp_gt_i32_e64 s14, s15, v4
	;; [unrolled: 1-line block ×3, first 2 shown]
	v_mul_i32_i24_e32 v4, -12, v10
	v_mad_u32_u24 v43, v10, 12, v42
	v_and_b32_e32 v10, 0x7ff0, v8
	v_and_b32_e32 v5, 15, v0
	v_dual_add_nc_u32 v54, v9, v11 :: v_dual_bitop2_b32 v0, 48, v0 bitop3:0x40
	v_or_b32_e32 v20, 3, v6
	v_or_b32_e32 v15, 2, v6
	v_sub_nc_u64_e32 v[30:31], 0, v[2:3]
	s_delay_alu instid0(VALU_DEP_4)
	v_lshlrev_b32_e32 v0, 2, v0
	v_lshrrev_b32_e32 v2, 2, v8
	v_cmp_lt_u32_e64 s9, v20, v18
	v_dual_lshlrev_b32 v20, 2, v1 :: v_dual_bitop2_b32 v13, 1, v6 bitop3:0x54
	v_add_nc_u32_e32 v40, v39, v7
	v_cmp_lt_u32_e64 s8, v15, v18
	v_add_nc_u32_e32 v41, 0x11c0, v7
	s_delay_alu instid0(VALU_DEP_4) | instskip(SKIP_2) | instid1(VALU_DEP_4)
	v_mul_u64_e32 v[32:33], s[44:45], v[20:21]
	v_cmp_lt_u32_e64 s7, v13, v18
	v_mul_u32_u24_e32 v13, 0x84, v13
	v_dual_add_nc_u32 v52, v41, v4 :: v_dual_bitop2_b32 v15, 32, v18 bitop3:0x54
	v_and_b32_e32 v2, 0x1ffc, v2
	v_mul_u32_u24_e32 v3, 0x10c, v5
	v_dual_add_nc_u32 v55, v9, v14 :: v_dual_bitop2_b32 v7, 60, v17 bitop3:0x54
	s_mul_u64 s[18:19], s[20:21], s[18:19]
	v_add_nc_u32_e32 v38, 0x11c0, v17
	v_cmp_gt_i32_e64 s1, s40, v18
	v_cndmask_b32_e64 v19, 0, 1, s3
	s_lshl_b64 s[48:49], s[44:45], 5
	s_lshl_b64 s[50:51], s[44:45], 6
	s_ashr_i32 s41, s40, 31
	v_cmp_gt_i32_e64 s3, s40, v12
	v_cmp_lt_u32_e64 s6, v6, v18
	v_cmp_gt_u32_e64 s10, 32, v8
	v_cmp_gt_i32_e64 s11, s40, v15
	s_xor_b32 s29, s17, -1
	s_sub_nc_u64 s[56:57], 0, s[18:19]
	v_add_nc_u32_e32 v44, 0x10c0, v17
	v_lshl_add_u32 v45, v1, 4, 0x10c0
	v_cmp_gt_u32_e64 s18, 64, v8
	v_mad_i32_i24 v50, 0xfffffcdc, v1, v46
	v_add_nc_u32_e32 v51, 0x11c0, v6
	v_add_nc_u32_e32 v53, v3, v10
	v_mad_u32_u24 v47, 0x10c, v5, v2
	v_mad_u32_u24 v48, 0x10c, v5, v0
	v_mad_u32_u24 v49, 0x10c, v5, v7
	v_add_nc_u32_e32 v56, v9, v13
	s_cmp_gt_i32 s96, 0
	s_mul_u64 s[34:35], s[44:45], 0x60
	s_sub_nc_u64 s[54:55], 0, s[48:49]
	s_cselect_b32 s98, -1, 0
	s_sub_nc_u64 s[58:59], 0, s[58:59]
	s_and_b32 s99, s0, s29
	s_sub_nc_u64 s[60:61], 0, s[40:41]
	s_lshl_b64 s[62:63], s[44:45], 2
	s_lshl_b64 s[64:65], s[44:45], 8
	;; [unrolled: 1-line block ×3, first 2 shown]
	s_mul_u64 s[68:69], s[44:45], 12
	s_mul_u64 s[70:71], s[44:45], 0x48
	;; [unrolled: 1-line block ×9, first 2 shown]
	s_mov_b64 s[86:87], 0xffffffffffffff7c
	s_mov_b64 s[88:89], 0xffffffffffffff80
	s_mul_u64 s[90:91], s[44:45], 0x84
	s_lshl_b64 s[92:93], s[44:45], 7
	s_mul_u64 s[44:45], s[44:45], 0x44
	s_branch .LBB81_4
.LBB81_2:                               ;   in Loop: Header=BB81_4 Depth=1
	s_wait_xcnt 0x0
	s_or_b32 exec_lo, exec_lo, s19
.LBB81_3:                               ;   in Loop: Header=BB81_4 Depth=1
	s_add_co_i32 s28, s28, 0x10000
	s_delay_alu instid0(SALU_CYCLE_1)
	s_cmp_lt_u32 s28, s33
	s_cbranch_scc0 .LBB81_79
.LBB81_4:                               ; =>This Loop Header: Depth=1
                                        ;     Child Loop BB81_67 Depth 2
	s_mov_b32 s29, s31
	s_wait_xcnt 0x1
	s_mul_u64 s[94:95], s[38:39], s[28:29]
	s_wait_xcnt 0x0
	s_mul_u64 s[100:101], s[26:27], s[28:29]
	s_lshl_b64 s[94:95], s[94:95], 2
	s_lshl_b64 s[100:101], s[100:101], 2
	s_add_nc_u64 s[94:95], s[36:37], s[94:95]
	s_add_nc_u64 s[100:101], s[24:25], s[100:101]
	s_clause 0x1
	global_load_b32 v0, v21, s[94:95]
	global_load_b32 v1, v21, s[100:101]
	s_wait_loadcnt 0x1
	v_cmp_eq_f32_e64 s19, 0, v0
	s_wait_loadcnt 0x0
	v_cmp_eq_f32_e32 vcc_lo, 1.0, v1
	s_and_b32 s30, s19, vcc_lo
	s_delay_alu instid0(SALU_CYCLE_1)
	s_and_b32 vcc_lo, exec_lo, s30
	s_cbranch_vccnz .LBB81_3
; %bb.5:                                ;   in Loop: Header=BB81_4 Depth=1
	s_and_b32 vcc_lo, exec_lo, s19
	s_cbranch_vccnz .LBB81_3
; %bb.6:                                ;   in Loop: Header=BB81_4 Depth=1
	s_wait_xcnt 0x1
	s_mul_u64 s[94:95], s[22:23], s[28:29]
	s_delay_alu instid0(SALU_CYCLE_1)
	v_lshl_add_u64 v[4:5], s[94:95], 2, v[28:29]
	s_wait_xcnt 0x0
	s_and_saveexec_b32 s19, s0
	s_cbranch_execz .LBB81_10
; %bb.7:                                ;   in Loop: Header=BB81_4 Depth=1
	v_mov_b32_e32 v0, 0
	s_and_saveexec_b32 s30, s97
	s_cbranch_execz .LBB81_9
; %bb.8:                                ;   in Loop: Header=BB81_4 Depth=1
	global_load_b32 v0, v[4:5], off
.LBB81_9:                               ;   in Loop: Header=BB81_4 Depth=1
	s_wait_xcnt 0x0
	s_or_b32 exec_lo, exec_lo, s30
	s_wait_loadcnt 0x0
	ds_store_b32 v38, v0
.LBB81_10:                              ;   in Loop: Header=BB81_4 Depth=1
	s_or_b32 exec_lo, exec_lo, s19
	v_cmp_ne_u32_e32 vcc_lo, 1, v19
	s_mul_u64 s[94:95], s[46:47], s[28:29]
	s_mov_b32 s19, -1
	v_lshl_add_u64 v[0:1], s[94:95], 2, v[26:27]
	s_cbranch_vccnz .LBB81_12
; %bb.11:                               ;   in Loop: Header=BB81_4 Depth=1
	s_delay_alu instid0(VALU_DEP_1) | instskip(SKIP_1) | instid1(VALU_DEP_1)
	v_add_nc_u64_e32 v[2:3], s[48:49], v[0:1]
	s_mov_b32 s19, 0
	v_add_nc_u64_e32 v[6:7], s[48:49], v[2:3]
	s_delay_alu instid0(VALU_DEP_1)
	v_add_nc_u64_e32 v[8:9], s[48:49], v[6:7]
	s_clause 0x3
	global_load_b32 v10, v[0:1], off
	global_load_b32 v2, v[2:3], off
	;; [unrolled: 1-line block ×4, first 2 shown]
	s_wait_loadcnt 0x3
	ds_store_b32 v54, v10
	s_wait_loadcnt 0x2
	ds_store_b32 v54, v2 offset:1056
	s_wait_loadcnt 0x1
	ds_store_b32 v54, v3 offset:2112
	;; [unrolled: 2-line block ×3, first 2 shown]
.LBB81_12:                              ;   in Loop: Header=BB81_4 Depth=1
	s_and_not1_b32 vcc_lo, exec_lo, s19
	s_cbranch_vccnz .LBB81_22
; %bb.13:                               ;   in Loop: Header=BB81_4 Depth=1
	s_delay_alu instid0(VALU_DEP_1) | instskip(SKIP_1) | instid1(VALU_DEP_2)
	v_lshl_add_u64 v[2:3], v[22:23], 2, v[0:1]
	v_mov_b32_e32 v6, 0
	v_lshl_add_u64 v[2:3], s[40:41], 2, v[2:3]
	s_delay_alu instid0(VALU_DEP_1) | instskip(NEXT) | instid1(VALU_DEP_1)
	v_add_nc_u64_e32 v[2:3], -4, v[2:3]
	v_dual_mov_b32 v7, 0 :: v_dual_cndmask_b32 v3, v3, v1, s1
	s_delay_alu instid0(VALU_DEP_2)
	v_cndmask_b32_e64 v2, v2, v0, s1
	s_wait_xcnt 0x0
	s_and_saveexec_b32 s19, s2
	s_cbranch_execz .LBB81_15
; %bb.14:                               ;   in Loop: Header=BB81_4 Depth=1
	global_load_b32 v6, v[2:3], off
.LBB81_15:                              ;   in Loop: Header=BB81_4 Depth=1
	s_wait_xcnt 0x0
	s_or_b32 exec_lo, exec_lo, s19
	s_wait_loadcnt 0x0
	ds_store_b32 v54, v6
	s_and_saveexec_b32 s19, s3
	s_cbranch_execz .LBB81_17
; %bb.16:                               ;   in Loop: Header=BB81_4 Depth=1
	v_add_nc_u64_e32 v[6:7], s[48:49], v[2:3]
	global_load_b32 v7, v[6:7], off
.LBB81_17:                              ;   in Loop: Header=BB81_4 Depth=1
	s_wait_xcnt 0x0
	s_or_b32 exec_lo, exec_lo, s19
	v_dual_mov_b32 v6, 0 :: v_dual_mov_b32 v8, 0
	s_wait_loadcnt 0x0
	ds_store_b32 v54, v7 offset:1056
	s_and_saveexec_b32 s19, s4
	s_cbranch_execz .LBB81_19
; %bb.18:                               ;   in Loop: Header=BB81_4 Depth=1
	v_add_nc_u64_e32 v[8:9], s[50:51], v[2:3]
	global_load_b32 v8, v[8:9], off
.LBB81_19:                              ;   in Loop: Header=BB81_4 Depth=1
	s_wait_xcnt 0x0
	s_or_b32 exec_lo, exec_lo, s19
	s_wait_loadcnt 0x0
	ds_store_b32 v54, v8 offset:2112
	s_and_saveexec_b32 s19, s5
	s_cbranch_execz .LBB81_21
; %bb.20:                               ;   in Loop: Header=BB81_4 Depth=1
	v_add_nc_u64_e32 v[6:7], s[34:35], v[2:3]
	global_load_b32 v6, v[6:7], off
.LBB81_21:                              ;   in Loop: Header=BB81_4 Depth=1
	s_wait_xcnt 0x0
	s_or_b32 exec_lo, exec_lo, s19
	v_lshlrev_b32_e32 v20, 2, v18
	s_wait_loadcnt 0x0
	ds_store_b32 v54, v6 offset:3168
	v_add_nc_u64_e32 v[2:3], v[2:3], v[20:21]
	s_delay_alu instid0(VALU_DEP_1) | instskip(NEXT) | instid1(VALU_DEP_1)
	v_lshl_add_u64 v[2:3], s[60:61], 2, v[2:3]
	v_add_nc_u64_e32 v[2:3], 4, v[2:3]
	s_delay_alu instid0(VALU_DEP_1)
	v_dual_cndmask_b32 v1, v3, v1, s1 :: v_dual_cndmask_b32 v0, v2, v0, s1
.LBB81_22:                              ;   in Loop: Header=BB81_4 Depth=1
	s_wait_dscnt 0x0
	s_barrier_signal -1
	s_barrier_wait -1
	s_wait_xcnt 0x0
	s_and_saveexec_b32 s19, s6
	s_cbranch_execnz .LBB81_73
; %bb.23:                               ;   in Loop: Header=BB81_4 Depth=1
	s_or_b32 exec_lo, exec_lo, s19
	s_and_saveexec_b32 s19, s7
	s_cbranch_execnz .LBB81_74
.LBB81_24:                              ;   in Loop: Header=BB81_4 Depth=1
	s_or_b32 exec_lo, exec_lo, s19
	s_and_saveexec_b32 s19, s8
	s_cbranch_execnz .LBB81_75
.LBB81_25:                              ;   in Loop: Header=BB81_4 Depth=1
	s_or_b32 exec_lo, exec_lo, s19
	s_and_saveexec_b32 s19, s9
	s_cbranch_execz .LBB81_27
.LBB81_26:                              ;   in Loop: Header=BB81_4 Depth=1
	ds_load_b32 v2, v56 offset:264
	s_wait_dscnt 0x0
	ds_store_b32 v40, v2 offset:12
.LBB81_27:                              ;   in Loop: Header=BB81_4 Depth=1
	s_or_b32 exec_lo, exec_lo, s19
	s_wait_dscnt 0x0
	s_barrier_signal -1
	s_barrier_wait -1
	ds_load_2addr_b32 v[2:3], v56 offset1:33
	ds_load_b32 v10, v55
	ds_load_b128 v[6:9], v41
	ds_load_b32 v13, v56 offset:264
	s_wait_dscnt 0x0
	s_barrier_signal -1
	s_barrier_wait -1
	v_dual_mov_b32 v57, 0 :: v_dual_mov_b32 v11, v2
	v_mov_b32_e32 v12, v3
	s_delay_alu instid0(VALU_DEP_2) | instskip(NEXT) | instid1(VALU_DEP_2)
	v_pk_mul_f32 v[6:7], v[10:11], v[6:7]
	v_pk_mul_f32 v[2:3], v[12:13], v[8:9]
	s_delay_alu instid0(VALU_DEP_2) | instskip(NEXT) | instid1(VALU_DEP_1)
	v_add_f32_e32 v6, 0, v6
	v_add_f32_e32 v6, v6, v7
	s_delay_alu instid0(VALU_DEP_1) | instskip(NEXT) | instid1(VALU_DEP_1)
	v_add_f32_e32 v2, v6, v2
	v_add_f32_e32 v2, v2, v3
	ds_store_b32 v42, v2
	s_wait_dscnt 0x0
	s_barrier_signal -1
	s_barrier_wait -1
	s_and_saveexec_b32 s19, s10
	s_cbranch_execz .LBB81_29
; %bb.28:                               ;   in Loop: Header=BB81_4 Depth=1
	ds_load_2addr_b32 v[2:3], v39 offset1:1
	ds_load_2addr_b32 v[6:7], v39 offset0:2 offset1:3
	ds_load_2addr_b32 v[8:9], v39 offset0:4 offset1:5
	;; [unrolled: 1-line block ×3, first 2 shown]
	s_wait_dscnt 0x3
	v_add_f32_e32 v2, v2, v3
	s_wait_dscnt 0x2
	s_delay_alu instid0(VALU_DEP_1) | instskip(NEXT) | instid1(VALU_DEP_1)
	v_add_f32_e32 v2, v2, v6
	v_add_f32_e32 v2, v2, v7
	s_wait_dscnt 0x1
	s_delay_alu instid0(VALU_DEP_1) | instskip(NEXT) | instid1(VALU_DEP_1)
	v_add_f32_e32 v2, v2, v8
	;; [unrolled: 4-line block ×3, first 2 shown]
	v_add_f32_e32 v57, v2, v11
.LBB81_29:                              ;   in Loop: Header=BB81_4 Depth=1
	s_or_b32 exec_lo, exec_lo, s19
	v_cmp_ne_u32_e32 vcc_lo, 1, v19
	v_lshl_add_u64 v[2:3], s[48:49], 2, v[0:1]
	s_mov_b32 s19, -1
	s_barrier_signal -1
	s_barrier_wait -1
	s_cbranch_vccnz .LBB81_31
; %bb.30:                               ;   in Loop: Header=BB81_4 Depth=1
	v_add_nc_u64_e32 v[0:1], s[48:49], v[2:3]
	s_mov_b32 s19, 0
	s_delay_alu instid0(VALU_DEP_1) | instskip(NEXT) | instid1(VALU_DEP_1)
	v_add_nc_u64_e32 v[6:7], s[48:49], v[0:1]
	v_add_nc_u64_e32 v[8:9], s[48:49], v[6:7]
	s_clause 0x3
	global_load_b32 v10, v[2:3], off offset:128
	global_load_b32 v0, v[0:1], off offset:128
	;; [unrolled: 1-line block ×4, first 2 shown]
	s_wait_loadcnt 0x3
	ds_store_b32 v54, v10
	s_wait_loadcnt 0x2
	ds_store_b32 v54, v0 offset:1056
	s_wait_loadcnt 0x1
	ds_store_b32 v54, v1 offset:2112
	;; [unrolled: 2-line block ×3, first 2 shown]
.LBB81_31:                              ;   in Loop: Header=BB81_4 Depth=1
	v_add_nc_u64_e32 v[0:1], 0x80, v[2:3]
	s_and_not1_b32 vcc_lo, exec_lo, s19
	s_cbranch_vccnz .LBB81_41
; %bb.32:                               ;   in Loop: Header=BB81_4 Depth=1
	v_lshl_add_u64 v[2:3], v[22:23], 2, v[2:3]
	v_mov_b32_e32 v6, 0
	s_delay_alu instid0(VALU_DEP_2) | instskip(NEXT) | instid1(VALU_DEP_1)
	v_lshl_add_u64 v[2:3], s[40:41], 2, v[2:3]
	v_add_nc_u64_e32 v[2:3], -4, v[2:3]
	s_delay_alu instid0(VALU_DEP_1) | instskip(NEXT) | instid1(VALU_DEP_2)
	v_dual_mov_b32 v7, 0 :: v_dual_cndmask_b32 v3, v3, v1, s11
	v_cndmask_b32_e64 v2, v2, v0, s11
	s_wait_xcnt 0x0
	s_and_saveexec_b32 s19, s12
	s_cbranch_execz .LBB81_34
; %bb.33:                               ;   in Loop: Header=BB81_4 Depth=1
	global_load_b32 v6, v[2:3], off
.LBB81_34:                              ;   in Loop: Header=BB81_4 Depth=1
	s_wait_xcnt 0x0
	s_or_b32 exec_lo, exec_lo, s19
	s_wait_loadcnt 0x0
	ds_store_b32 v54, v6
	s_and_saveexec_b32 s19, s13
	s_cbranch_execz .LBB81_36
; %bb.35:                               ;   in Loop: Header=BB81_4 Depth=1
	v_add_nc_u64_e32 v[6:7], s[48:49], v[2:3]
	global_load_b32 v7, v[6:7], off
.LBB81_36:                              ;   in Loop: Header=BB81_4 Depth=1
	s_wait_xcnt 0x0
	s_or_b32 exec_lo, exec_lo, s19
	v_dual_mov_b32 v6, 0 :: v_dual_mov_b32 v8, 0
	s_wait_loadcnt 0x0
	ds_store_b32 v54, v7 offset:1056
	s_and_saveexec_b32 s19, s14
	s_cbranch_execz .LBB81_38
; %bb.37:                               ;   in Loop: Header=BB81_4 Depth=1
	v_add_nc_u64_e32 v[8:9], s[50:51], v[2:3]
	global_load_b32 v8, v[8:9], off
.LBB81_38:                              ;   in Loop: Header=BB81_4 Depth=1
	s_wait_xcnt 0x0
	s_or_b32 exec_lo, exec_lo, s19
	s_wait_loadcnt 0x0
	ds_store_b32 v54, v8 offset:2112
	s_and_saveexec_b32 s19, s15
	s_cbranch_execz .LBB81_40
; %bb.39:                               ;   in Loop: Header=BB81_4 Depth=1
	v_add_nc_u64_e32 v[6:7], s[34:35], v[2:3]
	global_load_b32 v6, v[6:7], off
.LBB81_40:                              ;   in Loop: Header=BB81_4 Depth=1
	s_wait_xcnt 0x0
	s_or_b32 exec_lo, exec_lo, s19
	v_lshlrev_b32_e32 v20, 2, v18
	s_wait_loadcnt 0x0
	ds_store_b32 v54, v6 offset:3168
	v_add_nc_u64_e32 v[2:3], v[2:3], v[20:21]
	s_delay_alu instid0(VALU_DEP_1) | instskip(NEXT) | instid1(VALU_DEP_1)
	v_lshl_add_u64 v[2:3], s[60:61], 2, v[2:3]
	v_add_nc_u64_e32 v[2:3], 0x84, v[2:3]
	s_delay_alu instid0(VALU_DEP_1)
	v_dual_cndmask_b32 v1, v3, v1, s11 :: v_dual_cndmask_b32 v0, v2, v0, s11
.LBB81_41:                              ;   in Loop: Header=BB81_4 Depth=1
	s_wait_dscnt 0x0
	s_barrier_signal -1
	s_barrier_wait -1
	s_wait_xcnt 0x0
	s_and_saveexec_b32 s19, s6
	s_cbranch_execnz .LBB81_76
; %bb.42:                               ;   in Loop: Header=BB81_4 Depth=1
	s_or_b32 exec_lo, exec_lo, s19
	s_and_saveexec_b32 s19, s7
	s_cbranch_execnz .LBB81_77
.LBB81_43:                              ;   in Loop: Header=BB81_4 Depth=1
	s_or_b32 exec_lo, exec_lo, s19
	s_and_saveexec_b32 s19, s8
	s_cbranch_execnz .LBB81_78
.LBB81_44:                              ;   in Loop: Header=BB81_4 Depth=1
	s_or_b32 exec_lo, exec_lo, s19
	s_and_saveexec_b32 s19, s9
	s_cbranch_execz .LBB81_46
.LBB81_45:                              ;   in Loop: Header=BB81_4 Depth=1
	ds_load_b32 v2, v56 offset:264
	s_wait_dscnt 0x0
	ds_store_b32 v40, v2 offset:12
.LBB81_46:                              ;   in Loop: Header=BB81_4 Depth=1
	s_or_b32 exec_lo, exec_lo, s19
	s_wait_dscnt 0x0
	s_barrier_signal -1
	s_barrier_wait -1
	ds_load_2addr_b32 v[2:3], v56 offset1:33
	ds_load_b32 v10, v55
	ds_load_b128 v[6:9], v41 offset:128
	ds_load_b32 v13, v56 offset:264
	s_wait_dscnt 0x0
	s_barrier_signal -1
	s_barrier_wait -1
	v_dual_mov_b32 v11, v2 :: v_dual_mov_b32 v12, v3
	s_delay_alu instid0(VALU_DEP_1) | instskip(NEXT) | instid1(VALU_DEP_2)
	v_pk_mul_f32 v[6:7], v[10:11], v[6:7]
	v_pk_mul_f32 v[2:3], v[12:13], v[8:9]
	s_delay_alu instid0(VALU_DEP_2) | instskip(NEXT) | instid1(VALU_DEP_1)
	v_add_f32_e32 v6, 0, v6
	v_add_f32_e32 v6, v6, v7
	s_delay_alu instid0(VALU_DEP_1) | instskip(NEXT) | instid1(VALU_DEP_1)
	v_add_f32_e32 v2, v6, v2
	v_add_f32_e32 v2, v2, v3
	ds_store_b32 v42, v2
	s_wait_dscnt 0x0
	s_barrier_signal -1
	s_barrier_wait -1
	s_and_saveexec_b32 s19, s16
	s_cbranch_execz .LBB81_48
; %bb.47:                               ;   in Loop: Header=BB81_4 Depth=1
	ds_load_2addr_b32 v[2:3], v39 offset1:1
	ds_load_2addr_b32 v[6:7], v39 offset0:2 offset1:3
	ds_load_2addr_b32 v[8:9], v39 offset0:4 offset1:5
	;; [unrolled: 1-line block ×3, first 2 shown]
	s_wait_dscnt 0x3
	v_add_f32_e32 v2, v2, v3
	s_wait_dscnt 0x2
	s_delay_alu instid0(VALU_DEP_1) | instskip(NEXT) | instid1(VALU_DEP_1)
	v_add_f32_e32 v2, v2, v6
	v_add_f32_e32 v2, v2, v7
	s_wait_dscnt 0x1
	s_delay_alu instid0(VALU_DEP_1) | instskip(NEXT) | instid1(VALU_DEP_1)
	v_add_f32_e32 v2, v2, v8
	;; [unrolled: 4-line block ×3, first 2 shown]
	v_add_f32_e32 v57, v2, v11
.LBB81_48:                              ;   in Loop: Header=BB81_4 Depth=1
	s_or_b32 exec_lo, exec_lo, s19
	v_cmp_ne_u32_e32 vcc_lo, 1, v19
	v_lshl_add_u64 v[6:7], s[54:55], 2, v[0:1]
	s_mov_b32 s19, -1
	s_barrier_signal -1
	s_barrier_wait -1
	s_cbranch_vccnz .LBB81_50
; %bb.49:                               ;   in Loop: Header=BB81_4 Depth=1
	v_add_nc_u64_e32 v[0:1], s[48:49], v[6:7]
	s_mov_b32 s19, 0
	s_delay_alu instid0(VALU_DEP_1) | instskip(NEXT) | instid1(VALU_DEP_1)
	v_add_nc_u64_e32 v[2:3], s[48:49], v[0:1]
	v_add_nc_u64_e32 v[8:9], s[48:49], v[2:3]
	s_clause 0x3
	global_load_b32 v10, v[6:7], off
	global_load_b32 v0, v[0:1], off
	;; [unrolled: 1-line block ×4, first 2 shown]
	s_wait_loadcnt 0x3
	ds_store_b32 v54, v10
	s_wait_loadcnt 0x2
	ds_store_b32 v54, v0 offset:1056
	s_wait_loadcnt 0x1
	ds_store_b32 v54, v1 offset:2112
	;; [unrolled: 2-line block ×3, first 2 shown]
.LBB81_50:                              ;   in Loop: Header=BB81_4 Depth=1
	s_and_not1_b32 vcc_lo, exec_lo, s19
	s_cbranch_vccnz .LBB81_60
; %bb.51:                               ;   in Loop: Header=BB81_4 Depth=1
	v_lshl_add_u64 v[0:1], v[22:23], 2, v[6:7]
	v_mov_b32_e32 v2, 0
	s_delay_alu instid0(VALU_DEP_2) | instskip(NEXT) | instid1(VALU_DEP_1)
	v_lshl_add_u64 v[0:1], s[40:41], 2, v[0:1]
	v_add_nc_u64_e32 v[0:1], s[86:87], v[0:1]
	s_delay_alu instid0(VALU_DEP_1) | instskip(NEXT) | instid1(VALU_DEP_2)
	v_dual_mov_b32 v3, 0 :: v_dual_cndmask_b32 v1, v1, v7, s11
	v_cndmask_b32_e64 v0, v0, v6, s11
	s_wait_xcnt 0x0
	s_and_saveexec_b32 s19, s2
	s_cbranch_execz .LBB81_53
; %bb.52:                               ;   in Loop: Header=BB81_4 Depth=1
	global_load_b32 v2, v[0:1], off
.LBB81_53:                              ;   in Loop: Header=BB81_4 Depth=1
	s_wait_xcnt 0x0
	s_or_b32 exec_lo, exec_lo, s19
	s_wait_loadcnt 0x0
	ds_store_b32 v54, v2
	s_and_saveexec_b32 s19, s3
	s_cbranch_execz .LBB81_55
; %bb.54:                               ;   in Loop: Header=BB81_4 Depth=1
	v_add_nc_u64_e32 v[2:3], s[48:49], v[0:1]
	global_load_b32 v3, v[2:3], off
.LBB81_55:                              ;   in Loop: Header=BB81_4 Depth=1
	s_wait_xcnt 0x0
	s_or_b32 exec_lo, exec_lo, s19
	v_dual_mov_b32 v2, 0 :: v_dual_mov_b32 v8, 0
	s_wait_loadcnt 0x0
	ds_store_b32 v54, v3 offset:1056
	s_and_saveexec_b32 s19, s4
	s_cbranch_execz .LBB81_57
; %bb.56:                               ;   in Loop: Header=BB81_4 Depth=1
	v_add_nc_u64_e32 v[8:9], s[50:51], v[0:1]
	global_load_b32 v8, v[8:9], off
.LBB81_57:                              ;   in Loop: Header=BB81_4 Depth=1
	s_wait_xcnt 0x0
	s_or_b32 exec_lo, exec_lo, s19
	s_wait_loadcnt 0x0
	ds_store_b32 v54, v8 offset:2112
	s_and_saveexec_b32 s19, s5
	s_cbranch_execz .LBB81_59
; %bb.58:                               ;   in Loop: Header=BB81_4 Depth=1
	v_add_nc_u64_e32 v[2:3], s[34:35], v[0:1]
	global_load_b32 v2, v[2:3], off
.LBB81_59:                              ;   in Loop: Header=BB81_4 Depth=1
	s_wait_xcnt 0x0
	s_or_b32 exec_lo, exec_lo, s19
	v_lshlrev_b32_e32 v20, 2, v18
	s_wait_loadcnt 0x0
	ds_store_b32 v54, v2 offset:3168
	v_add_nc_u64_e32 v[0:1], v[0:1], v[20:21]
	s_delay_alu instid0(VALU_DEP_1) | instskip(NEXT) | instid1(VALU_DEP_1)
	v_lshl_add_u64 v[0:1], s[60:61], 2, v[0:1]
	v_add_nc_u64_e32 v[0:1], 0x84, v[0:1]
	s_delay_alu instid0(VALU_DEP_1)
	v_dual_cndmask_b32 v7, v1, v7, s11 :: v_dual_cndmask_b32 v6, v0, v6, s11
.LBB81_60:                              ;   in Loop: Header=BB81_4 Depth=1
	s_wait_dscnt 0x0
	s_barrier_signal -1
	s_barrier_wait -1
	ds_load_2addr_b32 v[0:1], v51 offset0:8 offset1:16
	ds_load_b32 v2, v54
	ds_load_b32 v3, v54 offset:1056
	ds_load_b32 v12, v54 offset:2112
	;; [unrolled: 1-line block ×3, first 2 shown]
	s_wait_xcnt 0x0
	ds_load_b32 v8, v52
	ds_load_b32 v15, v51 offset:96
	s_wait_dscnt 0x6
	v_dual_mov_b32 v9, v0 :: v_dual_mov_b32 v14, v1
	s_wait_dscnt 0x1
	s_delay_alu instid0(VALU_DEP_1)
	v_pk_mul_f32 v[34:35], v[2:3], v[8:9]
	ds_load_2addr_b32 v[10:11], v43 offset1:1
	ds_load_b128 v[0:3], v41 offset:128
	ds_load_2addr_b32 v[8:9], v43 offset0:2 offset1:3
	s_wait_dscnt 0x3
	v_pk_mul_f32 v[12:13], v[12:13], v[14:15]
	s_wait_dscnt 0x0
	s_barrier_signal -1
	v_add_f32_e32 v20, 0, v34
	s_barrier_wait -1
	s_delay_alu instid0(VALU_DEP_1) | instskip(NEXT) | instid1(VALU_DEP_1)
	v_add_f32_e32 v14, v20, v35
	v_add_f32_e32 v12, v14, v12
	s_delay_alu instid0(VALU_DEP_1)
	v_add_f32_e32 v12, v12, v13
	ds_store_b32 v42, v12
	s_wait_dscnt 0x0
	s_barrier_signal -1
	s_barrier_wait -1
	s_and_saveexec_b32 s19, s16
	s_cbranch_execz .LBB81_62
; %bb.61:                               ;   in Loop: Header=BB81_4 Depth=1
	ds_load_2addr_b32 v[12:13], v39 offset1:1
	ds_load_2addr_b32 v[14:15], v39 offset0:2 offset1:3
	ds_load_2addr_b32 v[34:35], v39 offset0:4 offset1:5
	;; [unrolled: 1-line block ×3, first 2 shown]
	s_wait_dscnt 0x3
	v_add_f32_e32 v12, v57, v12
	s_delay_alu instid0(VALU_DEP_1) | instskip(SKIP_1) | instid1(VALU_DEP_1)
	v_add_f32_e32 v12, v12, v13
	s_wait_dscnt 0x2
	v_add_f32_e32 v12, v12, v14
	s_delay_alu instid0(VALU_DEP_1) | instskip(SKIP_1) | instid1(VALU_DEP_1)
	v_add_f32_e32 v12, v12, v15
	;; [unrolled: 4-line block ×3, first 2 shown]
	s_wait_dscnt 0x0
	v_add_f32_e32 v12, v12, v36
	s_delay_alu instid0(VALU_DEP_1)
	v_add_f32_e32 v57, v12, v37
.LBB81_62:                              ;   in Loop: Header=BB81_4 Depth=1
	s_or_b32 exec_lo, exec_lo, s19
	v_fma_f32 v0, v10, v0, 0
	s_barrier_signal -1
	s_barrier_wait -1
	s_delay_alu instid0(VALU_DEP_1) | instskip(NEXT) | instid1(VALU_DEP_1)
	v_fmac_f32_e32 v0, v11, v1
	v_fmac_f32_e32 v0, v8, v2
	s_delay_alu instid0(VALU_DEP_1)
	v_fmac_f32_e32 v0, v9, v3
	ds_store_b32 v42, v0
	s_wait_dscnt 0x0
	s_barrier_signal -1
	s_barrier_wait -1
	s_and_saveexec_b32 s19, s10
	s_cbranch_execz .LBB81_64
; %bb.63:                               ;   in Loop: Header=BB81_4 Depth=1
	ds_load_2addr_b32 v[0:1], v39 offset1:1
	ds_load_2addr_b32 v[2:3], v39 offset0:2 offset1:3
	ds_load_2addr_b32 v[8:9], v39 offset0:4 offset1:5
	;; [unrolled: 1-line block ×3, first 2 shown]
	s_wait_dscnt 0x3
	v_add_f32_e32 v0, v57, v0
	s_delay_alu instid0(VALU_DEP_1) | instskip(SKIP_1) | instid1(VALU_DEP_1)
	v_add_f32_e32 v0, v0, v1
	s_wait_dscnt 0x2
	v_add_f32_e32 v0, v0, v2
	s_delay_alu instid0(VALU_DEP_1) | instskip(SKIP_1) | instid1(VALU_DEP_1)
	v_add_f32_e32 v0, v0, v3
	;; [unrolled: 4-line block ×3, first 2 shown]
	s_wait_dscnt 0x0
	v_add_f32_e32 v0, v0, v10
	s_delay_alu instid0(VALU_DEP_1)
	v_add_f32_e32 v57, v0, v11
.LBB81_64:                              ;   in Loop: Header=BB81_4 Depth=1
	s_or_b32 exec_lo, exec_lo, s19
	s_mul_u64 s[94:95], s[52:53], s[28:29]
	s_and_not1_b32 vcc_lo, exec_lo, s98
	s_lshl_b64 s[94:95], s[94:95], 2
	s_delay_alu instid0(SALU_CYCLE_1)
	s_add_nc_u64 s[94:95], s[42:43], s[94:95]
	s_barrier_signal -1
	s_barrier_wait -1
	s_cbranch_vccnz .LBB81_71
; %bb.65:                               ;   in Loop: Header=BB81_4 Depth=1
	v_lshl_add_u64 v[0:1], s[58:59], 2, v[6:7]
	v_lshlrev_b32_e32 v20, 2, v16
	v_lshl_add_u64 v[34:35], s[56:57], 2, v[4:5]
	s_mov_b32 s30, 0
	s_mov_b32 s19, s96
	v_lshl_add_u64 v[0:1], v[30:31], 2, v[0:1]
	s_delay_alu instid0(VALU_DEP_1) | instskip(NEXT) | instid1(VALU_DEP_1)
	v_lshl_add_u64 v[0:1], v[32:33], 2, v[0:1]
	v_add_nc_u64_e32 v[2:3], v[0:1], v[20:21]
	v_lshl_add_u64 v[0:1], s[40:41], 2, v[0:1]
	s_delay_alu instid0(VALU_DEP_1) | instskip(NEXT) | instid1(VALU_DEP_3)
	v_add_nc_u64_e32 v[0:1], s[86:87], v[0:1]
	v_add_nc_u64_e32 v[2:3], s[88:89], v[2:3]
	s_delay_alu instid0(VALU_DEP_1)
	v_dual_cndmask_b32 v37, v3, v1, s17 :: v_dual_cndmask_b32 v36, v2, v0, s17
	s_branch .LBB81_67
.LBB81_66:                              ;   in Loop: Header=BB81_67 Depth=2
	s_wait_xcnt 0x0
	s_or_b32 exec_lo, exec_lo, s29
	v_fmac_f32_e32 v57, v20, v0
	v_add_nc_u64_e32 v[36:37], s[64:65], v[36:37]
	s_add_co_i32 s19, s19, -1
	s_add_co_i32 s30, s30, 64
	s_cmp_eq_u32 s19, 0
	v_fmac_f32_e32 v57, v58, v1
	s_wait_storecnt 0x0
	s_barrier_signal -1
	s_barrier_wait -1
	s_delay_alu instid0(VALU_DEP_1) | instskip(NEXT) | instid1(VALU_DEP_1)
	v_fmac_f32_e32 v57, v59, v2
	v_fmac_f32_e32 v57, v60, v3
	s_delay_alu instid0(VALU_DEP_1) | instskip(NEXT) | instid1(VALU_DEP_1)
	v_fmac_f32_e32 v57, v61, v4
	v_fmac_f32_e32 v57, v62, v5
	;; [unrolled: 3-line block ×7, first 2 shown]
	s_cbranch_scc1 .LBB81_71
.LBB81_67:                              ;   Parent Loop BB81_4 Depth=1
                                        ; =>  This Inner Loop Header: Depth=2
	s_and_saveexec_b32 s29, s0
	s_cbranch_execz .LBB81_69
; %bb.68:                               ;   in Loop: Header=BB81_67 Depth=2
	s_mul_u64 s[100:101], s[20:21], s[30:31]
	s_delay_alu instid0(SALU_CYCLE_1)
	v_lshl_add_u64 v[0:1], s[100:101], 2, v[34:35]
	global_load_b32 v0, v[0:1], off
	s_wait_loadcnt 0x0
	ds_store_b32 v44, v0
.LBB81_69:                              ;   in Loop: Header=BB81_67 Depth=2
	s_wait_xcnt 0x0
	s_or_b32 exec_lo, exec_lo, s29
	v_add_nc_u64_e32 v[0:1], s[62:63], v[36:37]
	s_wait_dscnt 0x0
	s_barrier_signal -1
	s_barrier_wait -1
	s_clause 0x1
	global_load_b32 v20, v[36:37], off
	global_load_b32 v58, v[0:1], off
	s_wait_xcnt 0x0
	v_add_nc_u64_e32 v[0:1], s[66:67], v[36:37]
	global_load_b32 v59, v[0:1], off
	s_wait_xcnt 0x0
	v_add_nc_u64_e32 v[0:1], s[68:69], v[36:37]
	global_load_b32 v60, v[0:1], off
	ds_load_b32 v4, v38
	s_wait_xcnt 0x0
	ds_load_b128 v[0:3], v45
	s_wait_loadcnt_dscnt 0x201
	v_dual_mul_f32 v5, v20, v4 :: v_dual_mul_f32 v6, v58, v4
	ds_store_2addr_b32 v46, v5, v6 offset1:67
	s_wait_loadcnt 0x0
	v_dual_mul_f32 v5, v59, v4 :: v_dual_mul_f32 v4, v60, v4
	ds_store_2addr_b32 v46, v5, v4 offset0:134 offset1:201
	s_wait_dscnt 0x0
	s_barrier_signal -1
	s_barrier_wait -1
	ds_load_2addr_b32 v[4:5], v53 offset1:1
	s_wait_dscnt 0x0
	v_add_f32_e32 v4, 0, v4
	s_delay_alu instid0(VALU_DEP_1)
	v_add_f32_e32 v6, v4, v5
	ds_load_2addr_b32 v[4:5], v53 offset0:2 offset1:3
	s_wait_dscnt 0x0
	s_barrier_signal -1
	s_barrier_wait -1
	v_add_f32_e32 v4, v6, v4
	s_delay_alu instid0(VALU_DEP_1)
	v_add_f32_e32 v73, v4, v5
	v_add_nc_u64_e32 v[4:5], s[50:51], v[36:37]
	global_load_b32 v61, v[4:5], off
	s_wait_xcnt 0x0
	v_add_nc_u64_e32 v[4:5], s[44:45], v[36:37]
	global_load_b32 v62, v[4:5], off
	s_wait_xcnt 0x0
	v_add_nc_u64_e32 v[4:5], s[70:71], v[36:37]
	global_load_b32 v63, v[4:5], off
	s_wait_xcnt 0x0
	v_add_nc_u64_e32 v[4:5], s[72:73], v[36:37]
	global_load_b32 v64, v[4:5], off
	ds_load_b32 v8, v38
	s_wait_xcnt 0x0
	ds_load_b128 v[4:7], v45 offset:64
	s_wait_loadcnt_dscnt 0x201
	v_dual_mul_f32 v9, v61, v8 :: v_dual_mul_f32 v10, v62, v8
	ds_store_2addr_b32 v46, v9, v10 offset1:67
	s_wait_loadcnt 0x0
	v_dual_mul_f32 v9, v63, v8 :: v_dual_mul_f32 v8, v64, v8
	ds_store_2addr_b32 v46, v9, v8 offset0:134 offset1:201
	s_wait_dscnt 0x0
	s_barrier_signal -1
	s_barrier_wait -1
	ds_load_2addr_b32 v[8:9], v53 offset1:1
	s_wait_dscnt 0x0
	v_add_f32_e32 v8, 0, v8
	s_delay_alu instid0(VALU_DEP_1)
	v_add_f32_e32 v10, v8, v9
	ds_load_2addr_b32 v[8:9], v53 offset0:2 offset1:3
	s_wait_dscnt 0x0
	s_barrier_signal -1
	s_barrier_wait -1
	v_add_f32_e32 v8, v10, v8
	s_delay_alu instid0(VALU_DEP_1)
	v_add_f32_e32 v76, v8, v9
	v_add_nc_u64_e32 v[8:9], s[92:93], v[36:37]
	global_load_b32 v65, v[8:9], off
	s_wait_xcnt 0x0
	v_add_nc_u64_e32 v[8:9], s[90:91], v[36:37]
	global_load_b32 v66, v[8:9], off
	s_wait_xcnt 0x0
	v_add_nc_u64_e32 v[8:9], s[74:75], v[36:37]
	global_load_b32 v67, v[8:9], off
	s_wait_xcnt 0x0
	v_add_nc_u64_e32 v[8:9], s[76:77], v[36:37]
	global_load_b32 v68, v[8:9], off
	ds_load_b32 v12, v38
	s_wait_xcnt 0x0
	ds_load_b128 v[8:11], v45 offset:128
	s_wait_loadcnt_dscnt 0x201
	v_dual_mul_f32 v13, v65, v12 :: v_dual_mul_f32 v14, v66, v12
	ds_store_2addr_b32 v46, v13, v14 offset1:67
	s_wait_loadcnt 0x0
	v_dual_mul_f32 v13, v67, v12 :: v_dual_mul_f32 v12, v68, v12
	ds_store_2addr_b32 v46, v13, v12 offset0:134 offset1:201
	s_wait_dscnt 0x0
	s_barrier_signal -1
	s_barrier_wait -1
	ds_load_2addr_b32 v[12:13], v53 offset1:1
	s_wait_dscnt 0x0
	v_add_f32_e32 v12, 0, v12
	s_delay_alu instid0(VALU_DEP_1)
	v_add_f32_e32 v14, v12, v13
	ds_load_2addr_b32 v[12:13], v53 offset0:2 offset1:3
	s_wait_dscnt 0x0
	s_barrier_signal -1
	s_barrier_wait -1
	v_add_f32_e32 v12, v14, v12
	s_delay_alu instid0(VALU_DEP_1)
	v_add_f32_e32 v77, v12, v13
	v_add_nc_u64_e32 v[12:13], s[84:85], v[36:37]
	global_load_b32 v69, v[12:13], off
	s_wait_xcnt 0x0
	v_add_nc_u64_e32 v[12:13], s[82:83], v[36:37]
	global_load_b32 v70, v[12:13], off
	s_wait_xcnt 0x0
	v_add_nc_u64_e32 v[12:13], s[78:79], v[36:37]
	global_load_b32 v71, v[12:13], off
	s_wait_xcnt 0x0
	v_add_nc_u64_e32 v[12:13], s[80:81], v[36:37]
	global_load_b32 v72, v[12:13], off
	ds_load_b32 v74, v38
	s_wait_xcnt 0x0
	ds_load_b128 v[12:15], v45 offset:192
	s_wait_loadcnt_dscnt 0x201
	v_dual_mul_f32 v75, v69, v74 :: v_dual_mul_f32 v78, v70, v74
	ds_store_2addr_b32 v46, v75, v78 offset1:67
	s_wait_loadcnt 0x0
	v_dual_mul_f32 v75, v71, v74 :: v_dual_mul_f32 v74, v72, v74
	ds_store_2addr_b32 v46, v75, v74 offset0:134 offset1:201
	s_wait_dscnt 0x0
	s_barrier_signal -1
	s_barrier_wait -1
	ds_load_2addr_b32 v[74:75], v53 offset1:1
	s_wait_dscnt 0x0
	v_add_f32_e32 v74, 0, v74
	s_delay_alu instid0(VALU_DEP_1)
	v_add_f32_e32 v78, v74, v75
	ds_load_2addr_b32 v[74:75], v53 offset0:2 offset1:3
	s_wait_dscnt 0x0
	s_barrier_signal -1
	s_barrier_wait -1
	v_add_f32_e32 v74, v78, v74
	s_delay_alu instid0(VALU_DEP_1)
	v_add_f32_e32 v74, v74, v75
	ds_store_2addr_b32 v47, v73, v76 offset1:16
	ds_store_2addr_b32 v47, v77, v74 offset0:32 offset1:48
	s_wait_dscnt 0x0
	s_barrier_signal -1
	s_barrier_wait -1
	s_and_saveexec_b32 s29, s18
	s_cbranch_execz .LBB81_66
; %bb.70:                               ;   in Loop: Header=BB81_67 Depth=2
	ds_load_2addr_b32 v[74:75], v48 offset1:1
	s_wait_dscnt 0x0
	v_add_f32_e32 v73, v74, v75
	ds_load_2addr_b32 v[74:75], v48 offset0:2 offset1:3
	s_wait_dscnt 0x0
	v_add_f32_e32 v73, v73, v74
	s_delay_alu instid0(VALU_DEP_1) | instskip(SKIP_3) | instid1(VALU_DEP_1)
	v_add_f32_e32 v73, v73, v75
	ds_load_2addr_b32 v[74:75], v48 offset0:4 offset1:5
	s_wait_dscnt 0x0
	v_add_f32_e32 v73, v73, v74
	v_add_f32_e32 v73, v73, v75
	ds_load_2addr_b32 v[74:75], v48 offset0:6 offset1:7
	s_wait_dscnt 0x0
	v_add_f32_e32 v73, v73, v74
	s_delay_alu instid0(VALU_DEP_1) | instskip(SKIP_3) | instid1(VALU_DEP_1)
	v_add_f32_e32 v73, v73, v75
	ds_load_2addr_b32 v[74:75], v48 offset0:8 offset1:9
	s_wait_dscnt 0x0
	v_add_f32_e32 v73, v73, v74
	v_add_f32_e32 v73, v73, v75
	ds_load_2addr_b32 v[74:75], v48 offset0:10 offset1:11
	s_wait_dscnt 0x0
	v_add_f32_e32 v73, v73, v74
	s_delay_alu instid0(VALU_DEP_1)
	v_add_f32_e32 v73, v73, v75
	ds_load_2addr_b32 v[74:75], v48 offset0:12 offset1:13
	s_wait_dscnt 0x0
	v_add_f32_e32 v73, v73, v74
	ds_load_b32 v74, v48 offset:56
	v_add_f32_e32 v73, v73, v75
	s_wait_dscnt 0x0
	s_delay_alu instid0(VALU_DEP_1)
	v_add_f32_e32 v73, v73, v74
	ds_load_b32 v74, v49
	s_wait_dscnt 0x0
	v_dual_add_f32 v73, v73, v74 :: v_dual_add_nc_u32 v74, s30, v16
	global_store_b32 v74, v73, s[94:95] scale_offset
	s_branch .LBB81_66
.LBB81_71:                              ;   in Loop: Header=BB81_4 Depth=1
	ds_store_b32 v50, v57
	s_wait_dscnt 0x0
	s_barrier_signal -1
	s_barrier_wait -1
	s_and_saveexec_b32 s19, s99
	s_cbranch_execz .LBB81_2
; %bb.72:                               ;   in Loop: Header=BB81_4 Depth=1
	ds_load_2addr_b32 v[0:1], v17 offset1:67
	ds_load_2addr_b32 v[2:3], v17 offset0:134 offset1:201
	s_wait_dscnt 0x1
	v_add_f32_e32 v0, v0, v1
	s_wait_dscnt 0x0
	s_delay_alu instid0(VALU_DEP_1) | instskip(NEXT) | instid1(VALU_DEP_1)
	v_add_f32_e32 v0, v0, v2
	v_add_f32_e32 v2, v0, v3
	v_lshl_add_u64 v[0:1], v[24:25], 2, s[94:95]
	global_store_b32 v[0:1], v2, off
	s_branch .LBB81_2
.LBB81_73:                              ;   in Loop: Header=BB81_4 Depth=1
	ds_load_b32 v2, v55
	s_wait_dscnt 0x0
	ds_store_b32 v40, v2
	s_or_b32 exec_lo, exec_lo, s19
	s_and_saveexec_b32 s19, s7
	s_cbranch_execz .LBB81_24
.LBB81_74:                              ;   in Loop: Header=BB81_4 Depth=1
	ds_load_b32 v2, v56
	s_wait_dscnt 0x0
	ds_store_b32 v40, v2 offset:4
	s_or_b32 exec_lo, exec_lo, s19
	s_and_saveexec_b32 s19, s8
	s_cbranch_execz .LBB81_25
.LBB81_75:                              ;   in Loop: Header=BB81_4 Depth=1
	ds_load_b32 v2, v56 offset:132
	s_wait_dscnt 0x0
	ds_store_b32 v40, v2 offset:8
	s_or_b32 exec_lo, exec_lo, s19
	s_and_saveexec_b32 s19, s9
	s_cbranch_execnz .LBB81_26
	s_branch .LBB81_27
.LBB81_76:                              ;   in Loop: Header=BB81_4 Depth=1
	ds_load_b32 v2, v55
	s_wait_dscnt 0x0
	ds_store_b32 v40, v2
	s_or_b32 exec_lo, exec_lo, s19
	s_and_saveexec_b32 s19, s7
	s_cbranch_execz .LBB81_43
.LBB81_77:                              ;   in Loop: Header=BB81_4 Depth=1
	ds_load_b32 v2, v56
	s_wait_dscnt 0x0
	ds_store_b32 v40, v2 offset:4
	s_or_b32 exec_lo, exec_lo, s19
	s_and_saveexec_b32 s19, s8
	s_cbranch_execz .LBB81_44
.LBB81_78:                              ;   in Loop: Header=BB81_4 Depth=1
	ds_load_b32 v2, v56 offset:132
	s_wait_dscnt 0x0
	ds_store_b32 v40, v2 offset:8
	s_or_b32 exec_lo, exec_lo, s19
	s_and_saveexec_b32 s19, s9
	s_cbranch_execnz .LBB81_45
	s_branch .LBB81_46
.LBB81_79:
	s_sendmsg sendmsg(MSG_DEALLOC_VGPRS)
	s_endpgm
	.section	.rodata,"a",@progbits
	.p2align	6, 0x0
	.amdhsa_kernel _ZL26rocblas_hemvn_kernel_lowerILb0ELi64ELi4ELi33ELi32ELi16ElPKfS1_PfEviT6_lT7_lT5_lS4_lS5_lS3_lT8_i
		.amdhsa_group_segment_fixed_size 4800
		.amdhsa_private_segment_fixed_size 0
		.amdhsa_kernarg_size 376
		.amdhsa_user_sgpr_count 2
		.amdhsa_user_sgpr_dispatch_ptr 0
		.amdhsa_user_sgpr_queue_ptr 0
		.amdhsa_user_sgpr_kernarg_segment_ptr 1
		.amdhsa_user_sgpr_dispatch_id 0
		.amdhsa_user_sgpr_kernarg_preload_length 0
		.amdhsa_user_sgpr_kernarg_preload_offset 0
		.amdhsa_user_sgpr_private_segment_size 0
		.amdhsa_wavefront_size32 1
		.amdhsa_uses_dynamic_stack 0
		.amdhsa_enable_private_segment 0
		.amdhsa_system_sgpr_workgroup_id_x 1
		.amdhsa_system_sgpr_workgroup_id_y 0
		.amdhsa_system_sgpr_workgroup_id_z 1
		.amdhsa_system_sgpr_workgroup_info 0
		.amdhsa_system_vgpr_workitem_id 1
		.amdhsa_next_free_vgpr 79
		.amdhsa_next_free_sgpr 102
		.amdhsa_named_barrier_count 0
		.amdhsa_reserve_vcc 1
		.amdhsa_float_round_mode_32 0
		.amdhsa_float_round_mode_16_64 0
		.amdhsa_float_denorm_mode_32 3
		.amdhsa_float_denorm_mode_16_64 3
		.amdhsa_fp16_overflow 0
		.amdhsa_memory_ordered 1
		.amdhsa_forward_progress 1
		.amdhsa_inst_pref_size 43
		.amdhsa_round_robin_scheduling 0
		.amdhsa_exception_fp_ieee_invalid_op 0
		.amdhsa_exception_fp_denorm_src 0
		.amdhsa_exception_fp_ieee_div_zero 0
		.amdhsa_exception_fp_ieee_overflow 0
		.amdhsa_exception_fp_ieee_underflow 0
		.amdhsa_exception_fp_ieee_inexact 0
		.amdhsa_exception_int_div_zero 0
	.end_amdhsa_kernel
	.section	.text._ZL26rocblas_hemvn_kernel_lowerILb0ELi64ELi4ELi33ELi32ELi16ElPKfS1_PfEviT6_lT7_lT5_lS4_lS5_lS3_lT8_i,"axG",@progbits,_ZL26rocblas_hemvn_kernel_lowerILb0ELi64ELi4ELi33ELi32ELi16ElPKfS1_PfEviT6_lT7_lT5_lS4_lS5_lS3_lT8_i,comdat
.Lfunc_end81:
	.size	_ZL26rocblas_hemvn_kernel_lowerILb0ELi64ELi4ELi33ELi32ELi16ElPKfS1_PfEviT6_lT7_lT5_lS4_lS5_lS3_lT8_i, .Lfunc_end81-_ZL26rocblas_hemvn_kernel_lowerILb0ELi64ELi4ELi33ELi32ELi16ElPKfS1_PfEviT6_lT7_lT5_lS4_lS5_lS3_lT8_i
                                        ; -- End function
	.set _ZL26rocblas_hemvn_kernel_lowerILb0ELi64ELi4ELi33ELi32ELi16ElPKfS1_PfEviT6_lT7_lT5_lS4_lS5_lS3_lT8_i.num_vgpr, 79
	.set _ZL26rocblas_hemvn_kernel_lowerILb0ELi64ELi4ELi33ELi32ELi16ElPKfS1_PfEviT6_lT7_lT5_lS4_lS5_lS3_lT8_i.num_agpr, 0
	.set _ZL26rocblas_hemvn_kernel_lowerILb0ELi64ELi4ELi33ELi32ELi16ElPKfS1_PfEviT6_lT7_lT5_lS4_lS5_lS3_lT8_i.numbered_sgpr, 102
	.set _ZL26rocblas_hemvn_kernel_lowerILb0ELi64ELi4ELi33ELi32ELi16ElPKfS1_PfEviT6_lT7_lT5_lS4_lS5_lS3_lT8_i.num_named_barrier, 0
	.set _ZL26rocblas_hemvn_kernel_lowerILb0ELi64ELi4ELi33ELi32ELi16ElPKfS1_PfEviT6_lT7_lT5_lS4_lS5_lS3_lT8_i.private_seg_size, 0
	.set _ZL26rocblas_hemvn_kernel_lowerILb0ELi64ELi4ELi33ELi32ELi16ElPKfS1_PfEviT6_lT7_lT5_lS4_lS5_lS3_lT8_i.uses_vcc, 1
	.set _ZL26rocblas_hemvn_kernel_lowerILb0ELi64ELi4ELi33ELi32ELi16ElPKfS1_PfEviT6_lT7_lT5_lS4_lS5_lS3_lT8_i.uses_flat_scratch, 0
	.set _ZL26rocblas_hemvn_kernel_lowerILb0ELi64ELi4ELi33ELi32ELi16ElPKfS1_PfEviT6_lT7_lT5_lS4_lS5_lS3_lT8_i.has_dyn_sized_stack, 0
	.set _ZL26rocblas_hemvn_kernel_lowerILb0ELi64ELi4ELi33ELi32ELi16ElPKfS1_PfEviT6_lT7_lT5_lS4_lS5_lS3_lT8_i.has_recursion, 0
	.set _ZL26rocblas_hemvn_kernel_lowerILb0ELi64ELi4ELi33ELi32ELi16ElPKfS1_PfEviT6_lT7_lT5_lS4_lS5_lS3_lT8_i.has_indirect_call, 0
	.section	.AMDGPU.csdata,"",@progbits
; Kernel info:
; codeLenInByte = 5432
; TotalNumSgprs: 104
; NumVgprs: 79
; ScratchSize: 0
; MemoryBound: 0
; FloatMode: 240
; IeeeMode: 1
; LDSByteSize: 4800 bytes/workgroup (compile time only)
; SGPRBlocks: 0
; VGPRBlocks: 4
; NumSGPRsForWavesPerEU: 104
; NumVGPRsForWavesPerEU: 79
; NamedBarCnt: 0
; Occupancy: 12
; WaveLimiterHint : 0
; COMPUTE_PGM_RSRC2:SCRATCH_EN: 0
; COMPUTE_PGM_RSRC2:USER_SGPR: 2
; COMPUTE_PGM_RSRC2:TRAP_HANDLER: 0
; COMPUTE_PGM_RSRC2:TGID_X_EN: 1
; COMPUTE_PGM_RSRC2:TGID_Y_EN: 0
; COMPUTE_PGM_RSRC2:TGID_Z_EN: 1
; COMPUTE_PGM_RSRC2:TIDIG_COMP_CNT: 1
	.section	.text._ZL36rocblas_hemvn_kernel_lower_block_sumILi64ElPKfPffEviT1_lS3_lT2_lT0_lPT3_i,"axG",@progbits,_ZL36rocblas_hemvn_kernel_lower_block_sumILi64ElPKfPffEviT1_lS3_lT2_lT0_lPT3_i,comdat
	.globl	_ZL36rocblas_hemvn_kernel_lower_block_sumILi64ElPKfPffEviT1_lS3_lT2_lT0_lPT3_i ; -- Begin function _ZL36rocblas_hemvn_kernel_lower_block_sumILi64ElPKfPffEviT1_lS3_lT2_lT0_lPT3_i
	.p2align	8
	.type	_ZL36rocblas_hemvn_kernel_lower_block_sumILi64ElPKfPffEviT1_lS3_lT2_lT0_lPT3_i,@function
_ZL36rocblas_hemvn_kernel_lower_block_sumILi64ElPKfPffEviT1_lS3_lT2_lT0_lPT3_i: ; @_ZL36rocblas_hemvn_kernel_lower_block_sumILi64ElPKfPffEviT1_lS3_lT2_lT0_lPT3_i
; %bb.0:
	s_load_b32 s3, s[0:1], 0x50
	s_bfe_u32 s2, ttmp6, 0x40014
	s_lshr_b32 s4, ttmp7, 16
	s_add_co_i32 s2, s2, 1
	s_bfe_u32 s6, ttmp6, 0x40008
	s_mul_i32 s5, s4, s2
	s_getreg_b32 s2, hwreg(HW_REG_IB_STS2, 6, 4)
	s_add_co_i32 s6, s6, s5
	s_cmp_eq_u32 s2, 0
	s_mov_b32 s21, 0
	s_cselect_b32 s20, s4, s6
	s_wait_kmcnt 0x0
	s_cmp_ge_u32 s20, s3
	s_cbranch_scc1 .LBB82_25
; %bb.1:
	s_clause 0x1
	s_load_b256 s[4:11], s[0:1], 0x30
	s_load_b32 s22, s[0:1], 0x0
	s_bfe_u32 s12, ttmp6, 0x4000c
	s_and_b32 s13, ttmp6, 15
	s_add_co_i32 s12, s12, 1
	s_delay_alu instid0(SALU_CYCLE_1) | instskip(NEXT) | instid1(SALU_CYCLE_1)
	s_mul_i32 s12, ttmp9, s12
	s_add_co_i32 s13, s13, s12
	s_wait_kmcnt 0x0
	s_lshl_b64 s[4:5], s[4:5], 2
	s_cmp_eq_u32 s2, 0
	s_cselect_b32 s24, ttmp9, s13
	s_load_b256 s[12:19], s[0:1], 0x8
	v_lshl_or_b32 v2, s24, 6, v0
	s_ashr_i32 s23, s22, 31
	s_delay_alu instid0(VALU_DEP_1) | instskip(SKIP_2) | instid1(VALU_DEP_3)
	v_mad_u32 v4, s22, s24, v2
	v_ashrrev_i32_e32 v3, 31, v2
	v_cmp_gt_i32_e64 s2, s22, v2
	v_ashrrev_i32_e32 v5, 31, v4
	s_delay_alu instid0(VALU_DEP_3)
	v_mul_u64_e32 v[0:1], s[6:7], v[2:3]
	s_load_b64 s[6:7], s[0:1], 0x28
	s_wait_xcnt 0x0
	s_add_nc_u64 s[0:1], s[0:1], 0x58
	v_lshl_add_u64 v[2:3], v[4:5], 2, s[10:11]
	s_wait_kmcnt 0x0
	s_add_nc_u64 s[4:5], s[6:7], s[4:5]
	s_lshl_b64 s[6:7], s[22:23], 2
	s_branch .LBB82_4
.LBB82_2:                               ;   in Loop: Header=BB82_4 Depth=1
	s_wait_xcnt 0x0
	s_or_b32 exec_lo, exec_lo, s22
.LBB82_3:                               ;   in Loop: Header=BB82_4 Depth=1
	s_add_co_i32 s20, s20, 0x10000
	s_delay_alu instid0(SALU_CYCLE_1)
	s_cmp_lt_u32 s20, s3
	s_cbranch_scc0 .LBB82_25
.LBB82_4:                               ; =>This Loop Header: Depth=1
                                        ;     Child Loop BB82_16 Depth 2
	s_mul_u64 s[10:11], s[14:15], s[20:21]
	s_mul_u64 s[22:23], s[18:19], s[20:21]
	s_lshl_b64 s[10:11], s[10:11], 2
	s_delay_alu instid0(SALU_CYCLE_1) | instskip(SKIP_3) | instid1(SALU_CYCLE_1)
	s_add_nc_u64 s[10:11], s[12:13], s[10:11]
	s_load_b32 s25, s[10:11], 0x0
	s_wait_xcnt 0x0
	s_lshl_b64 s[10:11], s[22:23], 2
	s_add_nc_u64 s[10:11], s[16:17], s[10:11]
	s_load_b32 s26, s[10:11], 0x0
	s_wait_kmcnt 0x0
	s_cmp_eq_f32 s25, 0
	s_wait_xcnt 0x0
	s_cselect_b32 s10, -1, 0
	s_cmp_eq_f32 s26, 1.0
	s_cselect_b32 s11, -1, 0
	s_delay_alu instid0(SALU_CYCLE_1) | instskip(NEXT) | instid1(SALU_CYCLE_1)
	s_and_b32 s10, s10, s11
	s_and_b32 vcc_lo, exec_lo, s10
	s_cbranch_vccnz .LBB82_3
; %bb.5:                                ;   in Loop: Header=BB82_4 Depth=1
	s_mul_u64 s[10:11], s[8:9], s[20:21]
	s_delay_alu instid0(SALU_CYCLE_1)
	s_lshl_b64 s[10:11], s[10:11], 2
	s_cmp_neq_f32 s25, 0
	s_add_nc_u64 s[10:11], s[4:5], s[10:11]
	s_cbranch_scc1 .LBB82_9
; %bb.6:                                ;   in Loop: Header=BB82_4 Depth=1
	s_mov_b32 s22, 0
	s_mov_b32 s27, 0
                                        ; implicit-def: $vgpr5
	s_and_saveexec_b32 s23, s2
	s_cbranch_execz .LBB82_10
; %bb.7:                                ;   in Loop: Header=BB82_4 Depth=1
	s_cmp_eq_f32 s26, 0
	s_cbranch_scc1 .LBB82_11
; %bb.8:                                ;   in Loop: Header=BB82_4 Depth=1
	v_lshl_add_u64 v[4:5], v[0:1], 2, s[10:11]
	global_load_b32 v4, v[4:5], off
	s_wait_loadcnt 0x0
	s_wait_xcnt 0x0
	v_mul_f32_e32 v5, s26, v4
	s_branch .LBB82_12
.LBB82_9:                               ;   in Loop: Header=BB82_4 Depth=1
	s_mov_b32 s27, 0
                                        ; implicit-def: $vgpr5
	s_cbranch_execnz .LBB82_13
	s_branch .LBB82_22
.LBB82_10:                              ;   in Loop: Header=BB82_4 Depth=1
	s_or_b32 exec_lo, exec_lo, s23
	s_delay_alu instid0(SALU_CYCLE_1)
	s_and_b32 vcc_lo, exec_lo, s22
	s_cbranch_vccnz .LBB82_13
	s_branch .LBB82_22
.LBB82_11:                              ;   in Loop: Header=BB82_4 Depth=1
	v_mov_b32_e32 v5, 0
.LBB82_12:                              ;   in Loop: Header=BB82_4 Depth=1
	s_mov_b32 s27, exec_lo
	s_or_b32 exec_lo, exec_lo, s23
	s_delay_alu instid0(SALU_CYCLE_1)
	s_and_b32 vcc_lo, exec_lo, s22
	s_cbranch_vccz .LBB82_22
.LBB82_13:                              ;   in Loop: Header=BB82_4 Depth=1
                                        ; implicit-def: $vgpr5
	s_and_saveexec_b32 s28, s2
	s_cbranch_execz .LBB82_21
; %bb.14:                               ;   in Loop: Header=BB82_4 Depth=1
	s_load_b32 s22, s[0:1], 0x0
	v_mov_b32_e32 v4, 0
	s_wait_kmcnt 0x0
	s_cmp_ge_i32 s24, s22
	s_cbranch_scc1 .LBB82_17
; %bb.15:                               ;   in Loop: Header=BB82_4 Depth=1
	s_mov_b32 s23, s21
	v_mov_b32_e32 v4, 0
	s_mul_u64 s[30:31], s[6:7], s[22:23]
	s_mov_b32 s23, s24
	v_mad_nc_u64_u32 v[6:7], s30, s20, v[2:3]
	s_delay_alu instid0(VALU_DEP_1)
	v_mad_u32 v7, s31, s20, v7
.LBB82_16:                              ;   Parent Loop BB82_4 Depth=1
                                        ; =>  This Inner Loop Header: Depth=2
	global_load_b32 v5, v[6:7], off
	s_wait_xcnt 0x0
	v_add_nc_u64_e32 v[6:7], s[6:7], v[6:7]
	s_add_co_i32 s23, s23, 1
	s_delay_alu instid0(SALU_CYCLE_1)
	s_cmp_ge_i32 s23, s22
	s_wait_loadcnt 0x0
	v_add_f32_e32 v4, v4, v5
	s_cbranch_scc0 .LBB82_16
.LBB82_17:                              ;   in Loop: Header=BB82_4 Depth=1
	s_cmp_eq_f32 s26, 0
	s_cbranch_scc0 .LBB82_24
; %bb.18:                               ;   in Loop: Header=BB82_4 Depth=1
	s_delay_alu instid0(VALU_DEP_1)
	v_mul_f32_e32 v5, s25, v4
	s_cbranch_execnz .LBB82_20
.LBB82_19:                              ;   in Loop: Header=BB82_4 Depth=1
	v_lshl_add_u64 v[6:7], v[0:1], 2, s[10:11]
	global_load_b32 v5, v[6:7], off
	s_wait_xcnt 0x0
	v_dual_mov_b32 v6, s25 :: v_dual_mov_b32 v7, s26
	s_wait_loadcnt 0x0
	s_delay_alu instid0(VALU_DEP_1) | instskip(NEXT) | instid1(VALU_DEP_1)
	v_pk_mul_f32 v[4:5], v[6:7], v[4:5]
	v_add_f32_e32 v5, v4, v5
.LBB82_20:                              ;   in Loop: Header=BB82_4 Depth=1
	s_or_b32 s27, s27, exec_lo
.LBB82_21:                              ;   in Loop: Header=BB82_4 Depth=1
	s_or_b32 exec_lo, exec_lo, s28
.LBB82_22:                              ;   in Loop: Header=BB82_4 Depth=1
	s_and_saveexec_b32 s22, s27
	s_cbranch_execz .LBB82_2
; %bb.23:                               ;   in Loop: Header=BB82_4 Depth=1
	v_lshl_add_u64 v[6:7], v[0:1], 2, s[10:11]
	global_store_b32 v[6:7], v5, off
	s_branch .LBB82_2
.LBB82_24:                              ;   in Loop: Header=BB82_4 Depth=1
                                        ; implicit-def: $vgpr5
	s_branch .LBB82_19
.LBB82_25:
	s_endpgm
	.section	.rodata,"a",@progbits
	.p2align	6, 0x0
	.amdhsa_kernel _ZL36rocblas_hemvn_kernel_lower_block_sumILi64ElPKfPffEviT1_lS3_lT2_lT0_lPT3_i
		.amdhsa_group_segment_fixed_size 0
		.amdhsa_private_segment_fixed_size 0
		.amdhsa_kernarg_size 344
		.amdhsa_user_sgpr_count 2
		.amdhsa_user_sgpr_dispatch_ptr 0
		.amdhsa_user_sgpr_queue_ptr 0
		.amdhsa_user_sgpr_kernarg_segment_ptr 1
		.amdhsa_user_sgpr_dispatch_id 0
		.amdhsa_user_sgpr_kernarg_preload_length 0
		.amdhsa_user_sgpr_kernarg_preload_offset 0
		.amdhsa_user_sgpr_private_segment_size 0
		.amdhsa_wavefront_size32 1
		.amdhsa_uses_dynamic_stack 0
		.amdhsa_enable_private_segment 0
		.amdhsa_system_sgpr_workgroup_id_x 1
		.amdhsa_system_sgpr_workgroup_id_y 0
		.amdhsa_system_sgpr_workgroup_id_z 1
		.amdhsa_system_sgpr_workgroup_info 0
		.amdhsa_system_vgpr_workitem_id 0
		.amdhsa_next_free_vgpr 8
		.amdhsa_next_free_sgpr 32
		.amdhsa_named_barrier_count 0
		.amdhsa_reserve_vcc 1
		.amdhsa_float_round_mode_32 0
		.amdhsa_float_round_mode_16_64 0
		.amdhsa_float_denorm_mode_32 3
		.amdhsa_float_denorm_mode_16_64 3
		.amdhsa_fp16_overflow 0
		.amdhsa_memory_ordered 1
		.amdhsa_forward_progress 1
		.amdhsa_inst_pref_size 6
		.amdhsa_round_robin_scheduling 0
		.amdhsa_exception_fp_ieee_invalid_op 0
		.amdhsa_exception_fp_denorm_src 0
		.amdhsa_exception_fp_ieee_div_zero 0
		.amdhsa_exception_fp_ieee_overflow 0
		.amdhsa_exception_fp_ieee_underflow 0
		.amdhsa_exception_fp_ieee_inexact 0
		.amdhsa_exception_int_div_zero 0
	.end_amdhsa_kernel
	.section	.text._ZL36rocblas_hemvn_kernel_lower_block_sumILi64ElPKfPffEviT1_lS3_lT2_lT0_lPT3_i,"axG",@progbits,_ZL36rocblas_hemvn_kernel_lower_block_sumILi64ElPKfPffEviT1_lS3_lT2_lT0_lPT3_i,comdat
.Lfunc_end82:
	.size	_ZL36rocblas_hemvn_kernel_lower_block_sumILi64ElPKfPffEviT1_lS3_lT2_lT0_lPT3_i, .Lfunc_end82-_ZL36rocblas_hemvn_kernel_lower_block_sumILi64ElPKfPffEviT1_lS3_lT2_lT0_lPT3_i
                                        ; -- End function
	.set _ZL36rocblas_hemvn_kernel_lower_block_sumILi64ElPKfPffEviT1_lS3_lT2_lT0_lPT3_i.num_vgpr, 8
	.set _ZL36rocblas_hemvn_kernel_lower_block_sumILi64ElPKfPffEviT1_lS3_lT2_lT0_lPT3_i.num_agpr, 0
	.set _ZL36rocblas_hemvn_kernel_lower_block_sumILi64ElPKfPffEviT1_lS3_lT2_lT0_lPT3_i.numbered_sgpr, 32
	.set _ZL36rocblas_hemvn_kernel_lower_block_sumILi64ElPKfPffEviT1_lS3_lT2_lT0_lPT3_i.num_named_barrier, 0
	.set _ZL36rocblas_hemvn_kernel_lower_block_sumILi64ElPKfPffEviT1_lS3_lT2_lT0_lPT3_i.private_seg_size, 0
	.set _ZL36rocblas_hemvn_kernel_lower_block_sumILi64ElPKfPffEviT1_lS3_lT2_lT0_lPT3_i.uses_vcc, 1
	.set _ZL36rocblas_hemvn_kernel_lower_block_sumILi64ElPKfPffEviT1_lS3_lT2_lT0_lPT3_i.uses_flat_scratch, 0
	.set _ZL36rocblas_hemvn_kernel_lower_block_sumILi64ElPKfPffEviT1_lS3_lT2_lT0_lPT3_i.has_dyn_sized_stack, 0
	.set _ZL36rocblas_hemvn_kernel_lower_block_sumILi64ElPKfPffEviT1_lS3_lT2_lT0_lPT3_i.has_recursion, 0
	.set _ZL36rocblas_hemvn_kernel_lower_block_sumILi64ElPKfPffEviT1_lS3_lT2_lT0_lPT3_i.has_indirect_call, 0
	.section	.AMDGPU.csdata,"",@progbits
; Kernel info:
; codeLenInByte = 720
; TotalNumSgprs: 34
; NumVgprs: 8
; ScratchSize: 0
; MemoryBound: 0
; FloatMode: 240
; IeeeMode: 1
; LDSByteSize: 0 bytes/workgroup (compile time only)
; SGPRBlocks: 0
; VGPRBlocks: 0
; NumSGPRsForWavesPerEU: 34
; NumVGPRsForWavesPerEU: 8
; NamedBarCnt: 0
; Occupancy: 16
; WaveLimiterHint : 0
; COMPUTE_PGM_RSRC2:SCRATCH_EN: 0
; COMPUTE_PGM_RSRC2:USER_SGPR: 2
; COMPUTE_PGM_RSRC2:TRAP_HANDLER: 0
; COMPUTE_PGM_RSRC2:TGID_X_EN: 1
; COMPUTE_PGM_RSRC2:TGID_Y_EN: 0
; COMPUTE_PGM_RSRC2:TGID_Z_EN: 1
; COMPUTE_PGM_RSRC2:TIDIG_COMP_CNT: 0
	.section	.text._ZL26rocblas_hemvn_kernel_lowerILb0ELi64ELi4ELi33ELi32ELi16EiPKfS1_PfEviT6_lT7_lT5_lS4_lS5_lS3_lT8_i,"axG",@progbits,_ZL26rocblas_hemvn_kernel_lowerILb0ELi64ELi4ELi33ELi32ELi16EiPKfS1_PfEviT6_lT7_lT5_lS4_lS5_lS3_lT8_i,comdat
	.globl	_ZL26rocblas_hemvn_kernel_lowerILb0ELi64ELi4ELi33ELi32ELi16EiPKfS1_PfEviT6_lT7_lT5_lS4_lS5_lS3_lT8_i ; -- Begin function _ZL26rocblas_hemvn_kernel_lowerILb0ELi64ELi4ELi33ELi32ELi16EiPKfS1_PfEviT6_lT7_lT5_lS4_lS5_lS3_lT8_i
	.p2align	8
	.type	_ZL26rocblas_hemvn_kernel_lowerILb0ELi64ELi4ELi33ELi32ELi16EiPKfS1_PfEviT6_lT7_lT5_lS4_lS5_lS3_lT8_i,@function
_ZL26rocblas_hemvn_kernel_lowerILb0ELi64ELi4ELi33ELi32ELi16EiPKfS1_PfEviT6_lT7_lT5_lS4_lS5_lS3_lT8_i: ; @_ZL26rocblas_hemvn_kernel_lowerILb0ELi64ELi4ELi33ELi32ELi16EiPKfS1_PfEviT6_lT7_lT5_lS4_lS5_lS3_lT8_i
; %bb.0:
	s_clause 0x1
	s_load_b64 s[2:3], s[0:1], 0x84
	s_load_b32 s33, s[0:1], 0x70
	s_bfe_u32 s4, ttmp6, 0x40014
	s_lshr_b32 s5, ttmp7, 16
	s_add_co_i32 s4, s4, 1
	s_bfe_u32 s6, ttmp6, 0x40008
	s_mul_i32 s7, s5, s4
	s_getreg_b32 s4, hwreg(HW_REG_IB_STS2, 6, 4)
	s_add_co_i32 s6, s6, s7
	s_mov_b32 s35, 0
	s_wait_kmcnt 0x0
	s_lshr_b32 s7, s2, 16
	s_and_b32 s2, s2, 0xffff
	s_and_b32 s3, s3, 0xffff
	s_mul_i32 s2, s7, s2
	s_cmp_eq_u32 s4, 0
	s_mul_i32 s2, s2, s3
	s_cselect_b32 s34, s5, s6
	s_cmp_lg_u32 s2, 0x100
	s_cselect_b32 s2, -1, 0
	s_cmp_ge_u32 s34, s33
	s_cselect_b32 s3, -1, 0
	s_delay_alu instid0(SALU_CYCLE_1) | instskip(NEXT) | instid1(SALU_CYCLE_1)
	s_or_b32 s2, s2, s3
	s_and_b32 vcc_lo, exec_lo, s2
	s_cbranch_vccnz .LBB83_79
; %bb.1:
	s_clause 0x5
	s_load_b32 s2, s[0:1], 0x0
	s_load_b32 s86, s[0:1], 0x28
	s_load_b256 s[20:27], s[0:1], 0x8
	s_load_b128 s[28:31], s[0:1], 0x30
	s_load_b96 s[16:18], s[0:1], 0x40
	s_load_b256 s[36:43], s[0:1], 0x50
	s_add_nc_u64 s[6:7], s[0:1], 0x78
	s_wait_xcnt 0x0
	s_bfe_u32 s1, ttmp6, 0x4000c
	s_and_b32 s0, ttmp6, 15
	s_add_co_i32 s1, s1, 1
	s_load_b32 s8, s[6:7], 0x0
	s_mul_i32 s1, ttmp9, s1
	v_and_b32_e32 v16, 0x3ff, v0
	s_add_co_i32 s0, s0, s1
	v_bfe_u32 v1, v0, 10, 10
	s_mov_b32 s9, s35
	s_mov_b64 s[88:89], 0xffffffffffffff7c
	s_mov_b64 s[90:91], 0xffffffffffffff80
	v_mov_b32_e32 v27, 0
	v_lshl_add_u32 v6, v1, 6, v16
	v_and_b32_e32 v18, 31, v0
	v_lshl_add_u32 v46, v1, 4, 0x10c0
	s_wait_kmcnt 0x0
	s_ashr_i32 s3, s2, 31
	s_ashr_i32 s87, s86, 31
	s_cmp_eq_u32 s4, 0
	v_lshrrev_b32_e32 v7, 5, v6
	s_cselect_b32 s100, ttmp9, s0
	s_lshr_b32 s1, s3, 26
	s_lshl_b32 s50, s100, 6
	s_delay_alu instid0(SALU_CYCLE_1)
	v_dual_lshlrev_b32 v40, 2, v16 :: v_dual_add_nc_u32 v20, s50, v16
	s_add_co_i32 s1, s2, s1
	v_mad_u32 v2, s86, v7, v18
	s_and_not1_b32 s1, s1, 63
	s_add_co_i32 s10, s8, -1
	v_mul_lo_u32 v4, s18, v20
	s_lshl_b64 s[4:5], s[16:17], 2
	s_lshl_b64 s[6:7], s[26:27], 2
	s_sub_co_i32 s1, s2, s1
	s_cmp_eq_u32 s100, s10
	s_add_nc_u64 s[4:5], s[30:31], s[4:5]
	s_cselect_b32 s44, s1, 0
	s_add_nc_u64 s[6:7], s[24:25], s[6:7]
	s_cmp_eq_u32 s44, 0
	v_ashrrev_i32_e32 v3, 31, v2
	s_cselect_b32 s101, -1, 0
	v_ashrrev_i32_e32 v5, 31, v4
	s_ashr_i32 s51, s50, 31
	s_mul_i32 s52, s86, s50
	v_cmp_gt_i32_e32 vcc_lo, s44, v16
	s_ashr_i32 s53, s52, 31
	v_lshl_add_u64 v[22:23], v[4:5], 2, s[4:5]
	s_lshl_b64 s[4:5], s[50:51], 2
	s_mul_u64 s[26:27], s[8:9], s[2:3]
	s_add_nc_u64 s[4:5], s[6:7], s[4:5]
	s_mul_i32 s2, s2, s100
	v_lshl_add_u64 v[4:5], v[2:3], 2, s[4:5]
	s_ashr_i32 s3, s2, 31
	s_or_b32 s102, s101, vcc_lo
	s_lshl_b64 s[2:3], s[2:3], 2
	s_cmp_lg_u32 s44, 0
	v_lshl_add_u64 v[24:25], s[52:53], 2, v[4:5]
	v_lshlrev_b32_e32 v4, 2, v18
	s_cselect_b32 s17, -1, 0
	s_sub_co_i32 s15, s44, 32
	v_dual_mov_b32 v19, v27 :: v_dual_add_nc_u32 v8, 8, v7
	s_add_nc_u64 s[24:25], s[42:43], s[2:3]
	v_dual_lshlrev_b32 v11, 2, v7 :: v_dual_lshlrev_b32 v12, 4, v7
	v_mul_u32_u24_e32 v21, 33, v18
	s_delay_alu instid0(VALU_DEP_3)
	v_cmp_gt_i32_e64 s3, s44, v8
	v_cmp_gt_i32_e64 s13, s15, v8
	v_mul_lo_u32 v8, v1, s86
	v_dual_add_nc_u32 v9, 16, v7 :: v_dual_add_nc_u32 v10, 24, v7
	v_lshl_add_u32 v44, v21, 2, v11
	v_mul_u32_u24_e32 v5, 0x84, v7
	v_sub_nc_u64_e32 v[28:29], 0, v[18:19]
	v_cmp_gt_i32_e64 s2, s44, v7
	v_lshl_or_b32 v19, v18, 7, v4
	v_cmp_gt_i32_e64 s4, s44, v9
	v_or_b32_e32 v13, 1, v11
	v_mul_u32_u24_e32 v14, 0x210, v7
	v_lshl_add_u32 v30, v8, 2, v16
	v_or_b32_e32 v17, 3, v11
	v_add_nc_u32_e32 v43, 0x11c0, v12
	v_cmp_gt_i32_e64 s12, s15, v7
	v_cmp_gt_i32_e64 s14, s15, v9
	v_cmp_le_i32_e32 vcc_lo, s44, v16
	v_cmp_eq_u32_e64 s16, 1, v7
	v_mul_i32_i24_e32 v9, -12, v7
	v_mad_u32_u24 v45, v7, 12, v44
	v_and_b32_e32 v7, 15, v0
	v_sub_nc_u64_e32 v[32:33], 0, v[2:3]
	v_dual_lshrrev_b32 v2, 2, v6 :: v_dual_bitop2_b32 v0, 48, v0 bitop3:0x40
	v_dual_add_nc_u32 v53, v43, v9 :: v_dual_bitop2_b32 v15, 2, v11 bitop3:0x54
	v_ashrrev_i32_e32 v31, 31, v30
	v_cmp_lt_u32_e64 s9, v17, v18
	v_mov_b32_e32 v17, v27
	s_lshl_b32 s30, s86, 3
	s_lshl_b32 s42, s86, 4
	s_mul_i32 s46, s86, 24
	v_cmp_gt_i32_e64 s5, s44, v10
	v_add_nc_u32_e32 v42, v19, v12
	v_cmp_lt_u32_e64 s7, v13, v18
	v_mul_u32_u24_e32 v13, 0x84, v13
	v_dual_lshlrev_b32 v0, 2, v0 :: v_dual_bitop2_b32 v12, 32, v18 bitop3:0x54
	s_lshl_b32 s48, s86, 5
	v_cmp_gt_i32_e64 s15, s15, v10
	s_and_b32 s17, s17, vcc_lo
	s_mul_i32 s50, s18, s50
	v_mad_u32_u24 v47, 0x430, v1, v40
	v_and_b32_e32 v2, 0x1ffc, v2
	v_mul_u32_u24_e32 v3, 0x10c, v7
	v_and_b32_e32 v10, 0x7ff0, v6
	v_or_b32_e32 v8, 60, v40
	s_ashr_i32 s31, s30, 31
	s_ashr_i32 s43, s42, 31
	;; [unrolled: 1-line block ×5, first 2 shown]
	s_xor_b32 s19, s17, -1
	s_ashr_i32 s51, s50, 31
	v_cmp_eq_u32_e64 s0, 0, v1
	s_cmp_gt_i32 s100, 0
	v_sub_nc_u64_e32 v[34:35], 0, v[16:17]
	v_add_nc_u32_e32 v41, 0x11c0, v40
	v_cmp_gt_i32_e64 s1, s44, v18
	v_cmp_lt_u32_e64 s6, v11, v18
	v_cmp_lt_u32_e64 s8, v15, v18
	v_cmp_gt_u32_e64 s10, 32, v6
	v_cmp_gt_i32_e64 s11, s44, v12
	s_cselect_b32 s103, -1, 0
	s_lshl_b32 s104, s18, 6
	v_add_nc_u32_e32 v17, 0x10c0, v40
	v_mad_u32_u24 v48, 0x10c, v7, v2
	v_cmp_gt_u32_e64 s18, 64, v6
	v_mad_u32_u24 v49, 0x10c, v7, v0
	v_mad_i32_i24 v51, 0xfffffcdc, v1, v47
	v_dual_ashrrev_i32 v21, 31, v20 :: v_dual_add_nc_u32 v55, v4, v5
	v_add_nc_u32_e32 v52, 0x11c0, v11
	v_add_nc_u32_e32 v54, v3, v10
	v_mad_u32_u24 v50, 0x10c, v7, v8
	v_dual_add_nc_u32 v56, v4, v14 :: v_dual_add_nc_u32 v57, v4, v13
	s_sub_nc_u64 s[50:51], 0, s[50:51]
	s_sub_nc_u64 s[52:53], 0, s[52:53]
	s_and_b32 vcc_hi, s0, s19
	s_lshl_b64 s[54:55], s[86:87], 5
	s_lshl_b64 s[56:57], s[86:87], 2
	;; [unrolled: 1-line block ×4, first 2 shown]
	s_mul_u64 s[62:63], s[86:87], 12
	s_mul_u64 s[64:65], s[86:87], 0x48
	;; [unrolled: 1-line block ×10, first 2 shown]
	s_lshl_b64 s[82:83], s[86:87], 7
	s_mul_u64 s[84:85], s[86:87], 0x44
	s_lshl_b64 s[86:87], s[86:87], 6
	s_sub_nc_u64 s[92:93], 0, s[48:49]
	s_sub_nc_u64 s[94:95], 0, s[44:45]
	s_branch .LBB83_4
.LBB83_2:                               ;   in Loop: Header=BB83_4 Depth=1
	s_wait_xcnt 0x0
	s_or_b32 exec_lo, exec_lo, s19
.LBB83_3:                               ;   in Loop: Header=BB83_4 Depth=1
	s_add_co_i32 s34, s34, 0x10000
	s_delay_alu instid0(SALU_CYCLE_1)
	s_cmp_lt_u32 s34, s33
	s_cbranch_scc0 .LBB83_79
.LBB83_4:                               ; =>This Loop Header: Depth=1
                                        ;     Child Loop BB83_67 Depth 2
	s_mul_u64 s[96:97], s[22:23], s[34:35]
	s_wait_xcnt 0x0
	s_mul_u64 s[98:99], s[40:41], s[34:35]
	s_lshl_b64 s[96:97], s[96:97], 2
	s_lshl_b64 s[98:99], s[98:99], 2
	s_add_nc_u64 s[96:97], s[20:21], s[96:97]
	s_add_nc_u64 s[98:99], s[38:39], s[98:99]
	s_clause 0x1
	global_load_b32 v0, v27, s[96:97]
	global_load_b32 v1, v27, s[98:99]
	s_wait_loadcnt 0x1
	v_cmp_eq_f32_e64 s19, 0, v0
	s_wait_loadcnt 0x0
	v_cmp_eq_f32_e32 vcc_lo, 1.0, v1
	s_wait_xcnt 0x1
	s_and_b32 s96, s19, vcc_lo
	s_delay_alu instid0(SALU_CYCLE_1)
	s_and_b32 vcc_lo, exec_lo, s96
	s_cbranch_vccnz .LBB83_3
; %bb.5:                                ;   in Loop: Header=BB83_4 Depth=1
	s_and_b32 vcc_lo, exec_lo, s19
	s_cbranch_vccnz .LBB83_3
; %bb.6:                                ;   in Loop: Header=BB83_4 Depth=1
	s_mul_u64 s[96:97], s[36:37], s[34:35]
	s_delay_alu instid0(SALU_CYCLE_1)
	v_lshl_add_u64 v[4:5], s[96:97], 2, v[22:23]
	s_wait_xcnt 0x0
	s_and_saveexec_b32 s19, s0
	s_cbranch_execz .LBB83_10
; %bb.7:                                ;   in Loop: Header=BB83_4 Depth=1
	v_mov_b32_e32 v0, 0
	s_and_saveexec_b32 s96, s102
	s_cbranch_execz .LBB83_9
; %bb.8:                                ;   in Loop: Header=BB83_4 Depth=1
	global_load_b32 v0, v[4:5], off
.LBB83_9:                               ;   in Loop: Header=BB83_4 Depth=1
	s_wait_xcnt 0x0
	s_or_b32 exec_lo, exec_lo, s96
	s_wait_loadcnt 0x0
	ds_store_b32 v41, v0
.LBB83_10:                              ;   in Loop: Header=BB83_4 Depth=1
	s_or_b32 exec_lo, exec_lo, s19
	s_mul_u64 s[96:97], s[28:29], s[34:35]
	s_and_not1_b32 vcc_lo, exec_lo, s101
	v_lshl_add_u64 v[0:1], s[96:97], 2, v[24:25]
	s_mov_b32 s19, -1
	s_cbranch_vccnz .LBB83_12
; %bb.11:                               ;   in Loop: Header=BB83_4 Depth=1
	s_delay_alu instid0(VALU_DEP_1) | instskip(SKIP_1) | instid1(VALU_DEP_1)
	v_lshl_add_u64 v[2:3], s[30:31], 2, v[0:1]
	s_mov_b32 s19, 0
	v_add_nc_u64_e32 v[6:7], s[54:55], v[2:3]
	s_delay_alu instid0(VALU_DEP_1)
	v_add_nc_u64_e32 v[8:9], s[54:55], v[6:7]
	s_clause 0x3
	global_load_b32 v10, v[0:1], off
	global_load_b32 v2, v[2:3], off
	;; [unrolled: 1-line block ×4, first 2 shown]
	s_wait_loadcnt 0x3
	ds_store_b32 v55, v10
	s_wait_loadcnt 0x2
	ds_store_b32 v55, v2 offset:1056
	s_wait_loadcnt 0x1
	ds_store_b32 v55, v3 offset:2112
	;; [unrolled: 2-line block ×3, first 2 shown]
.LBB83_12:                              ;   in Loop: Header=BB83_4 Depth=1
	s_and_not1_b32 vcc_lo, exec_lo, s19
	s_cbranch_vccnz .LBB83_22
; %bb.13:                               ;   in Loop: Header=BB83_4 Depth=1
	v_lshl_add_u64 v[2:3], v[28:29], 2, v[0:1]
	v_mov_b32_e32 v6, 0
	s_delay_alu instid0(VALU_DEP_2) | instskip(NEXT) | instid1(VALU_DEP_1)
	v_lshl_add_u64 v[2:3], s[44:45], 2, v[2:3]
	v_add_nc_u64_e32 v[2:3], -4, v[2:3]
	s_delay_alu instid0(VALU_DEP_1) | instskip(NEXT) | instid1(VALU_DEP_2)
	v_dual_mov_b32 v7, 0 :: v_dual_cndmask_b32 v3, v3, v1, s1
	v_cndmask_b32_e64 v2, v2, v0, s1
	s_wait_xcnt 0x0
	s_and_saveexec_b32 s19, s2
	s_cbranch_execz .LBB83_15
; %bb.14:                               ;   in Loop: Header=BB83_4 Depth=1
	global_load_b32 v6, v[2:3], off
.LBB83_15:                              ;   in Loop: Header=BB83_4 Depth=1
	s_wait_xcnt 0x0
	s_or_b32 exec_lo, exec_lo, s19
	s_wait_loadcnt 0x0
	ds_store_b32 v55, v6
	s_and_saveexec_b32 s19, s3
	s_cbranch_execz .LBB83_17
; %bb.16:                               ;   in Loop: Header=BB83_4 Depth=1
	v_lshl_add_u64 v[6:7], s[30:31], 2, v[2:3]
	global_load_b32 v7, v[6:7], off
.LBB83_17:                              ;   in Loop: Header=BB83_4 Depth=1
	s_wait_xcnt 0x0
	s_or_b32 exec_lo, exec_lo, s19
	v_dual_mov_b32 v6, 0 :: v_dual_mov_b32 v8, 0
	s_wait_loadcnt 0x0
	ds_store_b32 v55, v7 offset:1056
	s_and_saveexec_b32 s19, s4
	s_cbranch_execz .LBB83_19
; %bb.18:                               ;   in Loop: Header=BB83_4 Depth=1
	v_lshl_add_u64 v[8:9], s[42:43], 2, v[2:3]
	global_load_b32 v8, v[8:9], off
.LBB83_19:                              ;   in Loop: Header=BB83_4 Depth=1
	s_wait_xcnt 0x0
	s_or_b32 exec_lo, exec_lo, s19
	s_wait_loadcnt 0x0
	ds_store_b32 v55, v8 offset:2112
	s_and_saveexec_b32 s19, s5
	s_cbranch_execz .LBB83_21
; %bb.20:                               ;   in Loop: Header=BB83_4 Depth=1
	v_lshl_add_u64 v[6:7], s[46:47], 2, v[2:3]
	global_load_b32 v6, v[6:7], off
.LBB83_21:                              ;   in Loop: Header=BB83_4 Depth=1
	s_wait_xcnt 0x0
	s_or_b32 exec_lo, exec_lo, s19
	v_lshlrev_b32_e32 v26, 2, v18
	s_wait_loadcnt 0x0
	ds_store_b32 v55, v6 offset:3168
	v_add_nc_u64_e32 v[2:3], v[2:3], v[26:27]
	s_delay_alu instid0(VALU_DEP_1) | instskip(NEXT) | instid1(VALU_DEP_1)
	v_lshl_add_u64 v[2:3], s[94:95], 2, v[2:3]
	v_add_nc_u64_e32 v[2:3], 4, v[2:3]
	s_delay_alu instid0(VALU_DEP_1)
	v_dual_cndmask_b32 v1, v3, v1, s1 :: v_dual_cndmask_b32 v0, v2, v0, s1
.LBB83_22:                              ;   in Loop: Header=BB83_4 Depth=1
	s_wait_dscnt 0x0
	s_barrier_signal -1
	s_barrier_wait -1
	s_wait_xcnt 0x0
	s_and_saveexec_b32 s19, s6
	s_cbranch_execnz .LBB83_73
; %bb.23:                               ;   in Loop: Header=BB83_4 Depth=1
	s_or_b32 exec_lo, exec_lo, s19
	s_and_saveexec_b32 s19, s7
	s_cbranch_execnz .LBB83_74
.LBB83_24:                              ;   in Loop: Header=BB83_4 Depth=1
	s_or_b32 exec_lo, exec_lo, s19
	s_and_saveexec_b32 s19, s8
	s_cbranch_execnz .LBB83_75
.LBB83_25:                              ;   in Loop: Header=BB83_4 Depth=1
	s_or_b32 exec_lo, exec_lo, s19
	s_and_saveexec_b32 s19, s9
	s_cbranch_execz .LBB83_27
.LBB83_26:                              ;   in Loop: Header=BB83_4 Depth=1
	ds_load_b32 v2, v57 offset:264
	s_wait_dscnt 0x0
	ds_store_b32 v42, v2 offset:12
.LBB83_27:                              ;   in Loop: Header=BB83_4 Depth=1
	s_or_b32 exec_lo, exec_lo, s19
	s_wait_dscnt 0x0
	s_barrier_signal -1
	s_barrier_wait -1
	ds_load_2addr_b32 v[2:3], v57 offset1:33
	ds_load_b32 v10, v56
	ds_load_b128 v[6:9], v43
	ds_load_b32 v13, v57 offset:264
	s_wait_dscnt 0x0
	s_barrier_signal -1
	s_barrier_wait -1
	v_dual_mov_b32 v58, 0 :: v_dual_mov_b32 v11, v2
	v_mov_b32_e32 v12, v3
	s_delay_alu instid0(VALU_DEP_2) | instskip(NEXT) | instid1(VALU_DEP_2)
	v_pk_mul_f32 v[6:7], v[10:11], v[6:7]
	v_pk_mul_f32 v[2:3], v[12:13], v[8:9]
	s_delay_alu instid0(VALU_DEP_2) | instskip(NEXT) | instid1(VALU_DEP_1)
	v_add_f32_e32 v6, 0, v6
	v_add_f32_e32 v6, v6, v7
	s_delay_alu instid0(VALU_DEP_1) | instskip(NEXT) | instid1(VALU_DEP_1)
	v_add_f32_e32 v2, v6, v2
	v_add_f32_e32 v2, v2, v3
	ds_store_b32 v44, v2
	s_wait_dscnt 0x0
	s_barrier_signal -1
	s_barrier_wait -1
	s_and_saveexec_b32 s19, s10
	s_cbranch_execz .LBB83_29
; %bb.28:                               ;   in Loop: Header=BB83_4 Depth=1
	ds_load_2addr_b32 v[2:3], v19 offset1:1
	ds_load_2addr_b32 v[6:7], v19 offset0:2 offset1:3
	ds_load_2addr_b32 v[8:9], v19 offset0:4 offset1:5
	;; [unrolled: 1-line block ×3, first 2 shown]
	s_wait_dscnt 0x3
	v_add_f32_e32 v2, v2, v3
	s_wait_dscnt 0x2
	s_delay_alu instid0(VALU_DEP_1) | instskip(NEXT) | instid1(VALU_DEP_1)
	v_add_f32_e32 v2, v2, v6
	v_add_f32_e32 v2, v2, v7
	s_wait_dscnt 0x1
	s_delay_alu instid0(VALU_DEP_1) | instskip(NEXT) | instid1(VALU_DEP_1)
	v_add_f32_e32 v2, v2, v8
	;; [unrolled: 4-line block ×3, first 2 shown]
	v_add_f32_e32 v58, v2, v11
.LBB83_29:                              ;   in Loop: Header=BB83_4 Depth=1
	s_or_b32 exec_lo, exec_lo, s19
	v_lshl_add_u64 v[2:3], s[48:49], 2, v[0:1]
	s_and_not1_b32 vcc_lo, exec_lo, s101
	s_mov_b32 s19, -1
	s_barrier_signal -1
	s_barrier_wait -1
	s_cbranch_vccnz .LBB83_31
; %bb.30:                               ;   in Loop: Header=BB83_4 Depth=1
	v_lshl_add_u64 v[0:1], s[30:31], 2, v[2:3]
	s_mov_b32 s19, 0
	s_delay_alu instid0(VALU_DEP_1) | instskip(NEXT) | instid1(VALU_DEP_1)
	v_add_nc_u64_e32 v[6:7], s[54:55], v[0:1]
	v_add_nc_u64_e32 v[8:9], s[54:55], v[6:7]
	s_clause 0x3
	global_load_b32 v10, v[2:3], off offset:128
	global_load_b32 v0, v[0:1], off offset:128
	;; [unrolled: 1-line block ×4, first 2 shown]
	s_wait_loadcnt 0x3
	ds_store_b32 v55, v10
	s_wait_loadcnt 0x2
	ds_store_b32 v55, v0 offset:1056
	s_wait_loadcnt 0x1
	ds_store_b32 v55, v1 offset:2112
	;; [unrolled: 2-line block ×3, first 2 shown]
.LBB83_31:                              ;   in Loop: Header=BB83_4 Depth=1
	v_add_nc_u64_e32 v[0:1], 0x80, v[2:3]
	s_and_not1_b32 vcc_lo, exec_lo, s19
	s_cbranch_vccnz .LBB83_41
; %bb.32:                               ;   in Loop: Header=BB83_4 Depth=1
	v_lshl_add_u64 v[2:3], v[28:29], 2, v[2:3]
	v_mov_b32_e32 v6, 0
	s_delay_alu instid0(VALU_DEP_2) | instskip(NEXT) | instid1(VALU_DEP_1)
	v_lshl_add_u64 v[2:3], s[44:45], 2, v[2:3]
	v_add_nc_u64_e32 v[2:3], -4, v[2:3]
	s_delay_alu instid0(VALU_DEP_1) | instskip(NEXT) | instid1(VALU_DEP_2)
	v_dual_mov_b32 v7, 0 :: v_dual_cndmask_b32 v3, v3, v1, s11
	v_cndmask_b32_e64 v2, v2, v0, s11
	s_wait_xcnt 0x0
	s_and_saveexec_b32 s19, s12
	s_cbranch_execz .LBB83_34
; %bb.33:                               ;   in Loop: Header=BB83_4 Depth=1
	global_load_b32 v6, v[2:3], off
.LBB83_34:                              ;   in Loop: Header=BB83_4 Depth=1
	s_wait_xcnt 0x0
	s_or_b32 exec_lo, exec_lo, s19
	s_wait_loadcnt 0x0
	ds_store_b32 v55, v6
	s_and_saveexec_b32 s19, s13
	s_cbranch_execz .LBB83_36
; %bb.35:                               ;   in Loop: Header=BB83_4 Depth=1
	v_lshl_add_u64 v[6:7], s[30:31], 2, v[2:3]
	global_load_b32 v7, v[6:7], off
.LBB83_36:                              ;   in Loop: Header=BB83_4 Depth=1
	s_wait_xcnt 0x0
	s_or_b32 exec_lo, exec_lo, s19
	v_dual_mov_b32 v6, 0 :: v_dual_mov_b32 v8, 0
	s_wait_loadcnt 0x0
	ds_store_b32 v55, v7 offset:1056
	s_and_saveexec_b32 s19, s14
	s_cbranch_execz .LBB83_38
; %bb.37:                               ;   in Loop: Header=BB83_4 Depth=1
	v_lshl_add_u64 v[8:9], s[42:43], 2, v[2:3]
	global_load_b32 v8, v[8:9], off
.LBB83_38:                              ;   in Loop: Header=BB83_4 Depth=1
	s_wait_xcnt 0x0
	s_or_b32 exec_lo, exec_lo, s19
	s_wait_loadcnt 0x0
	ds_store_b32 v55, v8 offset:2112
	s_and_saveexec_b32 s19, s15
	s_cbranch_execz .LBB83_40
; %bb.39:                               ;   in Loop: Header=BB83_4 Depth=1
	v_lshl_add_u64 v[6:7], s[46:47], 2, v[2:3]
	global_load_b32 v6, v[6:7], off
.LBB83_40:                              ;   in Loop: Header=BB83_4 Depth=1
	s_wait_xcnt 0x0
	s_or_b32 exec_lo, exec_lo, s19
	v_lshlrev_b32_e32 v26, 2, v18
	s_wait_loadcnt 0x0
	ds_store_b32 v55, v6 offset:3168
	v_add_nc_u64_e32 v[2:3], v[2:3], v[26:27]
	s_delay_alu instid0(VALU_DEP_1) | instskip(NEXT) | instid1(VALU_DEP_1)
	v_lshl_add_u64 v[2:3], s[94:95], 2, v[2:3]
	v_add_nc_u64_e32 v[2:3], 0x84, v[2:3]
	s_delay_alu instid0(VALU_DEP_1)
	v_dual_cndmask_b32 v1, v3, v1, s11 :: v_dual_cndmask_b32 v0, v2, v0, s11
.LBB83_41:                              ;   in Loop: Header=BB83_4 Depth=1
	s_wait_dscnt 0x0
	s_barrier_signal -1
	s_barrier_wait -1
	s_wait_xcnt 0x0
	s_and_saveexec_b32 s19, s6
	s_cbranch_execnz .LBB83_76
; %bb.42:                               ;   in Loop: Header=BB83_4 Depth=1
	s_or_b32 exec_lo, exec_lo, s19
	s_and_saveexec_b32 s19, s7
	s_cbranch_execnz .LBB83_77
.LBB83_43:                              ;   in Loop: Header=BB83_4 Depth=1
	s_or_b32 exec_lo, exec_lo, s19
	s_and_saveexec_b32 s19, s8
	s_cbranch_execnz .LBB83_78
.LBB83_44:                              ;   in Loop: Header=BB83_4 Depth=1
	s_or_b32 exec_lo, exec_lo, s19
	s_and_saveexec_b32 s19, s9
	s_cbranch_execz .LBB83_46
.LBB83_45:                              ;   in Loop: Header=BB83_4 Depth=1
	ds_load_b32 v2, v57 offset:264
	s_wait_dscnt 0x0
	ds_store_b32 v42, v2 offset:12
.LBB83_46:                              ;   in Loop: Header=BB83_4 Depth=1
	s_or_b32 exec_lo, exec_lo, s19
	s_wait_dscnt 0x0
	s_barrier_signal -1
	s_barrier_wait -1
	ds_load_2addr_b32 v[2:3], v57 offset1:33
	ds_load_b32 v10, v56
	ds_load_b128 v[6:9], v43 offset:128
	ds_load_b32 v13, v57 offset:264
	s_wait_dscnt 0x0
	s_barrier_signal -1
	s_barrier_wait -1
	v_dual_mov_b32 v11, v2 :: v_dual_mov_b32 v12, v3
	s_delay_alu instid0(VALU_DEP_1) | instskip(NEXT) | instid1(VALU_DEP_2)
	v_pk_mul_f32 v[6:7], v[10:11], v[6:7]
	v_pk_mul_f32 v[2:3], v[12:13], v[8:9]
	s_delay_alu instid0(VALU_DEP_2) | instskip(NEXT) | instid1(VALU_DEP_1)
	v_add_f32_e32 v6, 0, v6
	v_add_f32_e32 v6, v6, v7
	s_delay_alu instid0(VALU_DEP_1) | instskip(NEXT) | instid1(VALU_DEP_1)
	v_add_f32_e32 v2, v6, v2
	v_add_f32_e32 v2, v2, v3
	ds_store_b32 v44, v2
	s_wait_dscnt 0x0
	s_barrier_signal -1
	s_barrier_wait -1
	s_and_saveexec_b32 s19, s16
	s_cbranch_execz .LBB83_48
; %bb.47:                               ;   in Loop: Header=BB83_4 Depth=1
	ds_load_2addr_b32 v[2:3], v19 offset1:1
	ds_load_2addr_b32 v[6:7], v19 offset0:2 offset1:3
	ds_load_2addr_b32 v[8:9], v19 offset0:4 offset1:5
	;; [unrolled: 1-line block ×3, first 2 shown]
	s_wait_dscnt 0x3
	v_add_f32_e32 v2, v2, v3
	s_wait_dscnt 0x2
	s_delay_alu instid0(VALU_DEP_1) | instskip(NEXT) | instid1(VALU_DEP_1)
	v_add_f32_e32 v2, v2, v6
	v_add_f32_e32 v2, v2, v7
	s_wait_dscnt 0x1
	s_delay_alu instid0(VALU_DEP_1) | instskip(NEXT) | instid1(VALU_DEP_1)
	v_add_f32_e32 v2, v2, v8
	;; [unrolled: 4-line block ×3, first 2 shown]
	v_add_f32_e32 v58, v2, v11
.LBB83_48:                              ;   in Loop: Header=BB83_4 Depth=1
	s_or_b32 exec_lo, exec_lo, s19
	v_lshl_add_u64 v[6:7], s[92:93], 2, v[0:1]
	s_and_not1_b32 vcc_lo, exec_lo, s101
	s_mov_b32 s19, -1
	s_barrier_signal -1
	s_barrier_wait -1
	s_cbranch_vccnz .LBB83_50
; %bb.49:                               ;   in Loop: Header=BB83_4 Depth=1
	v_lshl_add_u64 v[0:1], s[30:31], 2, v[6:7]
	s_mov_b32 s19, 0
	s_delay_alu instid0(VALU_DEP_1) | instskip(NEXT) | instid1(VALU_DEP_1)
	v_add_nc_u64_e32 v[2:3], s[54:55], v[0:1]
	v_add_nc_u64_e32 v[8:9], s[54:55], v[2:3]
	s_clause 0x3
	global_load_b32 v10, v[6:7], off
	global_load_b32 v0, v[0:1], off
	;; [unrolled: 1-line block ×4, first 2 shown]
	s_wait_loadcnt 0x3
	ds_store_b32 v55, v10
	s_wait_loadcnt 0x2
	ds_store_b32 v55, v0 offset:1056
	s_wait_loadcnt 0x1
	ds_store_b32 v55, v1 offset:2112
	;; [unrolled: 2-line block ×3, first 2 shown]
.LBB83_50:                              ;   in Loop: Header=BB83_4 Depth=1
	s_and_not1_b32 vcc_lo, exec_lo, s19
	s_cbranch_vccnz .LBB83_60
; %bb.51:                               ;   in Loop: Header=BB83_4 Depth=1
	v_lshl_add_u64 v[0:1], v[28:29], 2, v[6:7]
	v_mov_b32_e32 v2, 0
	s_delay_alu instid0(VALU_DEP_2) | instskip(NEXT) | instid1(VALU_DEP_1)
	v_lshl_add_u64 v[0:1], s[44:45], 2, v[0:1]
	v_add_nc_u64_e32 v[0:1], s[88:89], v[0:1]
	s_delay_alu instid0(VALU_DEP_1) | instskip(NEXT) | instid1(VALU_DEP_2)
	v_dual_mov_b32 v3, 0 :: v_dual_cndmask_b32 v1, v1, v7, s11
	v_cndmask_b32_e64 v0, v0, v6, s11
	s_wait_xcnt 0x0
	s_and_saveexec_b32 s19, s2
	s_cbranch_execz .LBB83_53
; %bb.52:                               ;   in Loop: Header=BB83_4 Depth=1
	global_load_b32 v2, v[0:1], off
.LBB83_53:                              ;   in Loop: Header=BB83_4 Depth=1
	s_wait_xcnt 0x0
	s_or_b32 exec_lo, exec_lo, s19
	s_wait_loadcnt 0x0
	ds_store_b32 v55, v2
	s_and_saveexec_b32 s19, s3
	s_cbranch_execz .LBB83_55
; %bb.54:                               ;   in Loop: Header=BB83_4 Depth=1
	v_lshl_add_u64 v[2:3], s[30:31], 2, v[0:1]
	global_load_b32 v3, v[2:3], off
.LBB83_55:                              ;   in Loop: Header=BB83_4 Depth=1
	s_wait_xcnt 0x0
	s_or_b32 exec_lo, exec_lo, s19
	v_dual_mov_b32 v2, 0 :: v_dual_mov_b32 v8, 0
	s_wait_loadcnt 0x0
	ds_store_b32 v55, v3 offset:1056
	s_and_saveexec_b32 s19, s4
	s_cbranch_execz .LBB83_57
; %bb.56:                               ;   in Loop: Header=BB83_4 Depth=1
	v_lshl_add_u64 v[8:9], s[42:43], 2, v[0:1]
	global_load_b32 v8, v[8:9], off
.LBB83_57:                              ;   in Loop: Header=BB83_4 Depth=1
	s_wait_xcnt 0x0
	s_or_b32 exec_lo, exec_lo, s19
	s_wait_loadcnt 0x0
	ds_store_b32 v55, v8 offset:2112
	s_and_saveexec_b32 s19, s5
	s_cbranch_execz .LBB83_59
; %bb.58:                               ;   in Loop: Header=BB83_4 Depth=1
	v_lshl_add_u64 v[2:3], s[46:47], 2, v[0:1]
	global_load_b32 v2, v[2:3], off
.LBB83_59:                              ;   in Loop: Header=BB83_4 Depth=1
	s_wait_xcnt 0x0
	s_or_b32 exec_lo, exec_lo, s19
	v_lshlrev_b32_e32 v26, 2, v18
	s_wait_loadcnt 0x0
	ds_store_b32 v55, v2 offset:3168
	v_add_nc_u64_e32 v[0:1], v[0:1], v[26:27]
	s_delay_alu instid0(VALU_DEP_1) | instskip(NEXT) | instid1(VALU_DEP_1)
	v_lshl_add_u64 v[0:1], s[94:95], 2, v[0:1]
	v_add_nc_u64_e32 v[0:1], 0x84, v[0:1]
	s_delay_alu instid0(VALU_DEP_1)
	v_dual_cndmask_b32 v7, v1, v7, s11 :: v_dual_cndmask_b32 v6, v0, v6, s11
.LBB83_60:                              ;   in Loop: Header=BB83_4 Depth=1
	s_wait_dscnt 0x0
	s_barrier_signal -1
	s_barrier_wait -1
	ds_load_2addr_b32 v[0:1], v52 offset0:8 offset1:16
	ds_load_b32 v2, v55
	ds_load_b32 v3, v55 offset:1056
	ds_load_b32 v12, v55 offset:2112
	;; [unrolled: 1-line block ×3, first 2 shown]
	s_wait_xcnt 0x0
	ds_load_b32 v8, v53
	ds_load_b32 v15, v52 offset:96
	s_wait_dscnt 0x6
	v_dual_mov_b32 v9, v0 :: v_dual_mov_b32 v14, v1
	s_wait_dscnt 0x1
	s_delay_alu instid0(VALU_DEP_1)
	v_pk_mul_f32 v[36:37], v[2:3], v[8:9]
	ds_load_2addr_b32 v[10:11], v45 offset1:1
	ds_load_b128 v[0:3], v43 offset:128
	ds_load_2addr_b32 v[8:9], v45 offset0:2 offset1:3
	s_wait_dscnt 0x3
	v_pk_mul_f32 v[12:13], v[12:13], v[14:15]
	s_wait_dscnt 0x0
	s_barrier_signal -1
	v_add_f32_e32 v26, 0, v36
	s_barrier_wait -1
	s_delay_alu instid0(VALU_DEP_1) | instskip(NEXT) | instid1(VALU_DEP_1)
	v_add_f32_e32 v14, v26, v37
	v_add_f32_e32 v12, v14, v12
	s_delay_alu instid0(VALU_DEP_1)
	v_add_f32_e32 v12, v12, v13
	ds_store_b32 v44, v12
	s_wait_dscnt 0x0
	s_barrier_signal -1
	s_barrier_wait -1
	s_and_saveexec_b32 s19, s16
	s_cbranch_execz .LBB83_62
; %bb.61:                               ;   in Loop: Header=BB83_4 Depth=1
	ds_load_2addr_b32 v[12:13], v19 offset1:1
	ds_load_2addr_b32 v[14:15], v19 offset0:2 offset1:3
	ds_load_2addr_b32 v[36:37], v19 offset0:4 offset1:5
	;; [unrolled: 1-line block ×3, first 2 shown]
	s_wait_dscnt 0x3
	v_add_f32_e32 v12, v58, v12
	s_delay_alu instid0(VALU_DEP_1) | instskip(SKIP_1) | instid1(VALU_DEP_1)
	v_add_f32_e32 v12, v12, v13
	s_wait_dscnt 0x2
	v_add_f32_e32 v12, v12, v14
	s_delay_alu instid0(VALU_DEP_1) | instskip(SKIP_1) | instid1(VALU_DEP_1)
	v_add_f32_e32 v12, v12, v15
	;; [unrolled: 4-line block ×3, first 2 shown]
	s_wait_dscnt 0x0
	v_add_f32_e32 v12, v12, v38
	s_delay_alu instid0(VALU_DEP_1)
	v_add_f32_e32 v58, v12, v39
.LBB83_62:                              ;   in Loop: Header=BB83_4 Depth=1
	s_or_b32 exec_lo, exec_lo, s19
	v_fma_f32 v0, v10, v0, 0
	s_barrier_signal -1
	s_barrier_wait -1
	s_delay_alu instid0(VALU_DEP_1) | instskip(NEXT) | instid1(VALU_DEP_1)
	v_fmac_f32_e32 v0, v11, v1
	v_fmac_f32_e32 v0, v8, v2
	s_delay_alu instid0(VALU_DEP_1)
	v_fmac_f32_e32 v0, v9, v3
	ds_store_b32 v44, v0
	s_wait_dscnt 0x0
	s_barrier_signal -1
	s_barrier_wait -1
	s_and_saveexec_b32 s19, s10
	s_cbranch_execz .LBB83_64
; %bb.63:                               ;   in Loop: Header=BB83_4 Depth=1
	ds_load_2addr_b32 v[0:1], v19 offset1:1
	ds_load_2addr_b32 v[2:3], v19 offset0:2 offset1:3
	ds_load_2addr_b32 v[8:9], v19 offset0:4 offset1:5
	;; [unrolled: 1-line block ×3, first 2 shown]
	s_wait_dscnt 0x3
	v_add_f32_e32 v0, v58, v0
	s_delay_alu instid0(VALU_DEP_1) | instskip(SKIP_1) | instid1(VALU_DEP_1)
	v_add_f32_e32 v0, v0, v1
	s_wait_dscnt 0x2
	v_add_f32_e32 v0, v0, v2
	s_delay_alu instid0(VALU_DEP_1) | instskip(SKIP_1) | instid1(VALU_DEP_1)
	v_add_f32_e32 v0, v0, v3
	;; [unrolled: 4-line block ×3, first 2 shown]
	s_wait_dscnt 0x0
	v_add_f32_e32 v0, v0, v10
	s_delay_alu instid0(VALU_DEP_1)
	v_add_f32_e32 v58, v0, v11
.LBB83_64:                              ;   in Loop: Header=BB83_4 Depth=1
	s_or_b32 exec_lo, exec_lo, s19
	s_mul_u64 s[96:97], s[26:27], s[34:35]
	s_and_not1_b32 vcc_lo, exec_lo, s103
	s_lshl_b64 s[96:97], s[96:97], 2
	s_delay_alu instid0(SALU_CYCLE_1)
	s_add_nc_u64 s[96:97], s[24:25], s[96:97]
	s_barrier_signal -1
	s_barrier_wait -1
	s_cbranch_vccnz .LBB83_71
; %bb.65:                               ;   in Loop: Header=BB83_4 Depth=1
	v_lshl_add_u64 v[0:1], s[52:53], 2, v[6:7]
	v_lshl_add_u64 v[36:37], s[50:51], 2, v[4:5]
	v_mov_b32_e32 v26, v16
	s_mov_b32 s98, 0
	s_mov_b32 s19, s100
	v_lshl_add_u64 v[0:1], v[32:33], 2, v[0:1]
	s_delay_alu instid0(VALU_DEP_1) | instskip(NEXT) | instid1(VALU_DEP_1)
	v_lshl_add_u64 v[0:1], v[30:31], 2, v[0:1]
	v_lshl_add_u64 v[2:3], v[34:35], 2, v[0:1]
	v_add_nc_u64_e32 v[0:1], s[90:91], v[0:1]
	s_delay_alu instid0(VALU_DEP_2) | instskip(NEXT) | instid1(VALU_DEP_1)
	v_lshl_add_u64 v[2:3], s[44:45], 2, v[2:3]
	v_add_nc_u64_e32 v[2:3], s[88:89], v[2:3]
	s_delay_alu instid0(VALU_DEP_1)
	v_dual_cndmask_b32 v39, v1, v3, s17 :: v_dual_cndmask_b32 v38, v0, v2, s17
	s_branch .LBB83_67
.LBB83_66:                              ;   in Loop: Header=BB83_67 Depth=2
	s_wait_xcnt 0x0
	s_or_b32 exec_lo, exec_lo, s99
	v_dual_fmac_f32 v58, v62, v0 :: v_dual_add_nc_u32 v26, 64, v26
	v_add_nc_u64_e32 v[38:39], s[58:59], v[38:39]
	s_add_co_i32 s19, s19, -1
	s_add_co_i32 s98, s98, s104
	s_delay_alu instid0(VALU_DEP_2)
	v_fmac_f32_e32 v58, v61, v1
	s_cmp_eq_u32 s19, 0
	s_wait_storecnt 0x0
	s_barrier_signal -1
	s_barrier_wait -1
	v_fmac_f32_e32 v58, v60, v2
	s_delay_alu instid0(VALU_DEP_1) | instskip(NEXT) | instid1(VALU_DEP_1)
	v_fmac_f32_e32 v58, v59, v3
	v_fmac_f32_e32 v58, v66, v4
	s_delay_alu instid0(VALU_DEP_1) | instskip(NEXT) | instid1(VALU_DEP_1)
	v_fmac_f32_e32 v58, v65, v5
	;; [unrolled: 3-line block ×6, first 2 shown]
	v_fmac_f32_e32 v58, v72, v14
	s_delay_alu instid0(VALU_DEP_1)
	v_fmac_f32_e32 v58, v71, v15
	s_cbranch_scc1 .LBB83_71
.LBB83_67:                              ;   Parent Loop BB83_4 Depth=1
                                        ; =>  This Inner Loop Header: Depth=2
	s_and_saveexec_b32 vcc_lo, s0
	s_cbranch_execz .LBB83_69
; %bb.68:                               ;   in Loop: Header=BB83_67 Depth=2
	s_ashr_i32 s99, s98, 31
	s_delay_alu instid0(SALU_CYCLE_1)
	v_lshl_add_u64 v[0:1], s[98:99], 2, v[36:37]
	global_load_b32 v0, v[0:1], off
	s_wait_loadcnt 0x0
	ds_store_b32 v17, v0
.LBB83_69:                              ;   in Loop: Header=BB83_67 Depth=2
	s_wait_xcnt 0x0
	s_or_b32 exec_lo, exec_lo, vcc_lo
	v_add_nc_u64_e32 v[0:1], s[56:57], v[38:39]
	v_add_nc_u64_e32 v[2:3], s[60:61], v[38:39]
	;; [unrolled: 1-line block ×3, first 2 shown]
	s_wait_dscnt 0x0
	s_barrier_signal -1
	s_barrier_wait -1
	s_clause 0x3
	global_load_b32 v62, v[38:39], off
	global_load_b32 v61, v[0:1], off
	global_load_b32 v60, v[2:3], off
	global_load_b32 v59, v[4:5], off
	ds_load_b32 v6, v41
	s_wait_xcnt 0x1
	ds_load_b128 v[0:3], v46
	s_wait_xcnt 0x0
	v_add_nc_u64_e32 v[4:5], s[86:87], v[38:39]
	v_add_nc_u64_e32 v[8:9], s[64:65], v[38:39]
	;; [unrolled: 1-line block ×5, first 2 shown]
	s_wait_loadcnt_dscnt 0x201
	v_dual_mul_f32 v12, v62, v6 :: v_dual_mul_f32 v13, v61, v6
	s_wait_loadcnt 0x0
	v_dual_mul_f32 v14, v60, v6 :: v_dual_mul_f32 v15, v59, v6
	v_add_nc_u64_e32 v[6:7], s[84:85], v[38:39]
	ds_store_2addr_b32 v47, v12, v13 offset1:67
	ds_store_2addr_b32 v47, v14, v15 offset0:134 offset1:201
	s_wait_dscnt 0x0
	s_barrier_signal -1
	s_barrier_wait -1
	ds_load_2addr_b32 v[76:77], v54 offset1:1
	ds_load_2addr_b32 v[78:79], v54 offset0:2 offset1:3
	s_wait_dscnt 0x0
	s_barrier_signal -1
	s_barrier_wait -1
	s_clause 0x3
	global_load_b32 v66, v[4:5], off
	global_load_b32 v65, v[6:7], off
	;; [unrolled: 1-line block ×4, first 2 shown]
	s_wait_xcnt 0x3
	ds_load_b32 v4, v41
	s_wait_xcnt 0x1
	v_add_nc_u64_e32 v[8:9], s[82:83], v[38:39]
	s_wait_xcnt 0x0
	v_add_nc_u64_e32 v[10:11], s[80:81], v[38:39]
	v_add_nc_u64_e32 v[12:13], s[68:69], v[38:39]
	;; [unrolled: 1-line block ×3, first 2 shown]
	s_wait_loadcnt_dscnt 0x200
	v_dual_mul_f32 v67, v66, v4 :: v_dual_mul_f32 v68, v65, v4
	s_wait_loadcnt 0x0
	v_dual_mul_f32 v69, v64, v4 :: v_dual_mul_f32 v70, v63, v4
	ds_load_b128 v[4:7], v46 offset:64
	ds_store_2addr_b32 v47, v67, v68 offset1:67
	ds_store_2addr_b32 v47, v69, v70 offset0:134 offset1:201
	s_wait_dscnt 0x0
	s_barrier_signal -1
	s_barrier_wait -1
	ds_load_2addr_b32 v[80:81], v54 offset1:1
	ds_load_2addr_b32 v[82:83], v54 offset0:2 offset1:3
	s_wait_dscnt 0x0
	s_barrier_signal -1
	s_barrier_wait -1
	s_clause 0x3
	global_load_b32 v70, v[8:9], off
	global_load_b32 v69, v[10:11], off
	;; [unrolled: 1-line block ×4, first 2 shown]
	s_wait_xcnt 0x3
	ds_load_b32 v8, v41
	s_wait_xcnt 0x1
	v_add_nc_u64_e32 v[12:13], s[78:79], v[38:39]
	s_wait_xcnt 0x0
	v_add_nc_u64_e32 v[14:15], s[76:77], v[38:39]
	s_wait_loadcnt_dscnt 0x200
	v_dual_mul_f32 v71, v70, v8 :: v_dual_mul_f32 v72, v69, v8
	s_wait_loadcnt 0x0
	v_dual_mul_f32 v73, v68, v8 :: v_dual_mul_f32 v74, v67, v8
	ds_load_b128 v[8:11], v46 offset:128
	ds_store_2addr_b32 v47, v71, v72 offset1:67
	ds_store_2addr_b32 v47, v73, v74 offset0:134 offset1:201
	s_wait_dscnt 0x0
	s_barrier_signal -1
	s_barrier_wait -1
	ds_load_2addr_b32 v[88:89], v54 offset1:1
	ds_load_2addr_b32 v[90:91], v54 offset0:2 offset1:3
	s_wait_dscnt 0x0
	s_barrier_signal -1
	s_barrier_wait -1
	s_clause 0x3
	global_load_b32 v74, v[12:13], off
	global_load_b32 v73, v[14:15], off
	;; [unrolled: 1-line block ×4, first 2 shown]
	s_wait_xcnt 0x3
	ds_load_b32 v12, v41
	s_wait_loadcnt_dscnt 0x200
	s_wait_xcnt 0x1
	v_dual_mul_f32 v75, v74, v12 :: v_dual_mul_f32 v84, v73, v12
	s_wait_loadcnt 0x0
	s_wait_xcnt 0x0
	v_dual_mul_f32 v85, v72, v12 :: v_dual_mul_f32 v86, v71, v12
	ds_load_b128 v[12:15], v46 offset:192
	ds_store_2addr_b32 v47, v75, v84 offset1:67
	ds_store_2addr_b32 v47, v85, v86 offset0:134 offset1:201
	s_wait_dscnt 0x0
	s_barrier_signal -1
	s_barrier_wait -1
	ds_load_2addr_b32 v[84:85], v54 offset1:1
	ds_load_2addr_b32 v[86:87], v54 offset0:2 offset1:3
	v_add_f32_e32 v75, 0, v76
	v_add_f32_e32 v76, 0, v80
	s_wait_dscnt 0x0
	s_barrier_signal -1
	s_barrier_wait -1
	s_delay_alu instid0(VALU_DEP_1) | instskip(SKIP_1) | instid1(VALU_DEP_1)
	v_add_f32_e32 v76, v76, v81
	v_dual_add_f32 v75, v75, v77 :: v_dual_add_f32 v80, 0, v88
	v_dual_add_f32 v75, v75, v78 :: v_dual_add_f32 v77, v80, v89
	s_delay_alu instid0(VALU_DEP_1) | instskip(NEXT) | instid1(VALU_DEP_2)
	v_dual_add_f32 v76, v76, v82 :: v_dual_add_f32 v75, v75, v79
	v_dual_add_f32 v84, 0, v84 :: v_dual_add_f32 v77, v77, v90
	s_delay_alu instid0(VALU_DEP_2) | instskip(NEXT) | instid1(VALU_DEP_2)
	v_add_f32_e32 v76, v76, v83
	v_dual_add_f32 v80, v84, v85 :: v_dual_add_f32 v77, v77, v91
	s_delay_alu instid0(VALU_DEP_1) | instskip(NEXT) | instid1(VALU_DEP_1)
	v_add_f32_e32 v78, v80, v86
	v_add_f32_e32 v78, v78, v87
	ds_store_2addr_b32 v48, v75, v76 offset1:16
	ds_store_2addr_b32 v48, v77, v78 offset0:32 offset1:48
	s_wait_dscnt 0x0
	s_barrier_signal -1
	s_barrier_wait -1
	s_and_saveexec_b32 s99, s18
	s_cbranch_execz .LBB83_66
; %bb.70:                               ;   in Loop: Header=BB83_67 Depth=2
	ds_load_2addr_b32 v[76:77], v49 offset1:1
	ds_load_2addr_b32 v[78:79], v49 offset0:2 offset1:3
	ds_load_2addr_b32 v[80:81], v49 offset0:4 offset1:5
	;; [unrolled: 1-line block ×3, first 2 shown]
	s_wait_dscnt 0x3
	v_add_f32_e32 v75, v76, v77
	ds_load_2addr_b32 v[76:77], v49 offset0:8 offset1:9
	s_wait_dscnt 0x3
	v_add_f32_e32 v75, v75, v78
	s_delay_alu instid0(VALU_DEP_1) | instskip(SKIP_3) | instid1(VALU_DEP_1)
	v_add_f32_e32 v75, v75, v79
	ds_load_2addr_b32 v[78:79], v49 offset0:10 offset1:11
	s_wait_dscnt 0x3
	v_add_f32_e32 v75, v75, v80
	v_add_f32_e32 v75, v75, v81
	s_wait_dscnt 0x2
	s_delay_alu instid0(VALU_DEP_1) | instskip(SKIP_4) | instid1(VALU_DEP_1)
	v_add_f32_e32 v75, v75, v82
	ds_load_2addr_b32 v[80:81], v49 offset0:12 offset1:13
	ds_load_b32 v82, v49 offset:56
	v_add_f32_e32 v75, v75, v83
	s_wait_dscnt 0x3
	v_add_f32_e32 v75, v75, v76
	ds_load_b32 v76, v50
	v_add_f32_e32 v75, v75, v77
	s_wait_dscnt 0x3
	s_delay_alu instid0(VALU_DEP_1) | instskip(NEXT) | instid1(VALU_DEP_1)
	v_add_f32_e32 v75, v75, v78
	v_add_f32_e32 v75, v75, v79
	s_wait_dscnt 0x2
	s_delay_alu instid0(VALU_DEP_1) | instskip(NEXT) | instid1(VALU_DEP_1)
	v_add_f32_e32 v75, v75, v80
	v_add_f32_e32 v75, v75, v81
	s_wait_dscnt 0x1
	s_delay_alu instid0(VALU_DEP_1) | instskip(SKIP_1) | instid1(VALU_DEP_1)
	v_add_f32_e32 v75, v75, v82
	s_wait_dscnt 0x0
	v_add_f32_e32 v75, v75, v76
	global_store_b32 v26, v75, s[96:97] scale_offset
	s_branch .LBB83_66
.LBB83_71:                              ;   in Loop: Header=BB83_4 Depth=1
	ds_store_b32 v51, v58
	s_wait_dscnt 0x0
	s_barrier_signal -1
	s_barrier_wait -1
	s_and_saveexec_b32 s19, vcc_hi
	s_cbranch_execz .LBB83_2
; %bb.72:                               ;   in Loop: Header=BB83_4 Depth=1
	ds_load_2addr_b32 v[0:1], v40 offset1:67
	ds_load_2addr_b32 v[2:3], v40 offset0:134 offset1:201
	s_wait_dscnt 0x1
	v_add_f32_e32 v0, v0, v1
	s_wait_dscnt 0x0
	s_delay_alu instid0(VALU_DEP_1) | instskip(NEXT) | instid1(VALU_DEP_1)
	v_add_f32_e32 v0, v0, v2
	v_add_f32_e32 v2, v0, v3
	v_lshl_add_u64 v[0:1], v[20:21], 2, s[96:97]
	global_store_b32 v[0:1], v2, off
	s_branch .LBB83_2
.LBB83_73:                              ;   in Loop: Header=BB83_4 Depth=1
	ds_load_b32 v2, v56
	s_wait_dscnt 0x0
	ds_store_b32 v42, v2
	s_or_b32 exec_lo, exec_lo, s19
	s_and_saveexec_b32 s19, s7
	s_cbranch_execz .LBB83_24
.LBB83_74:                              ;   in Loop: Header=BB83_4 Depth=1
	ds_load_b32 v2, v57
	s_wait_dscnt 0x0
	ds_store_b32 v42, v2 offset:4
	s_or_b32 exec_lo, exec_lo, s19
	s_and_saveexec_b32 s19, s8
	s_cbranch_execz .LBB83_25
.LBB83_75:                              ;   in Loop: Header=BB83_4 Depth=1
	ds_load_b32 v2, v57 offset:132
	s_wait_dscnt 0x0
	ds_store_b32 v42, v2 offset:8
	s_or_b32 exec_lo, exec_lo, s19
	s_and_saveexec_b32 s19, s9
	s_cbranch_execnz .LBB83_26
	s_branch .LBB83_27
.LBB83_76:                              ;   in Loop: Header=BB83_4 Depth=1
	ds_load_b32 v2, v56
	s_wait_dscnt 0x0
	ds_store_b32 v42, v2
	s_or_b32 exec_lo, exec_lo, s19
	s_and_saveexec_b32 s19, s7
	s_cbranch_execz .LBB83_43
.LBB83_77:                              ;   in Loop: Header=BB83_4 Depth=1
	ds_load_b32 v2, v57
	s_wait_dscnt 0x0
	ds_store_b32 v42, v2 offset:4
	s_or_b32 exec_lo, exec_lo, s19
	s_and_saveexec_b32 s19, s8
	s_cbranch_execz .LBB83_44
.LBB83_78:                              ;   in Loop: Header=BB83_4 Depth=1
	ds_load_b32 v2, v57 offset:132
	s_wait_dscnt 0x0
	ds_store_b32 v42, v2 offset:8
	s_or_b32 exec_lo, exec_lo, s19
	s_and_saveexec_b32 s19, s9
	s_cbranch_execnz .LBB83_45
	s_branch .LBB83_46
.LBB83_79:
	s_sendmsg sendmsg(MSG_DEALLOC_VGPRS)
	s_endpgm
	.section	.rodata,"a",@progbits
	.p2align	6, 0x0
	.amdhsa_kernel _ZL26rocblas_hemvn_kernel_lowerILb0ELi64ELi4ELi33ELi32ELi16EiPKfS1_PfEviT6_lT7_lT5_lS4_lS5_lS3_lT8_i
		.amdhsa_group_segment_fixed_size 4800
		.amdhsa_private_segment_fixed_size 0
		.amdhsa_kernarg_size 376
		.amdhsa_user_sgpr_count 2
		.amdhsa_user_sgpr_dispatch_ptr 0
		.amdhsa_user_sgpr_queue_ptr 0
		.amdhsa_user_sgpr_kernarg_segment_ptr 1
		.amdhsa_user_sgpr_dispatch_id 0
		.amdhsa_user_sgpr_kernarg_preload_length 0
		.amdhsa_user_sgpr_kernarg_preload_offset 0
		.amdhsa_user_sgpr_private_segment_size 0
		.amdhsa_wavefront_size32 1
		.amdhsa_uses_dynamic_stack 0
		.amdhsa_enable_private_segment 0
		.amdhsa_system_sgpr_workgroup_id_x 1
		.amdhsa_system_sgpr_workgroup_id_y 0
		.amdhsa_system_sgpr_workgroup_id_z 1
		.amdhsa_system_sgpr_workgroup_info 0
		.amdhsa_system_vgpr_workitem_id 1
		.amdhsa_next_free_vgpr 92
		.amdhsa_next_free_sgpr 105
		.amdhsa_named_barrier_count 0
		.amdhsa_reserve_vcc 1
		.amdhsa_float_round_mode_32 0
		.amdhsa_float_round_mode_16_64 0
		.amdhsa_float_denorm_mode_32 3
		.amdhsa_float_denorm_mode_16_64 3
		.amdhsa_fp16_overflow 0
		.amdhsa_memory_ordered 1
		.amdhsa_forward_progress 1
		.amdhsa_inst_pref_size 44
		.amdhsa_round_robin_scheduling 0
		.amdhsa_exception_fp_ieee_invalid_op 0
		.amdhsa_exception_fp_denorm_src 0
		.amdhsa_exception_fp_ieee_div_zero 0
		.amdhsa_exception_fp_ieee_overflow 0
		.amdhsa_exception_fp_ieee_underflow 0
		.amdhsa_exception_fp_ieee_inexact 0
		.amdhsa_exception_int_div_zero 0
	.end_amdhsa_kernel
	.section	.text._ZL26rocblas_hemvn_kernel_lowerILb0ELi64ELi4ELi33ELi32ELi16EiPKfS1_PfEviT6_lT7_lT5_lS4_lS5_lS3_lT8_i,"axG",@progbits,_ZL26rocblas_hemvn_kernel_lowerILb0ELi64ELi4ELi33ELi32ELi16EiPKfS1_PfEviT6_lT7_lT5_lS4_lS5_lS3_lT8_i,comdat
.Lfunc_end83:
	.size	_ZL26rocblas_hemvn_kernel_lowerILb0ELi64ELi4ELi33ELi32ELi16EiPKfS1_PfEviT6_lT7_lT5_lS4_lS5_lS3_lT8_i, .Lfunc_end83-_ZL26rocblas_hemvn_kernel_lowerILb0ELi64ELi4ELi33ELi32ELi16EiPKfS1_PfEviT6_lT7_lT5_lS4_lS5_lS3_lT8_i
                                        ; -- End function
	.set _ZL26rocblas_hemvn_kernel_lowerILb0ELi64ELi4ELi33ELi32ELi16EiPKfS1_PfEviT6_lT7_lT5_lS4_lS5_lS3_lT8_i.num_vgpr, 92
	.set _ZL26rocblas_hemvn_kernel_lowerILb0ELi64ELi4ELi33ELi32ELi16EiPKfS1_PfEviT6_lT7_lT5_lS4_lS5_lS3_lT8_i.num_agpr, 0
	.set _ZL26rocblas_hemvn_kernel_lowerILb0ELi64ELi4ELi33ELi32ELi16EiPKfS1_PfEviT6_lT7_lT5_lS4_lS5_lS3_lT8_i.numbered_sgpr, 105
	.set _ZL26rocblas_hemvn_kernel_lowerILb0ELi64ELi4ELi33ELi32ELi16EiPKfS1_PfEviT6_lT7_lT5_lS4_lS5_lS3_lT8_i.num_named_barrier, 0
	.set _ZL26rocblas_hemvn_kernel_lowerILb0ELi64ELi4ELi33ELi32ELi16EiPKfS1_PfEviT6_lT7_lT5_lS4_lS5_lS3_lT8_i.private_seg_size, 0
	.set _ZL26rocblas_hemvn_kernel_lowerILb0ELi64ELi4ELi33ELi32ELi16EiPKfS1_PfEviT6_lT7_lT5_lS4_lS5_lS3_lT8_i.uses_vcc, 1
	.set _ZL26rocblas_hemvn_kernel_lowerILb0ELi64ELi4ELi33ELi32ELi16EiPKfS1_PfEviT6_lT7_lT5_lS4_lS5_lS3_lT8_i.uses_flat_scratch, 0
	.set _ZL26rocblas_hemvn_kernel_lowerILb0ELi64ELi4ELi33ELi32ELi16EiPKfS1_PfEviT6_lT7_lT5_lS4_lS5_lS3_lT8_i.has_dyn_sized_stack, 0
	.set _ZL26rocblas_hemvn_kernel_lowerILb0ELi64ELi4ELi33ELi32ELi16EiPKfS1_PfEviT6_lT7_lT5_lS4_lS5_lS3_lT8_i.has_recursion, 0
	.set _ZL26rocblas_hemvn_kernel_lowerILb0ELi64ELi4ELi33ELi32ELi16EiPKfS1_PfEviT6_lT7_lT5_lS4_lS5_lS3_lT8_i.has_indirect_call, 0
	.section	.AMDGPU.csdata,"",@progbits
; Kernel info:
; codeLenInByte = 5508
; TotalNumSgprs: 107
; NumVgprs: 92
; ScratchSize: 0
; MemoryBound: 0
; FloatMode: 240
; IeeeMode: 1
; LDSByteSize: 4800 bytes/workgroup (compile time only)
; SGPRBlocks: 0
; VGPRBlocks: 5
; NumSGPRsForWavesPerEU: 107
; NumVGPRsForWavesPerEU: 92
; NamedBarCnt: 0
; Occupancy: 10
; WaveLimiterHint : 0
; COMPUTE_PGM_RSRC2:SCRATCH_EN: 0
; COMPUTE_PGM_RSRC2:USER_SGPR: 2
; COMPUTE_PGM_RSRC2:TRAP_HANDLER: 0
; COMPUTE_PGM_RSRC2:TGID_X_EN: 1
; COMPUTE_PGM_RSRC2:TGID_Y_EN: 0
; COMPUTE_PGM_RSRC2:TGID_Z_EN: 1
; COMPUTE_PGM_RSRC2:TIDIG_COMP_CNT: 1
	.section	.text._ZL36rocblas_hemvn_kernel_lower_block_sumILi64EiPKfPffEviT1_lS3_lT2_lT0_lPT3_i,"axG",@progbits,_ZL36rocblas_hemvn_kernel_lower_block_sumILi64EiPKfPffEviT1_lS3_lT2_lT0_lPT3_i,comdat
	.globl	_ZL36rocblas_hemvn_kernel_lower_block_sumILi64EiPKfPffEviT1_lS3_lT2_lT0_lPT3_i ; -- Begin function _ZL36rocblas_hemvn_kernel_lower_block_sumILi64EiPKfPffEviT1_lS3_lT2_lT0_lPT3_i
	.p2align	8
	.type	_ZL36rocblas_hemvn_kernel_lower_block_sumILi64EiPKfPffEviT1_lS3_lT2_lT0_lPT3_i,@function
_ZL36rocblas_hemvn_kernel_lower_block_sumILi64EiPKfPffEviT1_lS3_lT2_lT0_lPT3_i: ; @_ZL36rocblas_hemvn_kernel_lower_block_sumILi64EiPKfPffEviT1_lS3_lT2_lT0_lPT3_i
; %bb.0:
	s_load_b32 s3, s[0:1], 0x50
	s_bfe_u32 s2, ttmp6, 0x40014
	s_lshr_b32 s4, ttmp7, 16
	s_add_co_i32 s2, s2, 1
	s_bfe_u32 s6, ttmp6, 0x40008
	s_mul_i32 s5, s4, s2
	s_getreg_b32 s2, hwreg(HW_REG_IB_STS2, 6, 4)
	s_add_co_i32 s6, s6, s5
	s_cmp_eq_u32 s2, 0
	s_mov_b32 s17, 0
	s_cselect_b32 s16, s4, s6
	s_wait_kmcnt 0x0
	s_cmp_ge_u32 s16, s3
	s_cbranch_scc1 .LBB84_25
; %bb.1:
	s_clause 0x1
	s_load_b128 s[20:23], s[0:1], 0x28
	s_load_b32 s26, s[0:1], 0x0
	s_bfe_u32 s4, ttmp6, 0x4000c
	s_clause 0x1
	s_load_b32 s25, s[0:1], 0x38
	s_load_b128 s[12:15], s[0:1], 0x40
	s_add_co_i32 s4, s4, 1
	s_and_b32 s5, ttmp6, 15
	s_mul_i32 s4, ttmp9, s4
	s_delay_alu instid0(SALU_CYCLE_1)
	s_add_co_i32 s5, s5, s4
	s_wait_kmcnt 0x0
	s_lshl_b64 s[18:19], s[22:23], 2
	s_cmp_eq_u32 s2, 0
	s_add_nc_u64 s[18:19], s[20:21], s[18:19]
	s_cselect_b32 s24, ttmp9, s5
	s_load_b256 s[4:11], s[0:1], 0x8
	v_lshl_or_b32 v1, s24, 6, v0
	s_ashr_i32 s27, s26, 31
	s_wait_xcnt 0x0
	s_add_nc_u64 s[0:1], s[0:1], 0x58
	s_delay_alu instid0(VALU_DEP_1) | instskip(SKIP_2) | instid1(VALU_DEP_2)
	v_mad_u32 v2, s26, s24, v1
	v_mul_lo_u32 v0, s25, v1
	v_cmp_gt_i32_e64 s2, s26, v1
	v_dual_ashrrev_i32 v3, 31, v2 :: v_dual_ashrrev_i32 v1, 31, v0
	s_delay_alu instid0(VALU_DEP_1)
	v_lshl_add_u64 v[2:3], v[2:3], 2, s[14:15]
	s_lshl_b64 s[14:15], s[26:27], 2
	s_branch .LBB84_4
.LBB84_2:                               ;   in Loop: Header=BB84_4 Depth=1
	s_wait_xcnt 0x0
	s_or_b32 exec_lo, exec_lo, s22
.LBB84_3:                               ;   in Loop: Header=BB84_4 Depth=1
	s_add_co_i32 s16, s16, 0x10000
	s_delay_alu instid0(SALU_CYCLE_1)
	s_cmp_lt_u32 s16, s3
	s_cbranch_scc0 .LBB84_25
.LBB84_4:                               ; =>This Loop Header: Depth=1
                                        ;     Child Loop BB84_16 Depth 2
	s_wait_kmcnt 0x0
	s_mul_u64 s[20:21], s[6:7], s[16:17]
	s_mul_u64 s[22:23], s[10:11], s[16:17]
	s_lshl_b64 s[20:21], s[20:21], 2
	s_delay_alu instid0(SALU_CYCLE_1) | instskip(SKIP_3) | instid1(SALU_CYCLE_1)
	s_add_nc_u64 s[20:21], s[4:5], s[20:21]
	s_load_b32 s25, s[20:21], 0x0
	s_wait_xcnt 0x0
	s_lshl_b64 s[20:21], s[22:23], 2
	s_add_nc_u64 s[20:21], s[8:9], s[20:21]
	s_load_b32 s26, s[20:21], 0x0
	s_wait_kmcnt 0x0
	s_cmp_eq_f32 s25, 0
	s_wait_xcnt 0x0
	s_cselect_b32 s20, -1, 0
	s_cmp_eq_f32 s26, 1.0
	s_cselect_b32 s21, -1, 0
	s_delay_alu instid0(SALU_CYCLE_1) | instskip(NEXT) | instid1(SALU_CYCLE_1)
	s_and_b32 s20, s20, s21
	s_and_b32 vcc_lo, exec_lo, s20
	s_cbranch_vccnz .LBB84_3
; %bb.5:                                ;   in Loop: Header=BB84_4 Depth=1
	s_mul_u64 s[20:21], s[12:13], s[16:17]
	s_delay_alu instid0(SALU_CYCLE_1)
	s_lshl_b64 s[20:21], s[20:21], 2
	s_cmp_neq_f32 s25, 0
	s_add_nc_u64 s[20:21], s[18:19], s[20:21]
	s_cbranch_scc1 .LBB84_9
; %bb.6:                                ;   in Loop: Header=BB84_4 Depth=1
	s_mov_b32 s22, 0
	s_mov_b32 s27, 0
                                        ; implicit-def: $vgpr5
	s_and_saveexec_b32 s23, s2
	s_cbranch_execz .LBB84_10
; %bb.7:                                ;   in Loop: Header=BB84_4 Depth=1
	s_cmp_eq_f32 s26, 0
	s_cbranch_scc1 .LBB84_11
; %bb.8:                                ;   in Loop: Header=BB84_4 Depth=1
	v_lshl_add_u64 v[4:5], v[0:1], 2, s[20:21]
	global_load_b32 v4, v[4:5], off
	s_wait_loadcnt 0x0
	s_wait_xcnt 0x0
	v_mul_f32_e32 v5, s26, v4
	s_branch .LBB84_12
.LBB84_9:                               ;   in Loop: Header=BB84_4 Depth=1
	s_mov_b32 s27, 0
                                        ; implicit-def: $vgpr5
	s_cbranch_execnz .LBB84_13
	s_branch .LBB84_22
.LBB84_10:                              ;   in Loop: Header=BB84_4 Depth=1
	s_or_b32 exec_lo, exec_lo, s23
	s_delay_alu instid0(SALU_CYCLE_1)
	s_and_b32 vcc_lo, exec_lo, s22
	s_cbranch_vccnz .LBB84_13
	s_branch .LBB84_22
.LBB84_11:                              ;   in Loop: Header=BB84_4 Depth=1
	v_mov_b32_e32 v5, 0
.LBB84_12:                              ;   in Loop: Header=BB84_4 Depth=1
	s_mov_b32 s27, exec_lo
	s_or_b32 exec_lo, exec_lo, s23
	s_delay_alu instid0(SALU_CYCLE_1)
	s_and_b32 vcc_lo, exec_lo, s22
	s_cbranch_vccz .LBB84_22
.LBB84_13:                              ;   in Loop: Header=BB84_4 Depth=1
                                        ; implicit-def: $vgpr5
	s_and_saveexec_b32 s28, s2
	s_cbranch_execz .LBB84_21
; %bb.14:                               ;   in Loop: Header=BB84_4 Depth=1
	s_load_b32 s22, s[0:1], 0x0
	v_mov_b32_e32 v4, 0
	s_wait_kmcnt 0x0
	s_cmp_ge_i32 s24, s22
	s_cbranch_scc1 .LBB84_17
; %bb.15:                               ;   in Loop: Header=BB84_4 Depth=1
	s_mov_b32 s23, s17
	v_mov_b32_e32 v4, 0
	s_mul_u64 s[30:31], s[14:15], s[22:23]
	s_mov_b32 s23, s24
	v_mad_nc_u64_u32 v[6:7], s30, s16, v[2:3]
	s_delay_alu instid0(VALU_DEP_1)
	v_mad_u32 v7, s31, s16, v7
.LBB84_16:                              ;   Parent Loop BB84_4 Depth=1
                                        ; =>  This Inner Loop Header: Depth=2
	global_load_b32 v5, v[6:7], off
	s_wait_xcnt 0x0
	v_add_nc_u64_e32 v[6:7], s[14:15], v[6:7]
	s_add_co_i32 s23, s23, 1
	s_delay_alu instid0(SALU_CYCLE_1)
	s_cmp_ge_i32 s23, s22
	s_wait_loadcnt 0x0
	v_add_f32_e32 v4, v4, v5
	s_cbranch_scc0 .LBB84_16
.LBB84_17:                              ;   in Loop: Header=BB84_4 Depth=1
	s_cmp_eq_f32 s26, 0
	s_cbranch_scc0 .LBB84_24
; %bb.18:                               ;   in Loop: Header=BB84_4 Depth=1
	s_delay_alu instid0(VALU_DEP_1)
	v_mul_f32_e32 v5, s25, v4
	s_cbranch_execnz .LBB84_20
.LBB84_19:                              ;   in Loop: Header=BB84_4 Depth=1
	v_lshl_add_u64 v[6:7], v[0:1], 2, s[20:21]
	global_load_b32 v5, v[6:7], off
	s_wait_xcnt 0x0
	v_dual_mov_b32 v6, s25 :: v_dual_mov_b32 v7, s26
	s_wait_loadcnt 0x0
	s_delay_alu instid0(VALU_DEP_1) | instskip(NEXT) | instid1(VALU_DEP_1)
	v_pk_mul_f32 v[4:5], v[6:7], v[4:5]
	v_add_f32_e32 v5, v4, v5
.LBB84_20:                              ;   in Loop: Header=BB84_4 Depth=1
	s_or_b32 s27, s27, exec_lo
.LBB84_21:                              ;   in Loop: Header=BB84_4 Depth=1
	s_or_b32 exec_lo, exec_lo, s28
.LBB84_22:                              ;   in Loop: Header=BB84_4 Depth=1
	s_and_saveexec_b32 s22, s27
	s_cbranch_execz .LBB84_2
; %bb.23:                               ;   in Loop: Header=BB84_4 Depth=1
	v_lshl_add_u64 v[6:7], v[0:1], 2, s[20:21]
	global_store_b32 v[6:7], v5, off
	s_branch .LBB84_2
.LBB84_24:                              ;   in Loop: Header=BB84_4 Depth=1
                                        ; implicit-def: $vgpr5
	s_branch .LBB84_19
.LBB84_25:
	s_endpgm
	.section	.rodata,"a",@progbits
	.p2align	6, 0x0
	.amdhsa_kernel _ZL36rocblas_hemvn_kernel_lower_block_sumILi64EiPKfPffEviT1_lS3_lT2_lT0_lPT3_i
		.amdhsa_group_segment_fixed_size 0
		.amdhsa_private_segment_fixed_size 0
		.amdhsa_kernarg_size 344
		.amdhsa_user_sgpr_count 2
		.amdhsa_user_sgpr_dispatch_ptr 0
		.amdhsa_user_sgpr_queue_ptr 0
		.amdhsa_user_sgpr_kernarg_segment_ptr 1
		.amdhsa_user_sgpr_dispatch_id 0
		.amdhsa_user_sgpr_kernarg_preload_length 0
		.amdhsa_user_sgpr_kernarg_preload_offset 0
		.amdhsa_user_sgpr_private_segment_size 0
		.amdhsa_wavefront_size32 1
		.amdhsa_uses_dynamic_stack 0
		.amdhsa_enable_private_segment 0
		.amdhsa_system_sgpr_workgroup_id_x 1
		.amdhsa_system_sgpr_workgroup_id_y 0
		.amdhsa_system_sgpr_workgroup_id_z 1
		.amdhsa_system_sgpr_workgroup_info 0
		.amdhsa_system_vgpr_workitem_id 0
		.amdhsa_next_free_vgpr 8
		.amdhsa_next_free_sgpr 32
		.amdhsa_named_barrier_count 0
		.amdhsa_reserve_vcc 1
		.amdhsa_float_round_mode_32 0
		.amdhsa_float_round_mode_16_64 0
		.amdhsa_float_denorm_mode_32 3
		.amdhsa_float_denorm_mode_16_64 3
		.amdhsa_fp16_overflow 0
		.amdhsa_memory_ordered 1
		.amdhsa_forward_progress 1
		.amdhsa_inst_pref_size 6
		.amdhsa_round_robin_scheduling 0
		.amdhsa_exception_fp_ieee_invalid_op 0
		.amdhsa_exception_fp_denorm_src 0
		.amdhsa_exception_fp_ieee_div_zero 0
		.amdhsa_exception_fp_ieee_overflow 0
		.amdhsa_exception_fp_ieee_underflow 0
		.amdhsa_exception_fp_ieee_inexact 0
		.amdhsa_exception_int_div_zero 0
	.end_amdhsa_kernel
	.section	.text._ZL36rocblas_hemvn_kernel_lower_block_sumILi64EiPKfPffEviT1_lS3_lT2_lT0_lPT3_i,"axG",@progbits,_ZL36rocblas_hemvn_kernel_lower_block_sumILi64EiPKfPffEviT1_lS3_lT2_lT0_lPT3_i,comdat
.Lfunc_end84:
	.size	_ZL36rocblas_hemvn_kernel_lower_block_sumILi64EiPKfPffEviT1_lS3_lT2_lT0_lPT3_i, .Lfunc_end84-_ZL36rocblas_hemvn_kernel_lower_block_sumILi64EiPKfPffEviT1_lS3_lT2_lT0_lPT3_i
                                        ; -- End function
	.set _ZL36rocblas_hemvn_kernel_lower_block_sumILi64EiPKfPffEviT1_lS3_lT2_lT0_lPT3_i.num_vgpr, 8
	.set _ZL36rocblas_hemvn_kernel_lower_block_sumILi64EiPKfPffEviT1_lS3_lT2_lT0_lPT3_i.num_agpr, 0
	.set _ZL36rocblas_hemvn_kernel_lower_block_sumILi64EiPKfPffEviT1_lS3_lT2_lT0_lPT3_i.numbered_sgpr, 32
	.set _ZL36rocblas_hemvn_kernel_lower_block_sumILi64EiPKfPffEviT1_lS3_lT2_lT0_lPT3_i.num_named_barrier, 0
	.set _ZL36rocblas_hemvn_kernel_lower_block_sumILi64EiPKfPffEviT1_lS3_lT2_lT0_lPT3_i.private_seg_size, 0
	.set _ZL36rocblas_hemvn_kernel_lower_block_sumILi64EiPKfPffEviT1_lS3_lT2_lT0_lPT3_i.uses_vcc, 1
	.set _ZL36rocblas_hemvn_kernel_lower_block_sumILi64EiPKfPffEviT1_lS3_lT2_lT0_lPT3_i.uses_flat_scratch, 0
	.set _ZL36rocblas_hemvn_kernel_lower_block_sumILi64EiPKfPffEviT1_lS3_lT2_lT0_lPT3_i.has_dyn_sized_stack, 0
	.set _ZL36rocblas_hemvn_kernel_lower_block_sumILi64EiPKfPffEviT1_lS3_lT2_lT0_lPT3_i.has_recursion, 0
	.set _ZL36rocblas_hemvn_kernel_lower_block_sumILi64EiPKfPffEviT1_lS3_lT2_lT0_lPT3_i.has_indirect_call, 0
	.section	.AMDGPU.csdata,"",@progbits
; Kernel info:
; codeLenInByte = 740
; TotalNumSgprs: 34
; NumVgprs: 8
; ScratchSize: 0
; MemoryBound: 0
; FloatMode: 240
; IeeeMode: 1
; LDSByteSize: 0 bytes/workgroup (compile time only)
; SGPRBlocks: 0
; VGPRBlocks: 0
; NumSGPRsForWavesPerEU: 34
; NumVGPRsForWavesPerEU: 8
; NamedBarCnt: 0
; Occupancy: 16
; WaveLimiterHint : 0
; COMPUTE_PGM_RSRC2:SCRATCH_EN: 0
; COMPUTE_PGM_RSRC2:USER_SGPR: 2
; COMPUTE_PGM_RSRC2:TRAP_HANDLER: 0
; COMPUTE_PGM_RSRC2:TGID_X_EN: 1
; COMPUTE_PGM_RSRC2:TGID_Y_EN: 0
; COMPUTE_PGM_RSRC2:TGID_Z_EN: 1
; COMPUTE_PGM_RSRC2:TIDIG_COMP_CNT: 0
	.section	.text._ZL26rocblas_hemvn_kernel_lowerILb0ELi64ELi4ELi33ELi32ELi16ElfPKfPfEviT6_lT7_lT5_lS4_lS5_lS3_lT8_i,"axG",@progbits,_ZL26rocblas_hemvn_kernel_lowerILb0ELi64ELi4ELi33ELi32ELi16ElfPKfPfEviT6_lT7_lT5_lS4_lS5_lS3_lT8_i,comdat
	.globl	_ZL26rocblas_hemvn_kernel_lowerILb0ELi64ELi4ELi33ELi32ELi16ElfPKfPfEviT6_lT7_lT5_lS4_lS5_lS3_lT8_i ; -- Begin function _ZL26rocblas_hemvn_kernel_lowerILb0ELi64ELi4ELi33ELi32ELi16ElfPKfPfEviT6_lT7_lT5_lS4_lS5_lS3_lT8_i
	.p2align	8
	.type	_ZL26rocblas_hemvn_kernel_lowerILb0ELi64ELi4ELi33ELi32ELi16ElfPKfPfEviT6_lT7_lT5_lS4_lS5_lS3_lT8_i,@function
_ZL26rocblas_hemvn_kernel_lowerILb0ELi64ELi4ELi33ELi32ELi16ElfPKfPfEviT6_lT7_lT5_lS4_lS5_lS3_lT8_i: ; @_ZL26rocblas_hemvn_kernel_lowerILb0ELi64ELi4ELi33ELi32ELi16ElfPKfPfEviT6_lT7_lT5_lS4_lS5_lS3_lT8_i
; %bb.0:
	s_clause 0x1
	s_load_b64 s[2:3], s[0:1], 0x7c
	s_load_b32 s33, s[0:1], 0x68
	s_bfe_u32 s4, ttmp6, 0x40014
	s_lshr_b32 s5, ttmp7, 16
	s_add_co_i32 s4, s4, 1
	s_bfe_u32 s7, ttmp6, 0x40008
	s_mul_i32 s4, s5, s4
	s_getreg_b32 s6, hwreg(HW_REG_IB_STS2, 6, 4)
	s_add_co_i32 s7, s7, s4
	s_mov_b32 s37, 0
	s_wait_kmcnt 0x0
	s_lshr_b32 s4, s2, 16
	s_and_b32 s2, s2, 0xffff
	s_and_b32 s3, s3, 0xffff
	s_mul_i32 s2, s4, s2
	s_cmp_eq_u32 s6, 0
	s_mul_i32 s2, s2, s3
	s_cselect_b32 s34, s5, s7
	s_cmp_lg_u32 s2, 0x100
	s_cselect_b32 s2, -1, 0
	s_cmp_ge_u32 s34, s33
	s_cselect_b32 s3, -1, 0
	s_delay_alu instid0(SALU_CYCLE_1) | instskip(NEXT) | instid1(SALU_CYCLE_1)
	s_or_b32 s2, s2, s3
	s_and_b32 vcc_lo, exec_lo, s2
	s_cbranch_vccnz .LBB85_79
; %bb.1:
	s_clause 0x3
	s_load_b512 s[16:31], s[0:1], 0x10
	s_load_b32 s12, s[0:1], 0x50
	s_load_b64 s[4:5], s[0:1], 0x0
	s_load_b64 s[2:3], s[0:1], 0x60
	s_add_nc_u64 s[8:9], s[0:1], 0x70
	s_wait_xcnt 0x0
	s_bfe_u32 s1, ttmp6, 0x4000c
	v_and_b32_e32 v16, 0x3ff, v0
	v_bfe_u32 v1, v0, 10, 10
	s_add_co_i32 s1, s1, 1
	s_and_b32 s0, ttmp6, 15
	s_mul_i32 s1, ttmp9, s1
	s_load_b32 s36, s[8:9], 0x0
	s_add_co_i32 s0, s0, s1
	v_dual_mov_b32 v21, 0 :: v_dual_bitop2_b32 v18, 31, v0 bitop3:0x40
	s_cmp_eq_u32 s6, 0
	v_lshl_add_u32 v8, v1, 6, v16
	s_cselect_b32 s88, ttmp9, s0
	s_delay_alu instid0(VALU_DEP_2) | instskip(NEXT) | instid1(VALU_DEP_2)
	v_dual_lshlrev_b32 v17, 2, v16 :: v_dual_mov_b32 v19, v21
	v_dual_lshlrev_b32 v9, 2, v18 :: v_dual_lshrrev_b32 v10, 5, v8
	s_wait_kmcnt 0x0
	s_lshl_b64 s[6:7], s[26:27], 2
	s_lshl_b64 s[10:11], s[18:19], 2
	s_cmp_neq_f32 s12, 1.0
	s_mul_i32 s8, s4, s88
	v_mad_nc_u64_u32 v[2:3], s20, v10, v[18:19]
	v_sub_nc_u64_e32 v[24:25], 0, v[18:19]
	s_cselect_b32 s1, -1, 0
	s_cmp_neq_f32 s5, 0
	s_add_nc_u64 s[6:7], s[24:25], s[6:7]
	s_add_nc_u64 s[10:11], s[16:17], s[10:11]
	v_add_nc_u32_e32 v12, 8, v10
	s_cselect_b32 s9, -1, 0
	s_ashr_i32 s5, s4, 31
	s_add_co_i32 s13, s36, -1
	s_lshr_b32 s12, s5, 26
	s_lshl_b32 s18, s88, 6
	s_add_co_i32 s12, s4, s12
	s_or_b32 s89, s9, s1
	s_and_not1_b32 s12, s12, 63
	v_mad_u32 v3, s21, v10, v3
	s_sub_co_i32 s1, s4, s12
	s_cmp_eq_u32 s88, s13
	v_cndmask_b32_e64 v19, 0, 1, s9
	s_cselect_b32 s38, s1, 0
	s_mul_u64 s[24:25], s[36:37], s[4:5]
	s_cmp_eq_u32 s38, 0
	v_add_nc_u32_e32 v22, s18, v16
	s_cselect_b32 s12, -1, 0
	s_ashr_i32 s9, s8, 31
	s_ashr_i32 s19, s18, 31
	s_lshl_b64 s[4:5], s[8:9], 2
	s_lshl_b64 s[8:9], s[18:19], 2
	s_mul_u64 s[50:51], s[20:21], s[18:19]
	s_add_nc_u64 s[8:9], s[10:11], s[8:9]
	v_lshl_or_b32 v40, v18, 7, v9
	v_lshl_add_u64 v[6:7], v[2:3], 2, s[8:9]
	v_cmp_gt_i32_e32 vcc_lo, s38, v16
	v_mul_u32_u24_e32 v30, 33, v18
	v_mul_u32_u24_e32 v11, 0x84, v10
	v_cndmask_b32_e64 v39, 0, 1, s12
	v_lshl_add_u64 v[26:27], s[50:51], 2, v[6:7]
	v_dual_lshlrev_b32 v6, 2, v10 :: v_dual_lshlrev_b32 v7, 4, v10
	v_ashrrev_i32_e32 v23, 31, v22
	s_or_b32 s90, s12, vcc_lo
	s_cmp_lg_u32 s38, 0
	s_delay_alu instid0(VALU_DEP_2)
	v_lshl_add_u32 v43, v30, 2, v6
	v_add_nc_u32_e32 v41, v40, v7
	v_mul_u64_e32 v[4:5], s[28:29], v[22:23]
	s_cselect_b32 s17, -1, 0
	s_sub_co_i32 s15, s38, 32
	s_add_nc_u64 s[40:41], s[2:3], s[4:5]
	v_cmp_gt_i32_e64 s2, s38, v10
	v_mul_u32_u24_e32 v14, 0x210, v10
	v_cmp_gt_i32_e64 s12, s15, v10
	v_cmp_gt_i32_e64 s13, s15, v12
	v_cmp_eq_u32_e64 s16, 1, v10
	v_mad_u32_u24 v44, v10, 12, v43
	v_or_b32_e32 v13, 1, v6
	v_or_b32_e32 v15, 2, v6
	v_sub_nc_u64_e32 v[30:31], 0, v[2:3]
	v_lshrrev_b32_e32 v2, 2, v8
	v_cmp_le_i32_e32 vcc_lo, s38, v16
	v_add_nc_u32_e32 v42, 0x11c0, v7
	v_cmp_lt_u32_e64 s8, v15, v18
	v_mad_u32_u24 v47, 0x430, v1, v17
	v_and_b32_e32 v2, 0x1ffc, v2
	v_dual_add_nc_u32 v56, v9, v14 :: v_dual_bitop2_b32 v7, 60, v17 bitop3:0x54
	v_cmp_eq_u32_e64 s0, 0, v1
	s_and_b32 s17, s17, vcc_lo
	s_mul_u64 s[18:19], s[28:29], s[18:19]
	v_add_nc_u32_e32 v38, 0x11c0, v17
	v_cmp_gt_i32_e64 s1, s38, v18
	s_lshl_b64 s[42:43], s[20:21], 5
	s_lshl_b64 s[44:45], s[20:21], 6
	v_add_nc_u32_e32 v55, v9, v11
	s_ashr_i32 s39, s38, 31
	v_cmp_gt_i32_e64 s3, s38, v12
	v_cmp_gt_u32_e64 s10, 32, v8
	v_lshl_add_u64 v[28:29], v[4:5], 2, s[6:7]
	v_dual_add_nc_u32 v4, 16, v10 :: v_dual_add_nc_u32 v5, 24, v10
	v_cmp_lt_u32_e64 s6, v6, v18
	s_xor_b32 s35, s17, -1
	s_sub_nc_u64 s[48:49], 0, s[18:19]
	v_cmp_gt_i32_e64 s4, s38, v4
	v_cmp_gt_i32_e64 s5, s38, v5
	;; [unrolled: 1-line block ×4, first 2 shown]
	v_mul_i32_i24_e32 v4, -12, v10
	v_and_b32_e32 v10, 0x7ff0, v8
	v_and_b32_e32 v5, 15, v0
	v_and_b32_e32 v0, 48, v0
	v_or_b32_e32 v20, 3, v6
	v_dual_add_nc_u32 v53, v42, v4 :: v_dual_bitop2_b32 v15, 32, v18 bitop3:0x54
	s_delay_alu instid0(VALU_DEP_4) | instskip(NEXT) | instid1(VALU_DEP_4)
	v_mul_u32_u24_e32 v3, 0x10c, v5
	v_lshlrev_b32_e32 v0, 2, v0
	s_delay_alu instid0(VALU_DEP_4)
	v_cmp_lt_u32_e64 s9, v20, v18
	v_lshlrev_b32_e32 v20, 2, v1
	v_cmp_lt_u32_e64 s7, v13, v18
	v_mul_u32_u24_e32 v13, 0x84, v13
	v_cmp_gt_i32_e64 s11, s38, v15
	v_add_nc_u32_e32 v45, 0x10c0, v17
	v_mul_u64_e32 v[32:33], s[20:21], v[20:21]
	v_lshl_add_u32 v46, v1, 4, 0x10c0
	v_cmp_gt_u32_e64 s18, 64, v8
	v_mad_i32_i24 v51, 0xfffffcdc, v1, v47
	v_add_nc_u32_e32 v52, 0x11c0, v6
	v_add_nc_u32_e32 v54, v3, v10
	v_mad_u32_u24 v48, 0x10c, v5, v2
	v_mad_u32_u24 v49, 0x10c, v5, v0
	;; [unrolled: 1-line block ×3, first 2 shown]
	v_add_nc_u32_e32 v57, v9, v13
	s_cmp_gt_i32 s88, 0
	s_mul_u64 s[26:27], s[20:21], 0x60
	s_sub_nc_u64 s[46:47], 0, s[42:43]
	s_cselect_b32 s19, -1, 0
	s_sub_nc_u64 s[50:51], 0, s[50:51]
	s_and_b32 s91, s0, s35
	s_sub_nc_u64 s[52:53], 0, s[38:39]
	s_lshl_b64 s[54:55], s[20:21], 2
	s_lshl_b64 s[56:57], s[20:21], 8
	;; [unrolled: 1-line block ×3, first 2 shown]
	s_mul_u64 s[60:61], s[20:21], 12
	s_mul_u64 s[62:63], s[20:21], 0x48
	;; [unrolled: 1-line block ×9, first 2 shown]
	s_mov_b64 s[78:79], 0xffffffffffffff7c
	s_mov_b64 s[80:81], 0xffffffffffffff80
	s_mul_u64 s[82:83], s[20:21], 0x84
	s_lshl_b64 s[84:85], s[20:21], 7
	s_mul_u64 s[20:21], s[20:21], 0x44
	s_branch .LBB85_4
.LBB85_2:                               ;   in Loop: Header=BB85_4 Depth=1
	s_wait_xcnt 0x0
	s_or_b32 exec_lo, exec_lo, s35
.LBB85_3:                               ;   in Loop: Header=BB85_4 Depth=1
	s_add_co_i32 s34, s34, 0x10000
	s_delay_alu instid0(SALU_CYCLE_1)
	s_cmp_lt_u32 s34, s33
	s_cbranch_scc0 .LBB85_79
.LBB85_4:                               ; =>This Loop Header: Depth=1
                                        ;     Child Loop BB85_67 Depth 2
	s_and_not1_b32 vcc_lo, exec_lo, s89
	s_cbranch_vccnz .LBB85_3
; %bb.5:                                ;   in Loop: Header=BB85_4 Depth=1
	v_cmp_ne_u32_e32 vcc_lo, 1, v19
	s_cbranch_vccnz .LBB85_3
; %bb.6:                                ;   in Loop: Header=BB85_4 Depth=1
	s_mov_b32 s35, s37
	s_delay_alu instid0(SALU_CYCLE_1) | instskip(NEXT) | instid1(SALU_CYCLE_1)
	s_mul_u64 s[86:87], s[30:31], s[34:35]
	v_lshl_add_u64 v[4:5], s[86:87], 2, v[28:29]
	s_and_saveexec_b32 s36, s0
	s_cbranch_execz .LBB85_10
; %bb.7:                                ;   in Loop: Header=BB85_4 Depth=1
	v_mov_b32_e32 v0, 0
	s_and_saveexec_b32 s86, s90
	s_cbranch_execz .LBB85_9
; %bb.8:                                ;   in Loop: Header=BB85_4 Depth=1
	global_load_b32 v0, v[4:5], off
.LBB85_9:                               ;   in Loop: Header=BB85_4 Depth=1
	s_wait_xcnt 0x0
	s_or_b32 exec_lo, exec_lo, s86
	s_wait_loadcnt 0x0
	ds_store_b32 v38, v0
.LBB85_10:                              ;   in Loop: Header=BB85_4 Depth=1
	s_or_b32 exec_lo, exec_lo, s36
	v_cmp_ne_u32_e32 vcc_lo, 1, v39
	s_mul_u64 s[86:87], s[22:23], s[34:35]
	s_mov_b32 s36, -1
	v_lshl_add_u64 v[0:1], s[86:87], 2, v[26:27]
	s_cbranch_vccnz .LBB85_12
; %bb.11:                               ;   in Loop: Header=BB85_4 Depth=1
	s_delay_alu instid0(VALU_DEP_1) | instskip(SKIP_1) | instid1(VALU_DEP_1)
	v_add_nc_u64_e32 v[2:3], s[42:43], v[0:1]
	s_mov_b32 s36, 0
	v_add_nc_u64_e32 v[6:7], s[42:43], v[2:3]
	s_delay_alu instid0(VALU_DEP_1)
	v_add_nc_u64_e32 v[8:9], s[42:43], v[6:7]
	s_clause 0x3
	global_load_b32 v10, v[0:1], off
	global_load_b32 v2, v[2:3], off
	;; [unrolled: 1-line block ×4, first 2 shown]
	s_wait_loadcnt 0x3
	ds_store_b32 v55, v10
	s_wait_loadcnt 0x2
	ds_store_b32 v55, v2 offset:1056
	s_wait_loadcnt 0x1
	ds_store_b32 v55, v3 offset:2112
	;; [unrolled: 2-line block ×3, first 2 shown]
.LBB85_12:                              ;   in Loop: Header=BB85_4 Depth=1
	s_and_not1_b32 vcc_lo, exec_lo, s36
	s_cbranch_vccnz .LBB85_22
; %bb.13:                               ;   in Loop: Header=BB85_4 Depth=1
	s_delay_alu instid0(VALU_DEP_1) | instskip(SKIP_1) | instid1(VALU_DEP_2)
	v_lshl_add_u64 v[2:3], v[24:25], 2, v[0:1]
	v_mov_b32_e32 v6, 0
	v_lshl_add_u64 v[2:3], s[38:39], 2, v[2:3]
	s_delay_alu instid0(VALU_DEP_1) | instskip(NEXT) | instid1(VALU_DEP_1)
	v_add_nc_u64_e32 v[2:3], -4, v[2:3]
	v_dual_mov_b32 v7, 0 :: v_dual_cndmask_b32 v3, v3, v1, s1
	s_delay_alu instid0(VALU_DEP_2)
	v_cndmask_b32_e64 v2, v2, v0, s1
	s_wait_xcnt 0x0
	s_and_saveexec_b32 s36, s2
	s_cbranch_execz .LBB85_15
; %bb.14:                               ;   in Loop: Header=BB85_4 Depth=1
	global_load_b32 v6, v[2:3], off
.LBB85_15:                              ;   in Loop: Header=BB85_4 Depth=1
	s_wait_xcnt 0x0
	s_or_b32 exec_lo, exec_lo, s36
	s_wait_loadcnt 0x0
	ds_store_b32 v55, v6
	s_and_saveexec_b32 s36, s3
	s_cbranch_execz .LBB85_17
; %bb.16:                               ;   in Loop: Header=BB85_4 Depth=1
	v_add_nc_u64_e32 v[6:7], s[42:43], v[2:3]
	global_load_b32 v7, v[6:7], off
.LBB85_17:                              ;   in Loop: Header=BB85_4 Depth=1
	s_wait_xcnt 0x0
	s_or_b32 exec_lo, exec_lo, s36
	v_dual_mov_b32 v6, 0 :: v_dual_mov_b32 v8, 0
	s_wait_loadcnt 0x0
	ds_store_b32 v55, v7 offset:1056
	s_and_saveexec_b32 s36, s4
	s_cbranch_execz .LBB85_19
; %bb.18:                               ;   in Loop: Header=BB85_4 Depth=1
	v_add_nc_u64_e32 v[8:9], s[44:45], v[2:3]
	global_load_b32 v8, v[8:9], off
.LBB85_19:                              ;   in Loop: Header=BB85_4 Depth=1
	s_wait_xcnt 0x0
	s_or_b32 exec_lo, exec_lo, s36
	s_wait_loadcnt 0x0
	ds_store_b32 v55, v8 offset:2112
	s_and_saveexec_b32 s36, s5
	s_cbranch_execz .LBB85_21
; %bb.20:                               ;   in Loop: Header=BB85_4 Depth=1
	v_add_nc_u64_e32 v[6:7], s[26:27], v[2:3]
	global_load_b32 v6, v[6:7], off
.LBB85_21:                              ;   in Loop: Header=BB85_4 Depth=1
	s_wait_xcnt 0x0
	s_or_b32 exec_lo, exec_lo, s36
	v_lshlrev_b32_e32 v20, 2, v18
	s_wait_loadcnt 0x0
	ds_store_b32 v55, v6 offset:3168
	v_add_nc_u64_e32 v[2:3], v[2:3], v[20:21]
	s_delay_alu instid0(VALU_DEP_1) | instskip(NEXT) | instid1(VALU_DEP_1)
	v_lshl_add_u64 v[2:3], s[52:53], 2, v[2:3]
	v_add_nc_u64_e32 v[2:3], 4, v[2:3]
	s_delay_alu instid0(VALU_DEP_1)
	v_dual_cndmask_b32 v1, v3, v1, s1 :: v_dual_cndmask_b32 v0, v2, v0, s1
.LBB85_22:                              ;   in Loop: Header=BB85_4 Depth=1
	s_wait_dscnt 0x0
	s_barrier_signal -1
	s_barrier_wait -1
	s_wait_xcnt 0x0
	s_and_saveexec_b32 s36, s6
	s_cbranch_execnz .LBB85_73
; %bb.23:                               ;   in Loop: Header=BB85_4 Depth=1
	s_or_b32 exec_lo, exec_lo, s36
	s_and_saveexec_b32 s36, s7
	s_cbranch_execnz .LBB85_74
.LBB85_24:                              ;   in Loop: Header=BB85_4 Depth=1
	s_or_b32 exec_lo, exec_lo, s36
	s_and_saveexec_b32 s36, s8
	s_cbranch_execnz .LBB85_75
.LBB85_25:                              ;   in Loop: Header=BB85_4 Depth=1
	s_or_b32 exec_lo, exec_lo, s36
	s_and_saveexec_b32 s36, s9
	s_cbranch_execz .LBB85_27
.LBB85_26:                              ;   in Loop: Header=BB85_4 Depth=1
	ds_load_b32 v2, v57 offset:264
	s_wait_dscnt 0x0
	ds_store_b32 v41, v2 offset:12
.LBB85_27:                              ;   in Loop: Header=BB85_4 Depth=1
	s_or_b32 exec_lo, exec_lo, s36
	s_wait_dscnt 0x0
	s_barrier_signal -1
	s_barrier_wait -1
	ds_load_2addr_b32 v[2:3], v57 offset1:33
	ds_load_b32 v10, v56
	ds_load_b128 v[6:9], v42
	ds_load_b32 v13, v57 offset:264
	s_wait_dscnt 0x0
	s_barrier_signal -1
	s_barrier_wait -1
	v_dual_mov_b32 v58, 0 :: v_dual_mov_b32 v11, v2
	v_mov_b32_e32 v12, v3
	s_delay_alu instid0(VALU_DEP_2) | instskip(NEXT) | instid1(VALU_DEP_2)
	v_pk_mul_f32 v[6:7], v[10:11], v[6:7]
	v_pk_mul_f32 v[2:3], v[12:13], v[8:9]
	s_delay_alu instid0(VALU_DEP_2) | instskip(NEXT) | instid1(VALU_DEP_1)
	v_add_f32_e32 v6, 0, v6
	v_add_f32_e32 v6, v6, v7
	s_delay_alu instid0(VALU_DEP_1) | instskip(NEXT) | instid1(VALU_DEP_1)
	v_add_f32_e32 v2, v6, v2
	v_add_f32_e32 v2, v2, v3
	ds_store_b32 v43, v2
	s_wait_dscnt 0x0
	s_barrier_signal -1
	s_barrier_wait -1
	s_and_saveexec_b32 s36, s10
	s_cbranch_execz .LBB85_29
; %bb.28:                               ;   in Loop: Header=BB85_4 Depth=1
	ds_load_2addr_b32 v[2:3], v40 offset1:1
	ds_load_2addr_b32 v[6:7], v40 offset0:2 offset1:3
	ds_load_2addr_b32 v[8:9], v40 offset0:4 offset1:5
	;; [unrolled: 1-line block ×3, first 2 shown]
	s_wait_dscnt 0x3
	v_add_f32_e32 v2, v2, v3
	s_wait_dscnt 0x2
	s_delay_alu instid0(VALU_DEP_1) | instskip(NEXT) | instid1(VALU_DEP_1)
	v_add_f32_e32 v2, v2, v6
	v_add_f32_e32 v2, v2, v7
	s_wait_dscnt 0x1
	s_delay_alu instid0(VALU_DEP_1) | instskip(NEXT) | instid1(VALU_DEP_1)
	v_add_f32_e32 v2, v2, v8
	;; [unrolled: 4-line block ×3, first 2 shown]
	v_add_f32_e32 v58, v2, v11
.LBB85_29:                              ;   in Loop: Header=BB85_4 Depth=1
	s_or_b32 exec_lo, exec_lo, s36
	v_cmp_ne_u32_e32 vcc_lo, 1, v39
	v_lshl_add_u64 v[2:3], s[42:43], 2, v[0:1]
	s_mov_b32 s36, -1
	s_barrier_signal -1
	s_barrier_wait -1
	s_cbranch_vccnz .LBB85_31
; %bb.30:                               ;   in Loop: Header=BB85_4 Depth=1
	v_add_nc_u64_e32 v[0:1], s[42:43], v[2:3]
	s_mov_b32 s36, 0
	s_delay_alu instid0(VALU_DEP_1) | instskip(NEXT) | instid1(VALU_DEP_1)
	v_add_nc_u64_e32 v[6:7], s[42:43], v[0:1]
	v_add_nc_u64_e32 v[8:9], s[42:43], v[6:7]
	s_clause 0x3
	global_load_b32 v10, v[2:3], off offset:128
	global_load_b32 v0, v[0:1], off offset:128
	;; [unrolled: 1-line block ×4, first 2 shown]
	s_wait_loadcnt 0x3
	ds_store_b32 v55, v10
	s_wait_loadcnt 0x2
	ds_store_b32 v55, v0 offset:1056
	s_wait_loadcnt 0x1
	ds_store_b32 v55, v1 offset:2112
	;; [unrolled: 2-line block ×3, first 2 shown]
.LBB85_31:                              ;   in Loop: Header=BB85_4 Depth=1
	v_add_nc_u64_e32 v[0:1], 0x80, v[2:3]
	s_and_not1_b32 vcc_lo, exec_lo, s36
	s_cbranch_vccnz .LBB85_41
; %bb.32:                               ;   in Loop: Header=BB85_4 Depth=1
	v_lshl_add_u64 v[2:3], v[24:25], 2, v[2:3]
	v_mov_b32_e32 v6, 0
	s_delay_alu instid0(VALU_DEP_2) | instskip(NEXT) | instid1(VALU_DEP_1)
	v_lshl_add_u64 v[2:3], s[38:39], 2, v[2:3]
	v_add_nc_u64_e32 v[2:3], -4, v[2:3]
	s_delay_alu instid0(VALU_DEP_1) | instskip(NEXT) | instid1(VALU_DEP_2)
	v_dual_mov_b32 v7, 0 :: v_dual_cndmask_b32 v3, v3, v1, s11
	v_cndmask_b32_e64 v2, v2, v0, s11
	s_wait_xcnt 0x0
	s_and_saveexec_b32 s36, s12
	s_cbranch_execz .LBB85_34
; %bb.33:                               ;   in Loop: Header=BB85_4 Depth=1
	global_load_b32 v6, v[2:3], off
.LBB85_34:                              ;   in Loop: Header=BB85_4 Depth=1
	s_wait_xcnt 0x0
	s_or_b32 exec_lo, exec_lo, s36
	s_wait_loadcnt 0x0
	ds_store_b32 v55, v6
	s_and_saveexec_b32 s36, s13
	s_cbranch_execz .LBB85_36
; %bb.35:                               ;   in Loop: Header=BB85_4 Depth=1
	v_add_nc_u64_e32 v[6:7], s[42:43], v[2:3]
	global_load_b32 v7, v[6:7], off
.LBB85_36:                              ;   in Loop: Header=BB85_4 Depth=1
	s_wait_xcnt 0x0
	s_or_b32 exec_lo, exec_lo, s36
	v_dual_mov_b32 v6, 0 :: v_dual_mov_b32 v8, 0
	s_wait_loadcnt 0x0
	ds_store_b32 v55, v7 offset:1056
	s_and_saveexec_b32 s36, s14
	s_cbranch_execz .LBB85_38
; %bb.37:                               ;   in Loop: Header=BB85_4 Depth=1
	v_add_nc_u64_e32 v[8:9], s[44:45], v[2:3]
	global_load_b32 v8, v[8:9], off
.LBB85_38:                              ;   in Loop: Header=BB85_4 Depth=1
	s_wait_xcnt 0x0
	s_or_b32 exec_lo, exec_lo, s36
	s_wait_loadcnt 0x0
	ds_store_b32 v55, v8 offset:2112
	s_and_saveexec_b32 s36, s15
	s_cbranch_execz .LBB85_40
; %bb.39:                               ;   in Loop: Header=BB85_4 Depth=1
	v_add_nc_u64_e32 v[6:7], s[26:27], v[2:3]
	global_load_b32 v6, v[6:7], off
.LBB85_40:                              ;   in Loop: Header=BB85_4 Depth=1
	s_wait_xcnt 0x0
	s_or_b32 exec_lo, exec_lo, s36
	v_lshlrev_b32_e32 v20, 2, v18
	s_wait_loadcnt 0x0
	ds_store_b32 v55, v6 offset:3168
	v_add_nc_u64_e32 v[2:3], v[2:3], v[20:21]
	s_delay_alu instid0(VALU_DEP_1) | instskip(NEXT) | instid1(VALU_DEP_1)
	v_lshl_add_u64 v[2:3], s[52:53], 2, v[2:3]
	v_add_nc_u64_e32 v[2:3], 0x84, v[2:3]
	s_delay_alu instid0(VALU_DEP_1)
	v_dual_cndmask_b32 v1, v3, v1, s11 :: v_dual_cndmask_b32 v0, v2, v0, s11
.LBB85_41:                              ;   in Loop: Header=BB85_4 Depth=1
	s_wait_dscnt 0x0
	s_barrier_signal -1
	s_barrier_wait -1
	s_wait_xcnt 0x0
	s_and_saveexec_b32 s36, s6
	s_cbranch_execnz .LBB85_76
; %bb.42:                               ;   in Loop: Header=BB85_4 Depth=1
	s_or_b32 exec_lo, exec_lo, s36
	s_and_saveexec_b32 s36, s7
	s_cbranch_execnz .LBB85_77
.LBB85_43:                              ;   in Loop: Header=BB85_4 Depth=1
	s_or_b32 exec_lo, exec_lo, s36
	s_and_saveexec_b32 s36, s8
	s_cbranch_execnz .LBB85_78
.LBB85_44:                              ;   in Loop: Header=BB85_4 Depth=1
	s_or_b32 exec_lo, exec_lo, s36
	s_and_saveexec_b32 s36, s9
	s_cbranch_execz .LBB85_46
.LBB85_45:                              ;   in Loop: Header=BB85_4 Depth=1
	ds_load_b32 v2, v57 offset:264
	s_wait_dscnt 0x0
	ds_store_b32 v41, v2 offset:12
.LBB85_46:                              ;   in Loop: Header=BB85_4 Depth=1
	s_or_b32 exec_lo, exec_lo, s36
	s_wait_dscnt 0x0
	s_barrier_signal -1
	s_barrier_wait -1
	ds_load_2addr_b32 v[2:3], v57 offset1:33
	ds_load_b32 v10, v56
	ds_load_b128 v[6:9], v42 offset:128
	ds_load_b32 v13, v57 offset:264
	s_wait_dscnt 0x0
	s_barrier_signal -1
	s_barrier_wait -1
	v_dual_mov_b32 v11, v2 :: v_dual_mov_b32 v12, v3
	s_delay_alu instid0(VALU_DEP_1) | instskip(NEXT) | instid1(VALU_DEP_2)
	v_pk_mul_f32 v[6:7], v[10:11], v[6:7]
	v_pk_mul_f32 v[2:3], v[12:13], v[8:9]
	s_delay_alu instid0(VALU_DEP_2) | instskip(NEXT) | instid1(VALU_DEP_1)
	v_add_f32_e32 v6, 0, v6
	v_add_f32_e32 v6, v6, v7
	s_delay_alu instid0(VALU_DEP_1) | instskip(NEXT) | instid1(VALU_DEP_1)
	v_add_f32_e32 v2, v6, v2
	v_add_f32_e32 v2, v2, v3
	ds_store_b32 v43, v2
	s_wait_dscnt 0x0
	s_barrier_signal -1
	s_barrier_wait -1
	s_and_saveexec_b32 s36, s16
	s_cbranch_execz .LBB85_48
; %bb.47:                               ;   in Loop: Header=BB85_4 Depth=1
	ds_load_2addr_b32 v[2:3], v40 offset1:1
	ds_load_2addr_b32 v[6:7], v40 offset0:2 offset1:3
	ds_load_2addr_b32 v[8:9], v40 offset0:4 offset1:5
	;; [unrolled: 1-line block ×3, first 2 shown]
	s_wait_dscnt 0x3
	v_add_f32_e32 v2, v2, v3
	s_wait_dscnt 0x2
	s_delay_alu instid0(VALU_DEP_1) | instskip(NEXT) | instid1(VALU_DEP_1)
	v_add_f32_e32 v2, v2, v6
	v_add_f32_e32 v2, v2, v7
	s_wait_dscnt 0x1
	s_delay_alu instid0(VALU_DEP_1) | instskip(NEXT) | instid1(VALU_DEP_1)
	v_add_f32_e32 v2, v2, v8
	v_add_f32_e32 v2, v2, v9
	s_wait_dscnt 0x0
	s_delay_alu instid0(VALU_DEP_1) | instskip(NEXT) | instid1(VALU_DEP_1)
	v_add_f32_e32 v2, v2, v10
	v_add_f32_e32 v58, v2, v11
.LBB85_48:                              ;   in Loop: Header=BB85_4 Depth=1
	s_or_b32 exec_lo, exec_lo, s36
	v_cmp_ne_u32_e32 vcc_lo, 1, v39
	v_lshl_add_u64 v[6:7], s[46:47], 2, v[0:1]
	s_mov_b32 s36, -1
	s_barrier_signal -1
	s_barrier_wait -1
	s_cbranch_vccnz .LBB85_50
; %bb.49:                               ;   in Loop: Header=BB85_4 Depth=1
	v_add_nc_u64_e32 v[0:1], s[42:43], v[6:7]
	s_mov_b32 s36, 0
	s_delay_alu instid0(VALU_DEP_1) | instskip(NEXT) | instid1(VALU_DEP_1)
	v_add_nc_u64_e32 v[2:3], s[42:43], v[0:1]
	v_add_nc_u64_e32 v[8:9], s[42:43], v[2:3]
	s_clause 0x3
	global_load_b32 v10, v[6:7], off
	global_load_b32 v0, v[0:1], off
	;; [unrolled: 1-line block ×4, first 2 shown]
	s_wait_loadcnt 0x3
	ds_store_b32 v55, v10
	s_wait_loadcnt 0x2
	ds_store_b32 v55, v0 offset:1056
	s_wait_loadcnt 0x1
	ds_store_b32 v55, v1 offset:2112
	;; [unrolled: 2-line block ×3, first 2 shown]
.LBB85_50:                              ;   in Loop: Header=BB85_4 Depth=1
	s_and_not1_b32 vcc_lo, exec_lo, s36
	s_cbranch_vccnz .LBB85_60
; %bb.51:                               ;   in Loop: Header=BB85_4 Depth=1
	v_lshl_add_u64 v[0:1], v[24:25], 2, v[6:7]
	v_mov_b32_e32 v2, 0
	s_delay_alu instid0(VALU_DEP_2) | instskip(NEXT) | instid1(VALU_DEP_1)
	v_lshl_add_u64 v[0:1], s[38:39], 2, v[0:1]
	v_add_nc_u64_e32 v[0:1], s[78:79], v[0:1]
	s_delay_alu instid0(VALU_DEP_1) | instskip(NEXT) | instid1(VALU_DEP_2)
	v_dual_mov_b32 v3, 0 :: v_dual_cndmask_b32 v1, v1, v7, s11
	v_cndmask_b32_e64 v0, v0, v6, s11
	s_wait_xcnt 0x0
	s_and_saveexec_b32 s36, s2
	s_cbranch_execz .LBB85_53
; %bb.52:                               ;   in Loop: Header=BB85_4 Depth=1
	global_load_b32 v2, v[0:1], off
.LBB85_53:                              ;   in Loop: Header=BB85_4 Depth=1
	s_wait_xcnt 0x0
	s_or_b32 exec_lo, exec_lo, s36
	s_wait_loadcnt 0x0
	ds_store_b32 v55, v2
	s_and_saveexec_b32 s36, s3
	s_cbranch_execz .LBB85_55
; %bb.54:                               ;   in Loop: Header=BB85_4 Depth=1
	v_add_nc_u64_e32 v[2:3], s[42:43], v[0:1]
	global_load_b32 v3, v[2:3], off
.LBB85_55:                              ;   in Loop: Header=BB85_4 Depth=1
	s_wait_xcnt 0x0
	s_or_b32 exec_lo, exec_lo, s36
	v_dual_mov_b32 v2, 0 :: v_dual_mov_b32 v8, 0
	s_wait_loadcnt 0x0
	ds_store_b32 v55, v3 offset:1056
	s_and_saveexec_b32 s36, s4
	s_cbranch_execz .LBB85_57
; %bb.56:                               ;   in Loop: Header=BB85_4 Depth=1
	v_add_nc_u64_e32 v[8:9], s[44:45], v[0:1]
	global_load_b32 v8, v[8:9], off
.LBB85_57:                              ;   in Loop: Header=BB85_4 Depth=1
	s_wait_xcnt 0x0
	s_or_b32 exec_lo, exec_lo, s36
	s_wait_loadcnt 0x0
	ds_store_b32 v55, v8 offset:2112
	s_and_saveexec_b32 s36, s5
	s_cbranch_execz .LBB85_59
; %bb.58:                               ;   in Loop: Header=BB85_4 Depth=1
	v_add_nc_u64_e32 v[2:3], s[26:27], v[0:1]
	global_load_b32 v2, v[2:3], off
.LBB85_59:                              ;   in Loop: Header=BB85_4 Depth=1
	s_wait_xcnt 0x0
	s_or_b32 exec_lo, exec_lo, s36
	v_lshlrev_b32_e32 v20, 2, v18
	s_wait_loadcnt 0x0
	ds_store_b32 v55, v2 offset:3168
	v_add_nc_u64_e32 v[0:1], v[0:1], v[20:21]
	s_delay_alu instid0(VALU_DEP_1) | instskip(NEXT) | instid1(VALU_DEP_1)
	v_lshl_add_u64 v[0:1], s[52:53], 2, v[0:1]
	v_add_nc_u64_e32 v[0:1], 0x84, v[0:1]
	s_delay_alu instid0(VALU_DEP_1)
	v_dual_cndmask_b32 v7, v1, v7, s11 :: v_dual_cndmask_b32 v6, v0, v6, s11
.LBB85_60:                              ;   in Loop: Header=BB85_4 Depth=1
	s_wait_dscnt 0x0
	s_barrier_signal -1
	s_barrier_wait -1
	ds_load_2addr_b32 v[0:1], v52 offset0:8 offset1:16
	ds_load_b32 v2, v55
	ds_load_b32 v3, v55 offset:1056
	ds_load_b32 v12, v55 offset:2112
	;; [unrolled: 1-line block ×3, first 2 shown]
	s_wait_xcnt 0x0
	ds_load_b32 v8, v53
	ds_load_b32 v15, v52 offset:96
	s_wait_dscnt 0x6
	v_dual_mov_b32 v9, v0 :: v_dual_mov_b32 v14, v1
	s_wait_dscnt 0x1
	s_delay_alu instid0(VALU_DEP_1)
	v_pk_mul_f32 v[34:35], v[2:3], v[8:9]
	ds_load_2addr_b32 v[10:11], v44 offset1:1
	ds_load_b128 v[0:3], v42 offset:128
	ds_load_2addr_b32 v[8:9], v44 offset0:2 offset1:3
	s_wait_dscnt 0x3
	v_pk_mul_f32 v[12:13], v[12:13], v[14:15]
	s_wait_dscnt 0x0
	s_barrier_signal -1
	v_add_f32_e32 v20, 0, v34
	s_barrier_wait -1
	s_delay_alu instid0(VALU_DEP_1) | instskip(NEXT) | instid1(VALU_DEP_1)
	v_add_f32_e32 v14, v20, v35
	v_add_f32_e32 v12, v14, v12
	s_delay_alu instid0(VALU_DEP_1)
	v_add_f32_e32 v12, v12, v13
	ds_store_b32 v43, v12
	s_wait_dscnt 0x0
	s_barrier_signal -1
	s_barrier_wait -1
	s_and_saveexec_b32 s36, s16
	s_cbranch_execz .LBB85_62
; %bb.61:                               ;   in Loop: Header=BB85_4 Depth=1
	ds_load_2addr_b32 v[12:13], v40 offset1:1
	ds_load_2addr_b32 v[14:15], v40 offset0:2 offset1:3
	ds_load_2addr_b32 v[34:35], v40 offset0:4 offset1:5
	;; [unrolled: 1-line block ×3, first 2 shown]
	s_wait_dscnt 0x3
	v_add_f32_e32 v12, v58, v12
	s_delay_alu instid0(VALU_DEP_1) | instskip(SKIP_1) | instid1(VALU_DEP_1)
	v_add_f32_e32 v12, v12, v13
	s_wait_dscnt 0x2
	v_add_f32_e32 v12, v12, v14
	s_delay_alu instid0(VALU_DEP_1) | instskip(SKIP_1) | instid1(VALU_DEP_1)
	v_add_f32_e32 v12, v12, v15
	;; [unrolled: 4-line block ×3, first 2 shown]
	s_wait_dscnt 0x0
	v_add_f32_e32 v12, v12, v36
	s_delay_alu instid0(VALU_DEP_1)
	v_add_f32_e32 v58, v12, v37
.LBB85_62:                              ;   in Loop: Header=BB85_4 Depth=1
	s_or_b32 exec_lo, exec_lo, s36
	v_fma_f32 v0, v10, v0, 0
	s_barrier_signal -1
	s_barrier_wait -1
	s_delay_alu instid0(VALU_DEP_1) | instskip(NEXT) | instid1(VALU_DEP_1)
	v_fmac_f32_e32 v0, v11, v1
	v_fmac_f32_e32 v0, v8, v2
	s_delay_alu instid0(VALU_DEP_1)
	v_fmac_f32_e32 v0, v9, v3
	ds_store_b32 v43, v0
	s_wait_dscnt 0x0
	s_barrier_signal -1
	s_barrier_wait -1
	s_and_saveexec_b32 s36, s10
	s_cbranch_execz .LBB85_64
; %bb.63:                               ;   in Loop: Header=BB85_4 Depth=1
	ds_load_2addr_b32 v[0:1], v40 offset1:1
	ds_load_2addr_b32 v[2:3], v40 offset0:2 offset1:3
	ds_load_2addr_b32 v[8:9], v40 offset0:4 offset1:5
	;; [unrolled: 1-line block ×3, first 2 shown]
	s_wait_dscnt 0x3
	v_add_f32_e32 v0, v58, v0
	s_delay_alu instid0(VALU_DEP_1) | instskip(SKIP_1) | instid1(VALU_DEP_1)
	v_add_f32_e32 v0, v0, v1
	s_wait_dscnt 0x2
	v_add_f32_e32 v0, v0, v2
	s_delay_alu instid0(VALU_DEP_1) | instskip(SKIP_1) | instid1(VALU_DEP_1)
	v_add_f32_e32 v0, v0, v3
	;; [unrolled: 4-line block ×3, first 2 shown]
	s_wait_dscnt 0x0
	v_add_f32_e32 v0, v0, v10
	s_delay_alu instid0(VALU_DEP_1)
	v_add_f32_e32 v58, v0, v11
.LBB85_64:                              ;   in Loop: Header=BB85_4 Depth=1
	s_or_b32 exec_lo, exec_lo, s36
	s_mul_u64 s[86:87], s[24:25], s[34:35]
	s_and_not1_b32 vcc_lo, exec_lo, s19
	s_lshl_b64 s[86:87], s[86:87], 2
	s_delay_alu instid0(SALU_CYCLE_1)
	s_add_nc_u64 s[86:87], s[40:41], s[86:87]
	s_barrier_signal -1
	s_barrier_wait -1
	s_cbranch_vccnz .LBB85_71
; %bb.65:                               ;   in Loop: Header=BB85_4 Depth=1
	v_lshl_add_u64 v[0:1], s[50:51], 2, v[6:7]
	v_lshlrev_b32_e32 v20, 2, v16
	v_lshl_add_u64 v[34:35], s[48:49], 2, v[4:5]
	s_mov_b32 s36, 0
	s_mov_b32 s35, s88
	v_lshl_add_u64 v[0:1], v[30:31], 2, v[0:1]
	s_delay_alu instid0(VALU_DEP_1) | instskip(NEXT) | instid1(VALU_DEP_1)
	v_lshl_add_u64 v[0:1], v[32:33], 2, v[0:1]
	v_add_nc_u64_e32 v[2:3], v[0:1], v[20:21]
	v_lshl_add_u64 v[0:1], s[38:39], 2, v[0:1]
	s_delay_alu instid0(VALU_DEP_1) | instskip(NEXT) | instid1(VALU_DEP_3)
	v_add_nc_u64_e32 v[0:1], s[78:79], v[0:1]
	v_add_nc_u64_e32 v[2:3], s[80:81], v[2:3]
	s_delay_alu instid0(VALU_DEP_1)
	v_dual_cndmask_b32 v37, v3, v1, s17 :: v_dual_cndmask_b32 v36, v2, v0, s17
	s_branch .LBB85_67
.LBB85_66:                              ;   in Loop: Header=BB85_67 Depth=2
	s_wait_xcnt 0x0
	s_or_b32 exec_lo, exec_lo, s92
	v_fmac_f32_e32 v58, v61, v0
	v_add_nc_u64_e32 v[36:37], s[56:57], v[36:37]
	s_add_co_i32 s35, s35, -1
	s_add_co_i32 s36, s36, 64
	s_cmp_eq_u32 s35, 0
	v_fmac_f32_e32 v58, v60, v1
	s_wait_storecnt 0x0
	s_barrier_signal -1
	s_barrier_wait -1
	s_delay_alu instid0(VALU_DEP_1) | instskip(NEXT) | instid1(VALU_DEP_1)
	v_fmac_f32_e32 v58, v59, v2
	v_fmac_f32_e32 v58, v20, v3
	s_delay_alu instid0(VALU_DEP_1) | instskip(NEXT) | instid1(VALU_DEP_1)
	v_fmac_f32_e32 v58, v65, v4
	v_fmac_f32_e32 v58, v64, v5
	;; [unrolled: 3-line block ×7, first 2 shown]
	s_cbranch_scc1 .LBB85_71
.LBB85_67:                              ;   Parent Loop BB85_4 Depth=1
                                        ; =>  This Inner Loop Header: Depth=2
	s_and_saveexec_b32 s92, s0
	s_cbranch_execz .LBB85_69
; %bb.68:                               ;   in Loop: Header=BB85_67 Depth=2
	s_mul_u64 s[94:95], s[28:29], s[36:37]
	s_delay_alu instid0(SALU_CYCLE_1)
	v_lshl_add_u64 v[0:1], s[94:95], 2, v[34:35]
	global_load_b32 v0, v[0:1], off
	s_wait_loadcnt 0x0
	ds_store_b32 v45, v0
.LBB85_69:                              ;   in Loop: Header=BB85_67 Depth=2
	s_wait_xcnt 0x0
	s_or_b32 exec_lo, exec_lo, s92
	v_add_nc_u64_e32 v[0:1], s[54:55], v[36:37]
	v_add_nc_u64_e32 v[2:3], s[58:59], v[36:37]
	;; [unrolled: 1-line block ×3, first 2 shown]
	s_wait_dscnt 0x0
	s_barrier_signal -1
	s_barrier_wait -1
	s_clause 0x3
	global_load_b32 v61, v[36:37], off
	global_load_b32 v60, v[0:1], off
	;; [unrolled: 1-line block ×4, first 2 shown]
	ds_load_b32 v6, v38
	s_wait_xcnt 0x1
	ds_load_b128 v[0:3], v46
	s_wait_xcnt 0x0
	v_add_nc_u64_e32 v[4:5], s[44:45], v[36:37]
	v_add_nc_u64_e32 v[8:9], s[62:63], v[36:37]
	;; [unrolled: 1-line block ×5, first 2 shown]
	s_wait_loadcnt_dscnt 0x201
	v_dual_mul_f32 v12, v61, v6 :: v_dual_mul_f32 v13, v60, v6
	s_wait_loadcnt 0x0
	v_dual_mul_f32 v14, v59, v6 :: v_dual_mul_f32 v15, v20, v6
	v_add_nc_u64_e32 v[6:7], s[20:21], v[36:37]
	ds_store_2addr_b32 v47, v12, v13 offset1:67
	ds_store_2addr_b32 v47, v14, v15 offset0:134 offset1:201
	s_wait_dscnt 0x0
	s_barrier_signal -1
	s_barrier_wait -1
	ds_load_2addr_b32 v[74:75], v54 offset1:1
	ds_load_2addr_b32 v[76:77], v54 offset0:2 offset1:3
	s_wait_dscnt 0x0
	s_barrier_signal -1
	s_barrier_wait -1
	s_clause 0x3
	global_load_b32 v65, v[4:5], off
	global_load_b32 v64, v[6:7], off
	;; [unrolled: 1-line block ×4, first 2 shown]
	s_wait_xcnt 0x0
	ds_load_b32 v10, v38
	ds_load_b128 v[4:7], v46 offset:64
	v_add_nc_u64_e32 v[8:9], s[84:85], v[36:37]
	v_add_nc_u64_e32 v[12:13], s[66:67], v[36:37]
	;; [unrolled: 1-line block ×3, first 2 shown]
	s_wait_loadcnt_dscnt 0x201
	v_dual_mul_f32 v66, v65, v10 :: v_dual_mul_f32 v67, v64, v10
	s_wait_loadcnt 0x0
	v_dual_mul_f32 v68, v63, v10 :: v_dual_mul_f32 v69, v62, v10
	v_add_nc_u64_e32 v[10:11], s[82:83], v[36:37]
	ds_store_2addr_b32 v47, v66, v67 offset1:67
	ds_store_2addr_b32 v47, v68, v69 offset0:134 offset1:201
	s_wait_dscnt 0x0
	s_barrier_signal -1
	s_barrier_wait -1
	ds_load_2addr_b32 v[78:79], v54 offset1:1
	ds_load_2addr_b32 v[80:81], v54 offset0:2 offset1:3
	s_wait_dscnt 0x0
	s_barrier_signal -1
	s_barrier_wait -1
	s_clause 0x3
	global_load_b32 v69, v[8:9], off
	global_load_b32 v68, v[10:11], off
	;; [unrolled: 1-line block ×4, first 2 shown]
	s_wait_xcnt 0x0
	ds_load_b32 v14, v38
	ds_load_b128 v[8:11], v46 offset:128
	v_add_nc_u64_e32 v[12:13], s[76:77], v[36:37]
	s_wait_loadcnt_dscnt 0x201
	v_dual_mul_f32 v72, v69, v14 :: v_dual_mul_f32 v73, v68, v14
	s_wait_loadcnt 0x0
	v_dual_mul_f32 v84, v67, v14 :: v_dual_mul_f32 v85, v66, v14
	v_add_nc_u64_e32 v[14:15], s[74:75], v[36:37]
	ds_store_2addr_b32 v47, v72, v73 offset1:67
	ds_store_2addr_b32 v47, v84, v85 offset0:134 offset1:201
	s_wait_dscnt 0x0
	s_barrier_signal -1
	s_barrier_wait -1
	ds_load_2addr_b32 v[84:85], v54 offset1:1
	ds_load_2addr_b32 v[86:87], v54 offset0:2 offset1:3
	s_wait_dscnt 0x0
	s_barrier_signal -1
	s_barrier_wait -1
	s_clause 0x3
	global_load_b32 v73, v[12:13], off
	global_load_b32 v72, v[14:15], off
	global_load_b32 v71, v[70:71], off
	global_load_b32 v70, v[82:83], off
	s_wait_xcnt 0x0
	ds_load_b32 v82, v38
	ds_load_b128 v[12:15], v46 offset:192
	v_dual_add_f32 v74, 0, v74 :: v_dual_add_f32 v84, 0, v84
	s_delay_alu instid0(VALU_DEP_1) | instskip(SKIP_1) | instid1(VALU_DEP_1)
	v_dual_add_f32 v78, 0, v78 :: v_dual_add_f32 v74, v74, v75
	s_wait_loadcnt_dscnt 0x301
	v_dual_add_f32 v75, v78, v79 :: v_dual_mul_f32 v83, v73, v82
	s_wait_loadcnt 0x1
	v_dual_mul_f32 v88, v72, v82 :: v_dual_mul_f32 v89, v71, v82
	s_wait_loadcnt 0x0
	v_mul_f32_e32 v82, v70, v82
	ds_store_2addr_b32 v47, v83, v88 offset1:67
	ds_store_2addr_b32 v47, v89, v82 offset0:134 offset1:201
	s_wait_dscnt 0x0
	s_barrier_signal -1
	s_barrier_wait -1
	ds_load_2addr_b32 v[82:83], v54 offset1:1
	ds_load_2addr_b32 v[88:89], v54 offset0:2 offset1:3
	s_wait_dscnt 0x0
	s_barrier_signal -1
	s_barrier_wait -1
	v_dual_add_f32 v82, 0, v82 :: v_dual_add_f32 v78, v84, v85
	s_delay_alu instid0(VALU_DEP_1) | instskip(SKIP_1) | instid1(VALU_DEP_2)
	v_dual_add_f32 v79, v82, v83 :: v_dual_add_f32 v75, v75, v80
	v_add_f32_e32 v74, v74, v76
	v_dual_add_f32 v76, v78, v86 :: v_dual_add_f32 v75, v75, v81
	s_delay_alu instid0(VALU_DEP_2) | instskip(NEXT) | instid1(VALU_DEP_1)
	v_dual_add_f32 v78, v79, v88 :: v_dual_add_f32 v74, v74, v77
	v_dual_add_f32 v76, v76, v87 :: v_dual_add_f32 v77, v78, v89
	ds_store_2addr_b32 v48, v74, v75 offset1:16
	ds_store_2addr_b32 v48, v76, v77 offset0:32 offset1:48
	s_wait_dscnt 0x0
	s_barrier_signal -1
	s_barrier_wait -1
	s_and_saveexec_b32 s92, s18
	s_cbranch_execz .LBB85_66
; %bb.70:                               ;   in Loop: Header=BB85_67 Depth=2
	ds_load_2addr_b32 v[74:75], v49 offset1:1
	ds_load_2addr_b32 v[76:77], v49 offset0:2 offset1:3
	ds_load_2addr_b32 v[78:79], v49 offset0:4 offset1:5
	;; [unrolled: 1-line block ×3, first 2 shown]
	s_wait_dscnt 0x3
	v_add_f32_e32 v74, v74, v75
	s_wait_dscnt 0x2
	s_delay_alu instid0(VALU_DEP_1) | instskip(NEXT) | instid1(VALU_DEP_1)
	v_add_f32_e32 v74, v74, v76
	v_add_f32_e32 v76, v74, v77
	ds_load_2addr_b32 v[74:75], v49 offset0:8 offset1:9
	s_wait_dscnt 0x2
	v_add_f32_e32 v76, v76, v78
	s_delay_alu instid0(VALU_DEP_1) | instskip(SKIP_3) | instid1(VALU_DEP_1)
	v_add_f32_e32 v78, v76, v79
	ds_load_2addr_b32 v[76:77], v49 offset0:10 offset1:11
	s_wait_dscnt 0x2
	v_add_f32_e32 v78, v78, v80
	v_add_f32_e32 v80, v78, v81
	ds_load_2addr_b32 v[78:79], v49 offset0:12 offset1:13
	ds_load_b32 v81, v49 offset:56
	s_wait_dscnt 0x3
	v_add_f32_e32 v74, v80, v74
	s_delay_alu instid0(VALU_DEP_1) | instskip(SKIP_3) | instid1(VALU_DEP_1)
	v_add_f32_e32 v74, v74, v75
	ds_load_b32 v75, v50
	s_wait_dscnt 0x3
	v_add_f32_e32 v74, v74, v76
	v_add_f32_e32 v74, v74, v77
	s_wait_dscnt 0x2
	s_delay_alu instid0(VALU_DEP_1) | instskip(NEXT) | instid1(VALU_DEP_1)
	v_add_f32_e32 v74, v74, v78
	v_add_f32_e32 v74, v74, v79
	s_wait_dscnt 0x1
	s_delay_alu instid0(VALU_DEP_1) | instskip(SKIP_1) | instid1(VALU_DEP_1)
	v_add_f32_e32 v74, v74, v81
	s_wait_dscnt 0x0
	v_dual_add_f32 v74, v74, v75 :: v_dual_add_nc_u32 v75, s36, v16
	global_store_b32 v75, v74, s[86:87] scale_offset
	s_branch .LBB85_66
.LBB85_71:                              ;   in Loop: Header=BB85_4 Depth=1
	ds_store_b32 v51, v58
	s_wait_dscnt 0x0
	s_barrier_signal -1
	s_barrier_wait -1
	s_and_saveexec_b32 s35, s91
	s_cbranch_execz .LBB85_2
; %bb.72:                               ;   in Loop: Header=BB85_4 Depth=1
	ds_load_2addr_b32 v[0:1], v17 offset1:67
	ds_load_2addr_b32 v[2:3], v17 offset0:134 offset1:201
	s_wait_dscnt 0x1
	v_add_f32_e32 v0, v0, v1
	s_wait_dscnt 0x0
	s_delay_alu instid0(VALU_DEP_1) | instskip(NEXT) | instid1(VALU_DEP_1)
	v_add_f32_e32 v0, v0, v2
	v_add_f32_e32 v2, v0, v3
	v_lshl_add_u64 v[0:1], v[22:23], 2, s[86:87]
	global_store_b32 v[0:1], v2, off
	s_branch .LBB85_2
.LBB85_73:                              ;   in Loop: Header=BB85_4 Depth=1
	ds_load_b32 v2, v56
	s_wait_dscnt 0x0
	ds_store_b32 v41, v2
	s_or_b32 exec_lo, exec_lo, s36
	s_and_saveexec_b32 s36, s7
	s_cbranch_execz .LBB85_24
.LBB85_74:                              ;   in Loop: Header=BB85_4 Depth=1
	ds_load_b32 v2, v57
	s_wait_dscnt 0x0
	ds_store_b32 v41, v2 offset:4
	s_or_b32 exec_lo, exec_lo, s36
	s_and_saveexec_b32 s36, s8
	s_cbranch_execz .LBB85_25
.LBB85_75:                              ;   in Loop: Header=BB85_4 Depth=1
	ds_load_b32 v2, v57 offset:132
	s_wait_dscnt 0x0
	ds_store_b32 v41, v2 offset:8
	s_or_b32 exec_lo, exec_lo, s36
	s_and_saveexec_b32 s36, s9
	s_cbranch_execnz .LBB85_26
	s_branch .LBB85_27
.LBB85_76:                              ;   in Loop: Header=BB85_4 Depth=1
	ds_load_b32 v2, v56
	s_wait_dscnt 0x0
	ds_store_b32 v41, v2
	s_or_b32 exec_lo, exec_lo, s36
	s_and_saveexec_b32 s36, s7
	s_cbranch_execz .LBB85_43
.LBB85_77:                              ;   in Loop: Header=BB85_4 Depth=1
	ds_load_b32 v2, v57
	s_wait_dscnt 0x0
	ds_store_b32 v41, v2 offset:4
	s_or_b32 exec_lo, exec_lo, s36
	s_and_saveexec_b32 s36, s8
	s_cbranch_execz .LBB85_44
.LBB85_78:                              ;   in Loop: Header=BB85_4 Depth=1
	ds_load_b32 v2, v57 offset:132
	s_wait_dscnt 0x0
	ds_store_b32 v41, v2 offset:8
	s_or_b32 exec_lo, exec_lo, s36
	s_and_saveexec_b32 s36, s9
	s_cbranch_execnz .LBB85_45
	s_branch .LBB85_46
.LBB85_79:
	s_sendmsg sendmsg(MSG_DEALLOC_VGPRS)
	s_endpgm
	.section	.rodata,"a",@progbits
	.p2align	6, 0x0
	.amdhsa_kernel _ZL26rocblas_hemvn_kernel_lowerILb0ELi64ELi4ELi33ELi32ELi16ElfPKfPfEviT6_lT7_lT5_lS4_lS5_lS3_lT8_i
		.amdhsa_group_segment_fixed_size 4800
		.amdhsa_private_segment_fixed_size 0
		.amdhsa_kernarg_size 368
		.amdhsa_user_sgpr_count 2
		.amdhsa_user_sgpr_dispatch_ptr 0
		.amdhsa_user_sgpr_queue_ptr 0
		.amdhsa_user_sgpr_kernarg_segment_ptr 1
		.amdhsa_user_sgpr_dispatch_id 0
		.amdhsa_user_sgpr_kernarg_preload_length 0
		.amdhsa_user_sgpr_kernarg_preload_offset 0
		.amdhsa_user_sgpr_private_segment_size 0
		.amdhsa_wavefront_size32 1
		.amdhsa_uses_dynamic_stack 0
		.amdhsa_enable_private_segment 0
		.amdhsa_system_sgpr_workgroup_id_x 1
		.amdhsa_system_sgpr_workgroup_id_y 0
		.amdhsa_system_sgpr_workgroup_id_z 1
		.amdhsa_system_sgpr_workgroup_info 0
		.amdhsa_system_vgpr_workitem_id 1
		.amdhsa_next_free_vgpr 90
		.amdhsa_next_free_sgpr 96
		.amdhsa_named_barrier_count 0
		.amdhsa_reserve_vcc 1
		.amdhsa_float_round_mode_32 0
		.amdhsa_float_round_mode_16_64 0
		.amdhsa_float_denorm_mode_32 3
		.amdhsa_float_denorm_mode_16_64 3
		.amdhsa_fp16_overflow 0
		.amdhsa_memory_ordered 1
		.amdhsa_forward_progress 1
		.amdhsa_inst_pref_size 42
		.amdhsa_round_robin_scheduling 0
		.amdhsa_exception_fp_ieee_invalid_op 0
		.amdhsa_exception_fp_denorm_src 0
		.amdhsa_exception_fp_ieee_div_zero 0
		.amdhsa_exception_fp_ieee_overflow 0
		.amdhsa_exception_fp_ieee_underflow 0
		.amdhsa_exception_fp_ieee_inexact 0
		.amdhsa_exception_int_div_zero 0
	.end_amdhsa_kernel
	.section	.text._ZL26rocblas_hemvn_kernel_lowerILb0ELi64ELi4ELi33ELi32ELi16ElfPKfPfEviT6_lT7_lT5_lS4_lS5_lS3_lT8_i,"axG",@progbits,_ZL26rocblas_hemvn_kernel_lowerILb0ELi64ELi4ELi33ELi32ELi16ElfPKfPfEviT6_lT7_lT5_lS4_lS5_lS3_lT8_i,comdat
.Lfunc_end85:
	.size	_ZL26rocblas_hemvn_kernel_lowerILb0ELi64ELi4ELi33ELi32ELi16ElfPKfPfEviT6_lT7_lT5_lS4_lS5_lS3_lT8_i, .Lfunc_end85-_ZL26rocblas_hemvn_kernel_lowerILb0ELi64ELi4ELi33ELi32ELi16ElfPKfPfEviT6_lT7_lT5_lS4_lS5_lS3_lT8_i
                                        ; -- End function
	.set _ZL26rocblas_hemvn_kernel_lowerILb0ELi64ELi4ELi33ELi32ELi16ElfPKfPfEviT6_lT7_lT5_lS4_lS5_lS3_lT8_i.num_vgpr, 90
	.set _ZL26rocblas_hemvn_kernel_lowerILb0ELi64ELi4ELi33ELi32ELi16ElfPKfPfEviT6_lT7_lT5_lS4_lS5_lS3_lT8_i.num_agpr, 0
	.set _ZL26rocblas_hemvn_kernel_lowerILb0ELi64ELi4ELi33ELi32ELi16ElfPKfPfEviT6_lT7_lT5_lS4_lS5_lS3_lT8_i.numbered_sgpr, 96
	.set _ZL26rocblas_hemvn_kernel_lowerILb0ELi64ELi4ELi33ELi32ELi16ElfPKfPfEviT6_lT7_lT5_lS4_lS5_lS3_lT8_i.num_named_barrier, 0
	.set _ZL26rocblas_hemvn_kernel_lowerILb0ELi64ELi4ELi33ELi32ELi16ElfPKfPfEviT6_lT7_lT5_lS4_lS5_lS3_lT8_i.private_seg_size, 0
	.set _ZL26rocblas_hemvn_kernel_lowerILb0ELi64ELi4ELi33ELi32ELi16ElfPKfPfEviT6_lT7_lT5_lS4_lS5_lS3_lT8_i.uses_vcc, 1
	.set _ZL26rocblas_hemvn_kernel_lowerILb0ELi64ELi4ELi33ELi32ELi16ElfPKfPfEviT6_lT7_lT5_lS4_lS5_lS3_lT8_i.uses_flat_scratch, 0
	.set _ZL26rocblas_hemvn_kernel_lowerILb0ELi64ELi4ELi33ELi32ELi16ElfPKfPfEviT6_lT7_lT5_lS4_lS5_lS3_lT8_i.has_dyn_sized_stack, 0
	.set _ZL26rocblas_hemvn_kernel_lowerILb0ELi64ELi4ELi33ELi32ELi16ElfPKfPfEviT6_lT7_lT5_lS4_lS5_lS3_lT8_i.has_recursion, 0
	.set _ZL26rocblas_hemvn_kernel_lowerILb0ELi64ELi4ELi33ELi32ELi16ElfPKfPfEviT6_lT7_lT5_lS4_lS5_lS3_lT8_i.has_indirect_call, 0
	.section	.AMDGPU.csdata,"",@progbits
; Kernel info:
; codeLenInByte = 5316
; TotalNumSgprs: 98
; NumVgprs: 90
; ScratchSize: 0
; MemoryBound: 0
; FloatMode: 240
; IeeeMode: 1
; LDSByteSize: 4800 bytes/workgroup (compile time only)
; SGPRBlocks: 0
; VGPRBlocks: 5
; NumSGPRsForWavesPerEU: 98
; NumVGPRsForWavesPerEU: 90
; NamedBarCnt: 0
; Occupancy: 10
; WaveLimiterHint : 0
; COMPUTE_PGM_RSRC2:SCRATCH_EN: 0
; COMPUTE_PGM_RSRC2:USER_SGPR: 2
; COMPUTE_PGM_RSRC2:TRAP_HANDLER: 0
; COMPUTE_PGM_RSRC2:TGID_X_EN: 1
; COMPUTE_PGM_RSRC2:TGID_Y_EN: 0
; COMPUTE_PGM_RSRC2:TGID_Z_EN: 1
; COMPUTE_PGM_RSRC2:TIDIG_COMP_CNT: 1
	.section	.text._ZL36rocblas_hemvn_kernel_lower_block_sumILi64ElfPffEviT1_lS1_lT2_lT0_lPT3_i,"axG",@progbits,_ZL36rocblas_hemvn_kernel_lower_block_sumILi64ElfPffEviT1_lS1_lT2_lT0_lPT3_i,comdat
	.globl	_ZL36rocblas_hemvn_kernel_lower_block_sumILi64ElfPffEviT1_lS1_lT2_lT0_lPT3_i ; -- Begin function _ZL36rocblas_hemvn_kernel_lower_block_sumILi64ElfPffEviT1_lS1_lT2_lT0_lPT3_i
	.p2align	8
	.type	_ZL36rocblas_hemvn_kernel_lower_block_sumILi64ElfPffEviT1_lS1_lT2_lT0_lPT3_i,@function
_ZL36rocblas_hemvn_kernel_lower_block_sumILi64ElfPffEviT1_lS1_lT2_lT0_lPT3_i: ; @_ZL36rocblas_hemvn_kernel_lower_block_sumILi64ElfPffEviT1_lS1_lT2_lT0_lPT3_i
; %bb.0:
	s_load_b32 s20, s[0:1], 0x48
	s_bfe_u32 s2, ttmp6, 0x40014
	s_lshr_b32 s3, ttmp7, 16
	s_add_co_i32 s2, s2, 1
	s_bfe_u32 s4, ttmp6, 0x40008
	s_mul_i32 s2, s3, s2
	s_getreg_b32 s14, hwreg(HW_REG_IB_STS2, 6, 4)
	s_add_co_i32 s4, s4, s2
	s_cmp_eq_u32 s14, 0
	s_cselect_b32 s2, s3, s4
	s_mov_b32 s3, 0
	s_wait_kmcnt 0x0
	s_cmp_ge_u32 s2, s20
	s_cbranch_scc1 .LBB86_25
; %bb.1:
	s_clause 0x2
	s_load_b256 s[4:11], s[0:1], 0x28
	s_load_b64 s[12:13], s[0:1], 0x0
	s_load_b32 s15, s[0:1], 0x10
	s_wait_kmcnt 0x0
	s_lshl_b64 s[4:5], s[4:5], 2
	s_cmp_eq_f32 s13, 0
	s_cselect_b32 s21, -1, 0
	s_cmp_neq_f32 s13, 0
	s_cselect_b32 s16, -1, 0
	s_cmp_neq_f32 s15, 1.0
	s_cselect_b32 s17, -1, 0
	s_bfe_u32 s18, ttmp6, 0x4000c
	s_and_b32 s19, ttmp6, 15
	s_add_co_i32 s18, s18, 1
	s_or_b32 s22, s16, s17
	s_mul_i32 s18, ttmp9, s18
	s_load_b64 s[16:17], s[0:1], 0x20
	s_add_co_i32 s19, s19, s18
	s_cmp_eq_u32 s14, 0
	s_mov_b32 s14, s13
	s_cselect_b32 s23, ttmp9, s19
	s_cmp_neq_f32 s15, 0
	v_lshl_or_b32 v2, s23, 6, v0
	s_cselect_b32 s24, -1, 0
	s_cmp_eq_f32 s15, 0
	s_delay_alu instid0(VALU_DEP_1) | instskip(SKIP_4) | instid1(VALU_DEP_2)
	v_mad_u32 v4, s12, s23, v2
	v_ashrrev_i32_e32 v3, 31, v2
	s_wait_kmcnt 0x0
	s_add_nc_u64 s[4:5], s[16:17], s[4:5]
	s_mov_b32 s16, s12
	v_ashrrev_i32_e32 v5, 31, v4
	v_mul_u64_e32 v[0:1], s[6:7], v[2:3]
	s_add_nc_u64 s[6:7], s[0:1], 0x50
	v_cmp_gt_i32_e64 s0, s12, v2
	s_cselect_b32 s1, -1, 0
	v_lshl_add_u64 v[2:3], v[4:5], 2, s[10:11]
	s_ashr_i32 s17, s12, 31
	s_delay_alu instid0(SALU_CYCLE_1)
	s_lshl_b64 s[10:11], s[16:17], 2
	s_branch .LBB86_4
.LBB86_2:                               ;   in Loop: Header=BB86_4 Depth=1
	s_wait_xcnt 0x0
	s_or_b32 exec_lo, exec_lo, s18
.LBB86_3:                               ;   in Loop: Header=BB86_4 Depth=1
	s_add_co_i32 s2, s2, 0x10000
	s_delay_alu instid0(SALU_CYCLE_1)
	s_cmp_lt_u32 s2, s20
	s_cbranch_scc0 .LBB86_25
.LBB86_4:                               ; =>This Loop Header: Depth=1
                                        ;     Child Loop BB86_16 Depth 2
	s_and_not1_b32 vcc_lo, exec_lo, s22
	s_cbranch_vccnz .LBB86_3
; %bb.5:                                ;   in Loop: Header=BB86_4 Depth=1
	s_mul_u64 s[16:17], s[8:9], s[2:3]
	s_and_not1_b32 vcc_lo, exec_lo, s21
	s_lshl_b64 s[16:17], s[16:17], 2
	s_delay_alu instid0(SALU_CYCLE_1)
	s_add_nc_u64 s[16:17], s[4:5], s[16:17]
	s_cbranch_vccnz .LBB86_9
; %bb.6:                                ;   in Loop: Header=BB86_4 Depth=1
	s_mov_b32 s18, 0
	s_mov_b32 s12, 0
                                        ; implicit-def: $vgpr5
	s_and_saveexec_b32 s19, s0
	s_cbranch_execz .LBB86_10
; %bb.7:                                ;   in Loop: Header=BB86_4 Depth=1
	s_and_not1_b32 vcc_lo, exec_lo, s24
	s_cbranch_vccnz .LBB86_11
; %bb.8:                                ;   in Loop: Header=BB86_4 Depth=1
	v_lshl_add_u64 v[4:5], v[0:1], 2, s[16:17]
	global_load_b32 v4, v[4:5], off
	s_wait_loadcnt 0x0
	s_wait_xcnt 0x0
	v_mul_f32_e32 v5, s15, v4
	s_branch .LBB86_12
.LBB86_9:                               ;   in Loop: Header=BB86_4 Depth=1
	s_mov_b32 s12, 0
                                        ; implicit-def: $vgpr5
	s_cbranch_execnz .LBB86_13
	s_branch .LBB86_23
.LBB86_10:                              ;   in Loop: Header=BB86_4 Depth=1
	s_or_b32 exec_lo, exec_lo, s19
	s_delay_alu instid0(SALU_CYCLE_1)
	s_and_b32 vcc_lo, exec_lo, s18
	s_cbranch_vccnz .LBB86_13
	s_branch .LBB86_23
.LBB86_11:                              ;   in Loop: Header=BB86_4 Depth=1
	v_mov_b32_e32 v5, 0
.LBB86_12:                              ;   in Loop: Header=BB86_4 Depth=1
	s_mov_b32 s12, exec_lo
	s_or_b32 exec_lo, exec_lo, s19
	s_delay_alu instid0(SALU_CYCLE_1)
	s_and_b32 vcc_lo, exec_lo, s18
	s_cbranch_vccz .LBB86_23
.LBB86_13:                              ;   in Loop: Header=BB86_4 Depth=1
                                        ; implicit-def: $vgpr5
	s_and_saveexec_b32 s25, s0
	s_cbranch_execz .LBB86_22
; %bb.14:                               ;   in Loop: Header=BB86_4 Depth=1
	s_load_b32 s18, s[6:7], 0x0
	v_mov_b32_e32 v4, 0
	s_wait_kmcnt 0x0
	s_cmp_ge_i32 s23, s18
	s_cbranch_scc1 .LBB86_17
; %bb.15:                               ;   in Loop: Header=BB86_4 Depth=1
	s_mov_b32 s19, s3
	v_mov_b32_e32 v4, 0
	s_mul_u64 s[26:27], s[10:11], s[18:19]
	s_mov_b32 s19, s23
	v_mad_nc_u64_u32 v[6:7], s26, s2, v[2:3]
	s_delay_alu instid0(VALU_DEP_1)
	v_mad_u32 v7, s27, s2, v7
.LBB86_16:                              ;   Parent Loop BB86_4 Depth=1
                                        ; =>  This Inner Loop Header: Depth=2
	global_load_b32 v5, v[6:7], off
	s_wait_xcnt 0x0
	v_add_nc_u64_e32 v[6:7], s[10:11], v[6:7]
	s_add_co_i32 s19, s19, 1
	s_delay_alu instid0(SALU_CYCLE_1)
	s_cmp_ge_i32 s19, s18
	s_wait_loadcnt 0x0
	v_add_f32_e32 v4, v4, v5
	s_cbranch_scc0 .LBB86_16
.LBB86_17:                              ;   in Loop: Header=BB86_4 Depth=1
	s_and_b32 vcc_lo, exec_lo, s1
	s_mov_b32 s18, -1
                                        ; implicit-def: $vgpr5
	s_cbranch_vccz .LBB86_19
; %bb.18:                               ;   in Loop: Header=BB86_4 Depth=1
	v_mul_f32_e32 v5, s13, v4
	s_mov_b32 s18, 0
.LBB86_19:                              ;   in Loop: Header=BB86_4 Depth=1
	s_delay_alu instid0(SALU_CYCLE_1)
	s_and_not1_b32 vcc_lo, exec_lo, s18
	s_cbranch_vccnz .LBB86_21
; %bb.20:                               ;   in Loop: Header=BB86_4 Depth=1
	v_lshl_add_u64 v[6:7], v[0:1], 2, s[16:17]
	global_load_b32 v5, v[6:7], off
	s_wait_xcnt 0x0
	v_mov_b64_e32 v[6:7], s[14:15]
	s_wait_loadcnt 0x0
	s_delay_alu instid0(VALU_DEP_1) | instskip(NEXT) | instid1(VALU_DEP_1)
	v_pk_mul_f32 v[4:5], v[6:7], v[4:5]
	v_add_f32_e32 v5, v4, v5
.LBB86_21:                              ;   in Loop: Header=BB86_4 Depth=1
	s_or_b32 s12, s12, exec_lo
.LBB86_22:                              ;   in Loop: Header=BB86_4 Depth=1
	s_or_b32 exec_lo, exec_lo, s25
.LBB86_23:                              ;   in Loop: Header=BB86_4 Depth=1
	s_and_saveexec_b32 s18, s12
	s_cbranch_execz .LBB86_2
; %bb.24:                               ;   in Loop: Header=BB86_4 Depth=1
	v_lshl_add_u64 v[6:7], v[0:1], 2, s[16:17]
	global_store_b32 v[6:7], v5, off
	s_branch .LBB86_2
.LBB86_25:
	s_endpgm
	.section	.rodata,"a",@progbits
	.p2align	6, 0x0
	.amdhsa_kernel _ZL36rocblas_hemvn_kernel_lower_block_sumILi64ElfPffEviT1_lS1_lT2_lT0_lPT3_i
		.amdhsa_group_segment_fixed_size 0
		.amdhsa_private_segment_fixed_size 0
		.amdhsa_kernarg_size 336
		.amdhsa_user_sgpr_count 2
		.amdhsa_user_sgpr_dispatch_ptr 0
		.amdhsa_user_sgpr_queue_ptr 0
		.amdhsa_user_sgpr_kernarg_segment_ptr 1
		.amdhsa_user_sgpr_dispatch_id 0
		.amdhsa_user_sgpr_kernarg_preload_length 0
		.amdhsa_user_sgpr_kernarg_preload_offset 0
		.amdhsa_user_sgpr_private_segment_size 0
		.amdhsa_wavefront_size32 1
		.amdhsa_uses_dynamic_stack 0
		.amdhsa_enable_private_segment 0
		.amdhsa_system_sgpr_workgroup_id_x 1
		.amdhsa_system_sgpr_workgroup_id_y 0
		.amdhsa_system_sgpr_workgroup_id_z 1
		.amdhsa_system_sgpr_workgroup_info 0
		.amdhsa_system_vgpr_workitem_id 0
		.amdhsa_next_free_vgpr 8
		.amdhsa_next_free_sgpr 28
		.amdhsa_named_barrier_count 0
		.amdhsa_reserve_vcc 1
		.amdhsa_float_round_mode_32 0
		.amdhsa_float_round_mode_16_64 0
		.amdhsa_float_denorm_mode_32 3
		.amdhsa_float_denorm_mode_16_64 3
		.amdhsa_fp16_overflow 0
		.amdhsa_memory_ordered 1
		.amdhsa_forward_progress 1
		.amdhsa_inst_pref_size 6
		.amdhsa_round_robin_scheduling 0
		.amdhsa_exception_fp_ieee_invalid_op 0
		.amdhsa_exception_fp_denorm_src 0
		.amdhsa_exception_fp_ieee_div_zero 0
		.amdhsa_exception_fp_ieee_overflow 0
		.amdhsa_exception_fp_ieee_underflow 0
		.amdhsa_exception_fp_ieee_inexact 0
		.amdhsa_exception_int_div_zero 0
	.end_amdhsa_kernel
	.section	.text._ZL36rocblas_hemvn_kernel_lower_block_sumILi64ElfPffEviT1_lS1_lT2_lT0_lPT3_i,"axG",@progbits,_ZL36rocblas_hemvn_kernel_lower_block_sumILi64ElfPffEviT1_lS1_lT2_lT0_lPT3_i,comdat
.Lfunc_end86:
	.size	_ZL36rocblas_hemvn_kernel_lower_block_sumILi64ElfPffEviT1_lS1_lT2_lT0_lPT3_i, .Lfunc_end86-_ZL36rocblas_hemvn_kernel_lower_block_sumILi64ElfPffEviT1_lS1_lT2_lT0_lPT3_i
                                        ; -- End function
	.set _ZL36rocblas_hemvn_kernel_lower_block_sumILi64ElfPffEviT1_lS1_lT2_lT0_lPT3_i.num_vgpr, 8
	.set _ZL36rocblas_hemvn_kernel_lower_block_sumILi64ElfPffEviT1_lS1_lT2_lT0_lPT3_i.num_agpr, 0
	.set _ZL36rocblas_hemvn_kernel_lower_block_sumILi64ElfPffEviT1_lS1_lT2_lT0_lPT3_i.numbered_sgpr, 28
	.set _ZL36rocblas_hemvn_kernel_lower_block_sumILi64ElfPffEviT1_lS1_lT2_lT0_lPT3_i.num_named_barrier, 0
	.set _ZL36rocblas_hemvn_kernel_lower_block_sumILi64ElfPffEviT1_lS1_lT2_lT0_lPT3_i.private_seg_size, 0
	.set _ZL36rocblas_hemvn_kernel_lower_block_sumILi64ElfPffEviT1_lS1_lT2_lT0_lPT3_i.uses_vcc, 1
	.set _ZL36rocblas_hemvn_kernel_lower_block_sumILi64ElfPffEviT1_lS1_lT2_lT0_lPT3_i.uses_flat_scratch, 0
	.set _ZL36rocblas_hemvn_kernel_lower_block_sumILi64ElfPffEviT1_lS1_lT2_lT0_lPT3_i.has_dyn_sized_stack, 0
	.set _ZL36rocblas_hemvn_kernel_lower_block_sumILi64ElfPffEviT1_lS1_lT2_lT0_lPT3_i.has_recursion, 0
	.set _ZL36rocblas_hemvn_kernel_lower_block_sumILi64ElfPffEviT1_lS1_lT2_lT0_lPT3_i.has_indirect_call, 0
	.section	.AMDGPU.csdata,"",@progbits
; Kernel info:
; codeLenInByte = 688
; TotalNumSgprs: 30
; NumVgprs: 8
; ScratchSize: 0
; MemoryBound: 0
; FloatMode: 240
; IeeeMode: 1
; LDSByteSize: 0 bytes/workgroup (compile time only)
; SGPRBlocks: 0
; VGPRBlocks: 0
; NumSGPRsForWavesPerEU: 30
; NumVGPRsForWavesPerEU: 8
; NamedBarCnt: 0
; Occupancy: 16
; WaveLimiterHint : 0
; COMPUTE_PGM_RSRC2:SCRATCH_EN: 0
; COMPUTE_PGM_RSRC2:USER_SGPR: 2
; COMPUTE_PGM_RSRC2:TRAP_HANDLER: 0
; COMPUTE_PGM_RSRC2:TGID_X_EN: 1
; COMPUTE_PGM_RSRC2:TGID_Y_EN: 0
; COMPUTE_PGM_RSRC2:TGID_Z_EN: 1
; COMPUTE_PGM_RSRC2:TIDIG_COMP_CNT: 0
	.section	.text._ZL26rocblas_hemvn_kernel_lowerILb0ELi64ELi4ELi33ELi32ELi16EifPKfPfEviT6_lT7_lT5_lS4_lS5_lS3_lT8_i,"axG",@progbits,_ZL26rocblas_hemvn_kernel_lowerILb0ELi64ELi4ELi33ELi32ELi16EifPKfPfEviT6_lT7_lT5_lS4_lS5_lS3_lT8_i,comdat
	.globl	_ZL26rocblas_hemvn_kernel_lowerILb0ELi64ELi4ELi33ELi32ELi16EifPKfPfEviT6_lT7_lT5_lS4_lS5_lS3_lT8_i ; -- Begin function _ZL26rocblas_hemvn_kernel_lowerILb0ELi64ELi4ELi33ELi32ELi16EifPKfPfEviT6_lT7_lT5_lS4_lS5_lS3_lT8_i
	.p2align	8
	.type	_ZL26rocblas_hemvn_kernel_lowerILb0ELi64ELi4ELi33ELi32ELi16EifPKfPfEviT6_lT7_lT5_lS4_lS5_lS3_lT8_i,@function
_ZL26rocblas_hemvn_kernel_lowerILb0ELi64ELi4ELi33ELi32ELi16EifPKfPfEviT6_lT7_lT5_lS4_lS5_lS3_lT8_i: ; @_ZL26rocblas_hemvn_kernel_lowerILb0ELi64ELi4ELi33ELi32ELi16EifPKfPfEviT6_lT7_lT5_lS4_lS5_lS3_lT8_i
; %bb.0:
	s_clause 0x1
	s_load_b64 s[2:3], s[0:1], 0x7c
	s_load_b32 s19, s[0:1], 0x68
	s_bfe_u32 s4, ttmp6, 0x40014
	s_lshr_b32 s5, ttmp7, 16
	s_add_co_i32 s4, s4, 1
	s_bfe_u32 s6, ttmp6, 0x40008
	s_mul_i32 s4, s5, s4
	s_getreg_b32 s12, hwreg(HW_REG_IB_STS2, 6, 4)
	s_add_co_i32 s6, s6, s4
	s_mov_b32 s29, 0
	s_wait_kmcnt 0x0
	s_lshr_b32 s4, s2, 16
	s_and_b32 s2, s2, 0xffff
	s_and_b32 s3, s3, 0xffff
	s_mul_i32 s2, s4, s2
	s_cmp_eq_u32 s12, 0
	s_mul_i32 s2, s2, s3
	s_cselect_b32 s28, s5, s6
	s_cmp_lg_u32 s2, 0x100
	s_cselect_b32 s2, -1, 0
	s_cmp_ge_u32 s28, s19
	s_cselect_b32 s3, -1, 0
	s_delay_alu instid0(SALU_CYCLE_1) | instskip(NEXT) | instid1(SALU_CYCLE_1)
	s_or_b32 s2, s2, s3
	s_and_b32 vcc_lo, exec_lo, s2
	s_cbranch_vccnz .LBB87_79
; %bb.1:
	s_clause 0x4
	s_load_b32 s86, s[0:1], 0x20
	s_load_b96 s[16:18], s[0:1], 0x38
	s_load_b128 s[4:7], s[0:1], 0x10
	s_load_b96 s[24:26], s[0:1], 0x48
	s_load_b64 s[8:9], s[0:1], 0x0
	s_add_nc_u64 s[14:15], s[0:1], 0x70
	s_clause 0x1
	s_load_b128 s[20:23], s[0:1], 0x28
	s_load_b64 s[2:3], s[0:1], 0x60
	s_wait_xcnt 0x0
	s_bfe_u32 s1, ttmp6, 0x4000c
	s_and_b32 s0, ttmp6, 15
	s_add_co_i32 s1, s1, 1
	s_load_b32 s10, s[14:15], 0x0
	s_mul_i32 s1, ttmp9, s1
	v_and_b32_e32 v16, 0x3ff, v0
	s_add_co_i32 s0, s0, s1
	v_bfe_u32 v1, v0, 10, 10
	s_mov_b32 s11, s29
	s_mov_b64 s[78:79], 0xffffffffffffff7c
	s_mov_b64 s[80:81], 0xffffffffffffff80
	v_mov_b32_e32 v27, 0
	v_lshl_add_u32 v6, v1, 6, v16
	s_wait_kmcnt 0x0
	s_ashr_i32 s87, s86, 31
	s_cmp_eq_u32 s12, 0
	v_and_b32_e32 v18, 31, v0
	s_cselect_b32 s33, ttmp9, s0
	s_lshl_b64 s[12:13], s[16:17], 2
	s_lshl_b64 s[6:7], s[6:7], 2
	s_cmp_neq_f32 s26, 1.0
	v_lshrrev_b32_e32 v7, 5, v6
	s_add_nc_u64 s[12:13], s[22:23], s[12:13]
	s_add_nc_u64 s[4:5], s[4:5], s[6:7]
	s_cselect_b32 s1, -1, 0
	s_cmp_neq_f32 s9, 0
	v_mad_u32 v2, s86, v7, v18
	s_mul_i32 s6, s8, s33
	v_dual_lshlrev_b32 v11, 2, v7 :: v_dual_lshlrev_b32 v12, 4, v7
	s_cselect_b32 s14, -1, 0
	s_lshl_b32 s44, s33, 6
	s_delay_alu instid0(SALU_CYCLE_1)
	v_dual_lshlrev_b32 v40, 2, v16 :: v_dual_add_nc_u32 v20, s44, v16
	s_ashr_i32 s9, s8, 31
	s_add_co_i32 s16, s10, -1
	s_lshr_b32 s15, s9, 26
	s_or_b32 s92, s14, s1
	s_add_co_i32 s15, s8, s15
	v_mul_lo_u32 v4, s18, v20
	s_and_not1_b32 s15, s15, 63
	v_ashrrev_i32_e32 v3, 31, v2
	s_sub_co_i32 s1, s8, s15
	s_cmp_eq_u32 s33, s16
	s_mul_u64 s[26:27], s[10:11], s[8:9]
	s_cselect_b32 s22, s1, 0
	s_mul_i32 s46, s86, s44
	s_cmp_eq_u32 s22, 0
	v_cmp_gt_i32_e32 vcc_lo, s22, v16
	s_cselect_b32 s93, -1, 0
	s_ashr_i32 s45, s44, 31
	v_ashrrev_i32_e32 v5, 31, v4
	s_lshl_b64 s[8:9], s[44:45], 2
	s_ashr_i32 s47, s46, 31
	s_add_nc_u64 s[4:5], s[4:5], s[8:9]
	s_ashr_i32 s7, s6, 31
	v_lshl_add_u64 v[22:23], v[4:5], 2, s[12:13]
	v_lshl_add_u64 v[4:5], v[2:3], 2, s[4:5]
	s_or_b32 s94, s93, vcc_lo
	s_lshl_b64 s[6:7], s[6:7], 2
	v_dual_mov_b32 v19, v27 :: v_dual_add_nc_u32 v8, 8, v7
	s_delay_alu instid0(VALU_DEP_2)
	v_lshl_add_u64 v[24:25], s[46:47], 2, v[4:5]
	v_lshlrev_b32_e32 v4, 2, v18
	s_cmp_lg_u32 s22, 0
	s_add_nc_u64 s[30:31], s[2:3], s[6:7]
	s_cselect_b32 s17, -1, 0
	s_sub_co_i32 s15, s22, 32
	v_cmp_gt_i32_e64 s3, s22, v8
	v_cmp_gt_i32_e64 s13, s15, v8
	v_mul_lo_u32 v8, v1, s86
	v_mul_u32_u24_e32 v21, 33, v18
	v_dual_add_nc_u32 v9, 16, v7 :: v_dual_add_nc_u32 v10, 24, v7
	v_cndmask_b32_e64 v42, 0, 1, s14
	v_mul_u32_u24_e32 v5, 0x84, v7
	s_delay_alu instid0(VALU_DEP_4)
	v_lshl_add_u32 v45, v21, 2, v11
	v_sub_nc_u64_e32 v[28:29], 0, v[18:19]
	v_cmp_gt_i32_e64 s2, s22, v7
	v_lshl_or_b32 v19, v18, 7, v4
	v_cmp_gt_i32_e64 s4, s22, v9
	v_lshl_add_u32 v30, v8, 2, v16
	v_or_b32_e32 v17, 3, v11
	s_delay_alu instid0(VALU_DEP_4)
	v_dual_add_nc_u32 v43, v19, v12 :: v_dual_bitop2_b32 v13, 1, v11 bitop3:0x54
	v_mul_u32_u24_e32 v14, 0x210, v7
	v_add_nc_u32_e32 v44, 0x11c0, v12
	v_cmp_gt_i32_e64 s12, s15, v7
	v_cmp_gt_i32_e64 s14, s15, v9
	v_cmp_eq_u32_e64 s16, 1, v7
	v_cmp_le_i32_e32 vcc_lo, s22, v16
	v_mul_i32_i24_e32 v9, -12, v7
	v_mad_u32_u24 v46, v7, 12, v45
	v_and_b32_e32 v7, 15, v0
	v_sub_nc_u64_e32 v[32:33], 0, v[2:3]
	v_dual_lshrrev_b32 v2, 2, v6 :: v_dual_bitop2_b32 v0, 48, v0 bitop3:0x40
	v_dual_add_nc_u32 v54, v44, v9 :: v_dual_bitop2_b32 v15, 2, v11 bitop3:0x54
	v_ashrrev_i32_e32 v31, 31, v30
	v_cmp_lt_u32_e64 s9, v17, v18
	v_mov_b32_e32 v17, v27
	s_lshl_b32 s34, s86, 3
	s_lshl_b32 s36, s86, 4
	s_mul_i32 s38, s86, 24
	v_cmp_gt_i32_e64 s5, s22, v10
	v_cmp_lt_u32_e64 s7, v13, v18
	v_mul_u32_u24_e32 v13, 0x84, v13
	v_dual_lshlrev_b32 v0, 2, v0 :: v_dual_bitop2_b32 v12, 32, v18 bitop3:0x54
	s_lshl_b32 s40, s86, 5
	v_cmp_gt_i32_e64 s15, s15, v10
	s_and_b32 s17, s17, vcc_lo
	s_mul_i32 s44, s18, s44
	v_mad_u32_u24 v48, 0x430, v1, v40
	v_and_b32_e32 v2, 0x1ffc, v2
	v_mul_u32_u24_e32 v3, 0x10c, v7
	v_and_b32_e32 v10, 0x7ff0, v6
	v_or_b32_e32 v8, 60, v40
	s_ashr_i32 s35, s34, 31
	s_ashr_i32 s37, s36, 31
	;; [unrolled: 1-line block ×5, first 2 shown]
	s_xor_b32 s48, s17, -1
	s_ashr_i32 s45, s44, 31
	v_cmp_eq_u32_e64 s0, 0, v1
	s_cmp_gt_i32 s33, 0
	v_sub_nc_u64_e32 v[34:35], 0, v[16:17]
	v_add_nc_u32_e32 v41, 0x11c0, v40
	v_cmp_gt_i32_e64 s1, s22, v18
	v_cmp_lt_u32_e64 s6, v11, v18
	v_cmp_lt_u32_e64 s8, v15, v18
	v_cmp_gt_u32_e64 s10, 32, v6
	v_cmp_gt_i32_e64 s11, s22, v12
	s_cselect_b32 s95, -1, 0
	s_lshl_b32 s96, s18, 6
	v_add_nc_u32_e32 v17, 0x10c0, v40
	v_lshl_add_u32 v47, v1, 4, 0x10c0
	v_mad_u32_u24 v49, 0x10c, v7, v2
	v_cmp_gt_u32_e64 s18, 64, v6
	v_mad_u32_u24 v50, 0x10c, v7, v0
	v_mad_i32_i24 v52, 0xfffffcdc, v1, v48
	v_dual_ashrrev_i32 v21, 31, v20 :: v_dual_add_nc_u32 v56, v4, v5
	v_add_nc_u32_e32 v53, 0x11c0, v11
	v_add_nc_u32_e32 v55, v3, v10
	v_mad_u32_u24 v51, 0x10c, v7, v8
	v_dual_add_nc_u32 v57, v4, v14 :: v_dual_add_nc_u32 v58, v4, v13
	s_sub_nc_u64 s[42:43], 0, s[40:41]
	s_sub_nc_u64 s[44:45], 0, s[44:45]
	;; [unrolled: 1-line block ×3, first 2 shown]
	s_and_b32 s97, s0, s48
	s_lshl_b64 s[48:49], s[86:87], 5
	s_sub_nc_u64 s[50:51], 0, s[22:23]
	s_lshl_b64 s[52:53], s[86:87], 2
	s_lshl_b64 s[54:55], s[86:87], 8
	;; [unrolled: 1-line block ×3, first 2 shown]
	s_mul_u64 s[58:59], s[86:87], 12
	s_mul_u64 s[60:61], s[86:87], 0x48
	;; [unrolled: 1-line block ×10, first 2 shown]
	s_lshl_b64 s[82:83], s[86:87], 7
	s_mul_u64 s[84:85], s[86:87], 0x44
	s_lshl_b64 s[86:87], s[86:87], 6
	s_branch .LBB87_4
.LBB87_2:                               ;   in Loop: Header=BB87_4 Depth=1
	s_wait_xcnt 0x0
	s_or_b32 exec_lo, exec_lo, s90
.LBB87_3:                               ;   in Loop: Header=BB87_4 Depth=1
	s_add_co_i32 s28, s28, 0x10000
	s_delay_alu instid0(SALU_CYCLE_1)
	s_cmp_lt_u32 s28, s19
	s_cbranch_scc0 .LBB87_79
.LBB87_4:                               ; =>This Loop Header: Depth=1
                                        ;     Child Loop BB87_67 Depth 2
	s_and_not1_b32 vcc_lo, exec_lo, s92
	s_cbranch_vccnz .LBB87_3
; %bb.5:                                ;   in Loop: Header=BB87_4 Depth=1
	v_cmp_ne_u32_e32 vcc_lo, 1, v42
	s_cbranch_vccnz .LBB87_3
; %bb.6:                                ;   in Loop: Header=BB87_4 Depth=1
	s_mul_u64 s[88:89], s[24:25], s[28:29]
	s_delay_alu instid0(SALU_CYCLE_1)
	v_lshl_add_u64 v[4:5], s[88:89], 2, v[22:23]
	s_and_saveexec_b32 s88, s0
	s_cbranch_execz .LBB87_10
; %bb.7:                                ;   in Loop: Header=BB87_4 Depth=1
	v_mov_b32_e32 v0, 0
	s_and_saveexec_b32 s89, s94
	s_cbranch_execz .LBB87_9
; %bb.8:                                ;   in Loop: Header=BB87_4 Depth=1
	global_load_b32 v0, v[4:5], off
.LBB87_9:                               ;   in Loop: Header=BB87_4 Depth=1
	s_wait_xcnt 0x0
	s_or_b32 exec_lo, exec_lo, s89
	s_wait_loadcnt 0x0
	ds_store_b32 v41, v0
.LBB87_10:                              ;   in Loop: Header=BB87_4 Depth=1
	s_or_b32 exec_lo, exec_lo, s88
	s_mul_u64 s[88:89], s[20:21], s[28:29]
	s_and_not1_b32 vcc_lo, exec_lo, s93
	v_lshl_add_u64 v[0:1], s[88:89], 2, v[24:25]
	s_mov_b32 s88, -1
	s_cbranch_vccnz .LBB87_12
; %bb.11:                               ;   in Loop: Header=BB87_4 Depth=1
	s_delay_alu instid0(VALU_DEP_1) | instskip(SKIP_1) | instid1(VALU_DEP_1)
	v_lshl_add_u64 v[2:3], s[34:35], 2, v[0:1]
	s_mov_b32 s88, 0
	v_add_nc_u64_e32 v[6:7], s[48:49], v[2:3]
	s_delay_alu instid0(VALU_DEP_1)
	v_add_nc_u64_e32 v[8:9], s[48:49], v[6:7]
	s_clause 0x3
	global_load_b32 v10, v[0:1], off
	global_load_b32 v2, v[2:3], off
	;; [unrolled: 1-line block ×4, first 2 shown]
	s_wait_loadcnt 0x3
	ds_store_b32 v56, v10
	s_wait_loadcnt 0x2
	ds_store_b32 v56, v2 offset:1056
	s_wait_loadcnt 0x1
	ds_store_b32 v56, v3 offset:2112
	;; [unrolled: 2-line block ×3, first 2 shown]
.LBB87_12:                              ;   in Loop: Header=BB87_4 Depth=1
	s_and_not1_b32 vcc_lo, exec_lo, s88
	s_cbranch_vccnz .LBB87_22
; %bb.13:                               ;   in Loop: Header=BB87_4 Depth=1
	v_lshl_add_u64 v[2:3], v[28:29], 2, v[0:1]
	v_mov_b32_e32 v6, 0
	s_delay_alu instid0(VALU_DEP_2) | instskip(NEXT) | instid1(VALU_DEP_1)
	v_lshl_add_u64 v[2:3], s[22:23], 2, v[2:3]
	v_add_nc_u64_e32 v[2:3], -4, v[2:3]
	s_delay_alu instid0(VALU_DEP_1) | instskip(NEXT) | instid1(VALU_DEP_2)
	v_dual_mov_b32 v7, 0 :: v_dual_cndmask_b32 v3, v3, v1, s1
	v_cndmask_b32_e64 v2, v2, v0, s1
	s_wait_xcnt 0x0
	s_and_saveexec_b32 s88, s2
	s_cbranch_execz .LBB87_15
; %bb.14:                               ;   in Loop: Header=BB87_4 Depth=1
	global_load_b32 v6, v[2:3], off
.LBB87_15:                              ;   in Loop: Header=BB87_4 Depth=1
	s_wait_xcnt 0x0
	s_or_b32 exec_lo, exec_lo, s88
	s_wait_loadcnt 0x0
	ds_store_b32 v56, v6
	s_and_saveexec_b32 s88, s3
	s_cbranch_execz .LBB87_17
; %bb.16:                               ;   in Loop: Header=BB87_4 Depth=1
	v_lshl_add_u64 v[6:7], s[34:35], 2, v[2:3]
	global_load_b32 v7, v[6:7], off
.LBB87_17:                              ;   in Loop: Header=BB87_4 Depth=1
	s_wait_xcnt 0x0
	s_or_b32 exec_lo, exec_lo, s88
	v_dual_mov_b32 v6, 0 :: v_dual_mov_b32 v8, 0
	s_wait_loadcnt 0x0
	ds_store_b32 v56, v7 offset:1056
	s_and_saveexec_b32 s88, s4
	s_cbranch_execz .LBB87_19
; %bb.18:                               ;   in Loop: Header=BB87_4 Depth=1
	v_lshl_add_u64 v[8:9], s[36:37], 2, v[2:3]
	global_load_b32 v8, v[8:9], off
.LBB87_19:                              ;   in Loop: Header=BB87_4 Depth=1
	s_wait_xcnt 0x0
	s_or_b32 exec_lo, exec_lo, s88
	s_wait_loadcnt 0x0
	ds_store_b32 v56, v8 offset:2112
	s_and_saveexec_b32 s88, s5
	s_cbranch_execz .LBB87_21
; %bb.20:                               ;   in Loop: Header=BB87_4 Depth=1
	v_lshl_add_u64 v[6:7], s[38:39], 2, v[2:3]
	global_load_b32 v6, v[6:7], off
.LBB87_21:                              ;   in Loop: Header=BB87_4 Depth=1
	s_wait_xcnt 0x0
	s_or_b32 exec_lo, exec_lo, s88
	v_lshlrev_b32_e32 v26, 2, v18
	s_wait_loadcnt 0x0
	ds_store_b32 v56, v6 offset:3168
	v_add_nc_u64_e32 v[2:3], v[2:3], v[26:27]
	s_delay_alu instid0(VALU_DEP_1) | instskip(NEXT) | instid1(VALU_DEP_1)
	v_lshl_add_u64 v[2:3], s[50:51], 2, v[2:3]
	v_add_nc_u64_e32 v[2:3], 4, v[2:3]
	s_delay_alu instid0(VALU_DEP_1)
	v_dual_cndmask_b32 v1, v3, v1, s1 :: v_dual_cndmask_b32 v0, v2, v0, s1
.LBB87_22:                              ;   in Loop: Header=BB87_4 Depth=1
	s_wait_dscnt 0x0
	s_barrier_signal -1
	s_barrier_wait -1
	s_wait_xcnt 0x0
	s_and_saveexec_b32 s88, s6
	s_cbranch_execnz .LBB87_73
; %bb.23:                               ;   in Loop: Header=BB87_4 Depth=1
	s_or_b32 exec_lo, exec_lo, s88
	s_and_saveexec_b32 s88, s7
	s_cbranch_execnz .LBB87_74
.LBB87_24:                              ;   in Loop: Header=BB87_4 Depth=1
	s_or_b32 exec_lo, exec_lo, s88
	s_and_saveexec_b32 s88, s8
	s_cbranch_execnz .LBB87_75
.LBB87_25:                              ;   in Loop: Header=BB87_4 Depth=1
	s_or_b32 exec_lo, exec_lo, s88
	s_and_saveexec_b32 s88, s9
	s_cbranch_execz .LBB87_27
.LBB87_26:                              ;   in Loop: Header=BB87_4 Depth=1
	ds_load_b32 v2, v58 offset:264
	s_wait_dscnt 0x0
	ds_store_b32 v43, v2 offset:12
.LBB87_27:                              ;   in Loop: Header=BB87_4 Depth=1
	s_or_b32 exec_lo, exec_lo, s88
	s_wait_dscnt 0x0
	s_barrier_signal -1
	s_barrier_wait -1
	ds_load_2addr_b32 v[2:3], v58 offset1:33
	ds_load_b32 v10, v57
	ds_load_b128 v[6:9], v44
	ds_load_b32 v13, v58 offset:264
	s_wait_dscnt 0x0
	s_barrier_signal -1
	s_barrier_wait -1
	v_dual_mov_b32 v59, 0 :: v_dual_mov_b32 v11, v2
	v_mov_b32_e32 v12, v3
	s_delay_alu instid0(VALU_DEP_2) | instskip(NEXT) | instid1(VALU_DEP_2)
	v_pk_mul_f32 v[6:7], v[10:11], v[6:7]
	v_pk_mul_f32 v[2:3], v[12:13], v[8:9]
	s_delay_alu instid0(VALU_DEP_2) | instskip(NEXT) | instid1(VALU_DEP_1)
	v_add_f32_e32 v6, 0, v6
	v_add_f32_e32 v6, v6, v7
	s_delay_alu instid0(VALU_DEP_1) | instskip(NEXT) | instid1(VALU_DEP_1)
	v_add_f32_e32 v2, v6, v2
	v_add_f32_e32 v2, v2, v3
	ds_store_b32 v45, v2
	s_wait_dscnt 0x0
	s_barrier_signal -1
	s_barrier_wait -1
	s_and_saveexec_b32 s88, s10
	s_cbranch_execz .LBB87_29
; %bb.28:                               ;   in Loop: Header=BB87_4 Depth=1
	ds_load_2addr_b32 v[2:3], v19 offset1:1
	ds_load_2addr_b32 v[6:7], v19 offset0:2 offset1:3
	ds_load_2addr_b32 v[8:9], v19 offset0:4 offset1:5
	;; [unrolled: 1-line block ×3, first 2 shown]
	s_wait_dscnt 0x3
	v_add_f32_e32 v2, v2, v3
	s_wait_dscnt 0x2
	s_delay_alu instid0(VALU_DEP_1) | instskip(NEXT) | instid1(VALU_DEP_1)
	v_add_f32_e32 v2, v2, v6
	v_add_f32_e32 v2, v2, v7
	s_wait_dscnt 0x1
	s_delay_alu instid0(VALU_DEP_1) | instskip(NEXT) | instid1(VALU_DEP_1)
	v_add_f32_e32 v2, v2, v8
	;; [unrolled: 4-line block ×3, first 2 shown]
	v_add_f32_e32 v59, v2, v11
.LBB87_29:                              ;   in Loop: Header=BB87_4 Depth=1
	s_or_b32 exec_lo, exec_lo, s88
	v_lshl_add_u64 v[2:3], s[40:41], 2, v[0:1]
	s_and_not1_b32 vcc_lo, exec_lo, s93
	s_mov_b32 s88, -1
	s_barrier_signal -1
	s_barrier_wait -1
	s_cbranch_vccnz .LBB87_31
; %bb.30:                               ;   in Loop: Header=BB87_4 Depth=1
	v_lshl_add_u64 v[0:1], s[34:35], 2, v[2:3]
	s_mov_b32 s88, 0
	s_delay_alu instid0(VALU_DEP_1) | instskip(NEXT) | instid1(VALU_DEP_1)
	v_add_nc_u64_e32 v[6:7], s[48:49], v[0:1]
	v_add_nc_u64_e32 v[8:9], s[48:49], v[6:7]
	s_clause 0x3
	global_load_b32 v10, v[2:3], off offset:128
	global_load_b32 v0, v[0:1], off offset:128
	;; [unrolled: 1-line block ×4, first 2 shown]
	s_wait_loadcnt 0x3
	ds_store_b32 v56, v10
	s_wait_loadcnt 0x2
	ds_store_b32 v56, v0 offset:1056
	s_wait_loadcnt 0x1
	ds_store_b32 v56, v1 offset:2112
	;; [unrolled: 2-line block ×3, first 2 shown]
.LBB87_31:                              ;   in Loop: Header=BB87_4 Depth=1
	v_add_nc_u64_e32 v[0:1], 0x80, v[2:3]
	s_and_not1_b32 vcc_lo, exec_lo, s88
	s_cbranch_vccnz .LBB87_41
; %bb.32:                               ;   in Loop: Header=BB87_4 Depth=1
	v_lshl_add_u64 v[2:3], v[28:29], 2, v[2:3]
	v_mov_b32_e32 v6, 0
	s_delay_alu instid0(VALU_DEP_2) | instskip(NEXT) | instid1(VALU_DEP_1)
	v_lshl_add_u64 v[2:3], s[22:23], 2, v[2:3]
	v_add_nc_u64_e32 v[2:3], -4, v[2:3]
	s_delay_alu instid0(VALU_DEP_1) | instskip(NEXT) | instid1(VALU_DEP_2)
	v_dual_mov_b32 v7, 0 :: v_dual_cndmask_b32 v3, v3, v1, s11
	v_cndmask_b32_e64 v2, v2, v0, s11
	s_wait_xcnt 0x0
	s_and_saveexec_b32 s88, s12
	s_cbranch_execz .LBB87_34
; %bb.33:                               ;   in Loop: Header=BB87_4 Depth=1
	global_load_b32 v6, v[2:3], off
.LBB87_34:                              ;   in Loop: Header=BB87_4 Depth=1
	s_wait_xcnt 0x0
	s_or_b32 exec_lo, exec_lo, s88
	s_wait_loadcnt 0x0
	ds_store_b32 v56, v6
	s_and_saveexec_b32 s88, s13
	s_cbranch_execz .LBB87_36
; %bb.35:                               ;   in Loop: Header=BB87_4 Depth=1
	v_lshl_add_u64 v[6:7], s[34:35], 2, v[2:3]
	global_load_b32 v7, v[6:7], off
.LBB87_36:                              ;   in Loop: Header=BB87_4 Depth=1
	s_wait_xcnt 0x0
	s_or_b32 exec_lo, exec_lo, s88
	v_dual_mov_b32 v6, 0 :: v_dual_mov_b32 v8, 0
	s_wait_loadcnt 0x0
	ds_store_b32 v56, v7 offset:1056
	s_and_saveexec_b32 s88, s14
	s_cbranch_execz .LBB87_38
; %bb.37:                               ;   in Loop: Header=BB87_4 Depth=1
	v_lshl_add_u64 v[8:9], s[36:37], 2, v[2:3]
	global_load_b32 v8, v[8:9], off
.LBB87_38:                              ;   in Loop: Header=BB87_4 Depth=1
	s_wait_xcnt 0x0
	s_or_b32 exec_lo, exec_lo, s88
	s_wait_loadcnt 0x0
	ds_store_b32 v56, v8 offset:2112
	s_and_saveexec_b32 s88, s15
	s_cbranch_execz .LBB87_40
; %bb.39:                               ;   in Loop: Header=BB87_4 Depth=1
	v_lshl_add_u64 v[6:7], s[38:39], 2, v[2:3]
	global_load_b32 v6, v[6:7], off
.LBB87_40:                              ;   in Loop: Header=BB87_4 Depth=1
	s_wait_xcnt 0x0
	s_or_b32 exec_lo, exec_lo, s88
	v_lshlrev_b32_e32 v26, 2, v18
	s_wait_loadcnt 0x0
	ds_store_b32 v56, v6 offset:3168
	v_add_nc_u64_e32 v[2:3], v[2:3], v[26:27]
	s_delay_alu instid0(VALU_DEP_1) | instskip(NEXT) | instid1(VALU_DEP_1)
	v_lshl_add_u64 v[2:3], s[50:51], 2, v[2:3]
	v_add_nc_u64_e32 v[2:3], 0x84, v[2:3]
	s_delay_alu instid0(VALU_DEP_1)
	v_dual_cndmask_b32 v1, v3, v1, s11 :: v_dual_cndmask_b32 v0, v2, v0, s11
.LBB87_41:                              ;   in Loop: Header=BB87_4 Depth=1
	s_wait_dscnt 0x0
	s_barrier_signal -1
	s_barrier_wait -1
	s_wait_xcnt 0x0
	s_and_saveexec_b32 s88, s6
	s_cbranch_execnz .LBB87_76
; %bb.42:                               ;   in Loop: Header=BB87_4 Depth=1
	s_or_b32 exec_lo, exec_lo, s88
	s_and_saveexec_b32 s88, s7
	s_cbranch_execnz .LBB87_77
.LBB87_43:                              ;   in Loop: Header=BB87_4 Depth=1
	s_or_b32 exec_lo, exec_lo, s88
	s_and_saveexec_b32 s88, s8
	s_cbranch_execnz .LBB87_78
.LBB87_44:                              ;   in Loop: Header=BB87_4 Depth=1
	s_or_b32 exec_lo, exec_lo, s88
	s_and_saveexec_b32 s88, s9
	s_cbranch_execz .LBB87_46
.LBB87_45:                              ;   in Loop: Header=BB87_4 Depth=1
	ds_load_b32 v2, v58 offset:264
	s_wait_dscnt 0x0
	ds_store_b32 v43, v2 offset:12
.LBB87_46:                              ;   in Loop: Header=BB87_4 Depth=1
	s_or_b32 exec_lo, exec_lo, s88
	s_wait_dscnt 0x0
	s_barrier_signal -1
	s_barrier_wait -1
	ds_load_2addr_b32 v[2:3], v58 offset1:33
	ds_load_b32 v10, v57
	ds_load_b128 v[6:9], v44 offset:128
	ds_load_b32 v13, v58 offset:264
	s_wait_dscnt 0x0
	s_barrier_signal -1
	s_barrier_wait -1
	v_dual_mov_b32 v11, v2 :: v_dual_mov_b32 v12, v3
	s_delay_alu instid0(VALU_DEP_1) | instskip(NEXT) | instid1(VALU_DEP_2)
	v_pk_mul_f32 v[6:7], v[10:11], v[6:7]
	v_pk_mul_f32 v[2:3], v[12:13], v[8:9]
	s_delay_alu instid0(VALU_DEP_2) | instskip(NEXT) | instid1(VALU_DEP_1)
	v_add_f32_e32 v6, 0, v6
	v_add_f32_e32 v6, v6, v7
	s_delay_alu instid0(VALU_DEP_1) | instskip(NEXT) | instid1(VALU_DEP_1)
	v_add_f32_e32 v2, v6, v2
	v_add_f32_e32 v2, v2, v3
	ds_store_b32 v45, v2
	s_wait_dscnt 0x0
	s_barrier_signal -1
	s_barrier_wait -1
	s_and_saveexec_b32 s88, s16
	s_cbranch_execz .LBB87_48
; %bb.47:                               ;   in Loop: Header=BB87_4 Depth=1
	ds_load_2addr_b32 v[2:3], v19 offset1:1
	ds_load_2addr_b32 v[6:7], v19 offset0:2 offset1:3
	ds_load_2addr_b32 v[8:9], v19 offset0:4 offset1:5
	;; [unrolled: 1-line block ×3, first 2 shown]
	s_wait_dscnt 0x3
	v_add_f32_e32 v2, v2, v3
	s_wait_dscnt 0x2
	s_delay_alu instid0(VALU_DEP_1) | instskip(NEXT) | instid1(VALU_DEP_1)
	v_add_f32_e32 v2, v2, v6
	v_add_f32_e32 v2, v2, v7
	s_wait_dscnt 0x1
	s_delay_alu instid0(VALU_DEP_1) | instskip(NEXT) | instid1(VALU_DEP_1)
	v_add_f32_e32 v2, v2, v8
	;; [unrolled: 4-line block ×3, first 2 shown]
	v_add_f32_e32 v59, v2, v11
.LBB87_48:                              ;   in Loop: Header=BB87_4 Depth=1
	s_or_b32 exec_lo, exec_lo, s88
	v_lshl_add_u64 v[6:7], s[42:43], 2, v[0:1]
	s_and_not1_b32 vcc_lo, exec_lo, s93
	s_mov_b32 s88, -1
	s_barrier_signal -1
	s_barrier_wait -1
	s_cbranch_vccnz .LBB87_50
; %bb.49:                               ;   in Loop: Header=BB87_4 Depth=1
	v_lshl_add_u64 v[0:1], s[34:35], 2, v[6:7]
	s_mov_b32 s88, 0
	s_delay_alu instid0(VALU_DEP_1) | instskip(NEXT) | instid1(VALU_DEP_1)
	v_add_nc_u64_e32 v[2:3], s[48:49], v[0:1]
	v_add_nc_u64_e32 v[8:9], s[48:49], v[2:3]
	s_clause 0x3
	global_load_b32 v10, v[6:7], off
	global_load_b32 v0, v[0:1], off
	;; [unrolled: 1-line block ×4, first 2 shown]
	s_wait_loadcnt 0x3
	ds_store_b32 v56, v10
	s_wait_loadcnt 0x2
	ds_store_b32 v56, v0 offset:1056
	s_wait_loadcnt 0x1
	ds_store_b32 v56, v1 offset:2112
	;; [unrolled: 2-line block ×3, first 2 shown]
.LBB87_50:                              ;   in Loop: Header=BB87_4 Depth=1
	s_and_not1_b32 vcc_lo, exec_lo, s88
	s_cbranch_vccnz .LBB87_60
; %bb.51:                               ;   in Loop: Header=BB87_4 Depth=1
	v_lshl_add_u64 v[0:1], v[28:29], 2, v[6:7]
	v_mov_b32_e32 v2, 0
	s_delay_alu instid0(VALU_DEP_2) | instskip(NEXT) | instid1(VALU_DEP_1)
	v_lshl_add_u64 v[0:1], s[22:23], 2, v[0:1]
	v_add_nc_u64_e32 v[0:1], s[78:79], v[0:1]
	s_delay_alu instid0(VALU_DEP_1) | instskip(NEXT) | instid1(VALU_DEP_2)
	v_dual_mov_b32 v3, 0 :: v_dual_cndmask_b32 v1, v1, v7, s11
	v_cndmask_b32_e64 v0, v0, v6, s11
	s_wait_xcnt 0x0
	s_and_saveexec_b32 s88, s2
	s_cbranch_execz .LBB87_53
; %bb.52:                               ;   in Loop: Header=BB87_4 Depth=1
	global_load_b32 v2, v[0:1], off
.LBB87_53:                              ;   in Loop: Header=BB87_4 Depth=1
	s_wait_xcnt 0x0
	s_or_b32 exec_lo, exec_lo, s88
	s_wait_loadcnt 0x0
	ds_store_b32 v56, v2
	s_and_saveexec_b32 s88, s3
	s_cbranch_execz .LBB87_55
; %bb.54:                               ;   in Loop: Header=BB87_4 Depth=1
	v_lshl_add_u64 v[2:3], s[34:35], 2, v[0:1]
	global_load_b32 v3, v[2:3], off
.LBB87_55:                              ;   in Loop: Header=BB87_4 Depth=1
	s_wait_xcnt 0x0
	s_or_b32 exec_lo, exec_lo, s88
	v_dual_mov_b32 v2, 0 :: v_dual_mov_b32 v8, 0
	s_wait_loadcnt 0x0
	ds_store_b32 v56, v3 offset:1056
	s_and_saveexec_b32 s88, s4
	s_cbranch_execz .LBB87_57
; %bb.56:                               ;   in Loop: Header=BB87_4 Depth=1
	v_lshl_add_u64 v[8:9], s[36:37], 2, v[0:1]
	global_load_b32 v8, v[8:9], off
.LBB87_57:                              ;   in Loop: Header=BB87_4 Depth=1
	s_wait_xcnt 0x0
	s_or_b32 exec_lo, exec_lo, s88
	s_wait_loadcnt 0x0
	ds_store_b32 v56, v8 offset:2112
	s_and_saveexec_b32 s88, s5
	s_cbranch_execz .LBB87_59
; %bb.58:                               ;   in Loop: Header=BB87_4 Depth=1
	v_lshl_add_u64 v[2:3], s[38:39], 2, v[0:1]
	global_load_b32 v2, v[2:3], off
.LBB87_59:                              ;   in Loop: Header=BB87_4 Depth=1
	s_wait_xcnt 0x0
	s_or_b32 exec_lo, exec_lo, s88
	v_lshlrev_b32_e32 v26, 2, v18
	s_wait_loadcnt 0x0
	ds_store_b32 v56, v2 offset:3168
	v_add_nc_u64_e32 v[0:1], v[0:1], v[26:27]
	s_delay_alu instid0(VALU_DEP_1) | instskip(NEXT) | instid1(VALU_DEP_1)
	v_lshl_add_u64 v[0:1], s[50:51], 2, v[0:1]
	v_add_nc_u64_e32 v[0:1], 0x84, v[0:1]
	s_delay_alu instid0(VALU_DEP_1)
	v_dual_cndmask_b32 v7, v1, v7, s11 :: v_dual_cndmask_b32 v6, v0, v6, s11
.LBB87_60:                              ;   in Loop: Header=BB87_4 Depth=1
	s_wait_dscnt 0x0
	s_barrier_signal -1
	s_barrier_wait -1
	ds_load_2addr_b32 v[0:1], v53 offset0:8 offset1:16
	ds_load_b32 v2, v56
	ds_load_b32 v3, v56 offset:1056
	ds_load_b32 v12, v56 offset:2112
	;; [unrolled: 1-line block ×3, first 2 shown]
	s_wait_xcnt 0x0
	ds_load_b32 v8, v54
	ds_load_b32 v15, v53 offset:96
	s_wait_dscnt 0x6
	v_dual_mov_b32 v9, v0 :: v_dual_mov_b32 v14, v1
	s_wait_dscnt 0x1
	s_delay_alu instid0(VALU_DEP_1)
	v_pk_mul_f32 v[36:37], v[2:3], v[8:9]
	ds_load_2addr_b32 v[10:11], v46 offset1:1
	ds_load_b128 v[0:3], v44 offset:128
	ds_load_2addr_b32 v[8:9], v46 offset0:2 offset1:3
	s_wait_dscnt 0x3
	v_pk_mul_f32 v[12:13], v[12:13], v[14:15]
	s_wait_dscnt 0x0
	s_barrier_signal -1
	v_add_f32_e32 v26, 0, v36
	s_barrier_wait -1
	s_delay_alu instid0(VALU_DEP_1) | instskip(NEXT) | instid1(VALU_DEP_1)
	v_add_f32_e32 v14, v26, v37
	v_add_f32_e32 v12, v14, v12
	s_delay_alu instid0(VALU_DEP_1)
	v_add_f32_e32 v12, v12, v13
	ds_store_b32 v45, v12
	s_wait_dscnt 0x0
	s_barrier_signal -1
	s_barrier_wait -1
	s_and_saveexec_b32 s88, s16
	s_cbranch_execz .LBB87_62
; %bb.61:                               ;   in Loop: Header=BB87_4 Depth=1
	ds_load_2addr_b32 v[12:13], v19 offset1:1
	ds_load_2addr_b32 v[14:15], v19 offset0:2 offset1:3
	ds_load_2addr_b32 v[36:37], v19 offset0:4 offset1:5
	;; [unrolled: 1-line block ×3, first 2 shown]
	s_wait_dscnt 0x3
	v_add_f32_e32 v12, v59, v12
	s_delay_alu instid0(VALU_DEP_1) | instskip(SKIP_1) | instid1(VALU_DEP_1)
	v_add_f32_e32 v12, v12, v13
	s_wait_dscnt 0x2
	v_add_f32_e32 v12, v12, v14
	s_delay_alu instid0(VALU_DEP_1) | instskip(SKIP_1) | instid1(VALU_DEP_1)
	v_add_f32_e32 v12, v12, v15
	;; [unrolled: 4-line block ×3, first 2 shown]
	s_wait_dscnt 0x0
	v_add_f32_e32 v12, v12, v38
	s_delay_alu instid0(VALU_DEP_1)
	v_add_f32_e32 v59, v12, v39
.LBB87_62:                              ;   in Loop: Header=BB87_4 Depth=1
	s_or_b32 exec_lo, exec_lo, s88
	v_fma_f32 v0, v10, v0, 0
	s_barrier_signal -1
	s_barrier_wait -1
	s_delay_alu instid0(VALU_DEP_1) | instskip(NEXT) | instid1(VALU_DEP_1)
	v_fmac_f32_e32 v0, v11, v1
	v_fmac_f32_e32 v0, v8, v2
	s_delay_alu instid0(VALU_DEP_1)
	v_fmac_f32_e32 v0, v9, v3
	ds_store_b32 v45, v0
	s_wait_dscnt 0x0
	s_barrier_signal -1
	s_barrier_wait -1
	s_and_saveexec_b32 s88, s10
	s_cbranch_execz .LBB87_64
; %bb.63:                               ;   in Loop: Header=BB87_4 Depth=1
	ds_load_2addr_b32 v[0:1], v19 offset1:1
	ds_load_2addr_b32 v[2:3], v19 offset0:2 offset1:3
	ds_load_2addr_b32 v[8:9], v19 offset0:4 offset1:5
	ds_load_2addr_b32 v[10:11], v19 offset0:6 offset1:7
	s_wait_dscnt 0x3
	v_add_f32_e32 v0, v59, v0
	s_delay_alu instid0(VALU_DEP_1) | instskip(SKIP_1) | instid1(VALU_DEP_1)
	v_add_f32_e32 v0, v0, v1
	s_wait_dscnt 0x2
	v_add_f32_e32 v0, v0, v2
	s_delay_alu instid0(VALU_DEP_1) | instskip(SKIP_1) | instid1(VALU_DEP_1)
	v_add_f32_e32 v0, v0, v3
	;; [unrolled: 4-line block ×3, first 2 shown]
	s_wait_dscnt 0x0
	v_add_f32_e32 v0, v0, v10
	s_delay_alu instid0(VALU_DEP_1)
	v_add_f32_e32 v59, v0, v11
.LBB87_64:                              ;   in Loop: Header=BB87_4 Depth=1
	s_or_b32 exec_lo, exec_lo, s88
	s_mul_u64 s[88:89], s[26:27], s[28:29]
	s_and_not1_b32 vcc_lo, exec_lo, s95
	s_lshl_b64 s[88:89], s[88:89], 2
	s_delay_alu instid0(SALU_CYCLE_1)
	s_add_nc_u64 s[88:89], s[30:31], s[88:89]
	s_barrier_signal -1
	s_barrier_wait -1
	s_cbranch_vccnz .LBB87_71
; %bb.65:                               ;   in Loop: Header=BB87_4 Depth=1
	v_lshl_add_u64 v[0:1], s[46:47], 2, v[6:7]
	v_lshl_add_u64 v[36:37], s[44:45], 2, v[4:5]
	v_mov_b32_e32 v26, v16
	s_mov_b32 s90, 0
	s_mov_b32 s98, s33
	v_lshl_add_u64 v[0:1], v[32:33], 2, v[0:1]
	s_delay_alu instid0(VALU_DEP_1) | instskip(NEXT) | instid1(VALU_DEP_1)
	v_lshl_add_u64 v[0:1], v[30:31], 2, v[0:1]
	v_lshl_add_u64 v[2:3], v[34:35], 2, v[0:1]
	v_add_nc_u64_e32 v[0:1], s[80:81], v[0:1]
	s_delay_alu instid0(VALU_DEP_2) | instskip(NEXT) | instid1(VALU_DEP_1)
	v_lshl_add_u64 v[2:3], s[22:23], 2, v[2:3]
	v_add_nc_u64_e32 v[2:3], s[78:79], v[2:3]
	s_delay_alu instid0(VALU_DEP_1)
	v_dual_cndmask_b32 v39, v1, v3, s17 :: v_dual_cndmask_b32 v38, v0, v2, s17
	s_branch .LBB87_67
.LBB87_66:                              ;   in Loop: Header=BB87_67 Depth=2
	s_wait_xcnt 0x0
	s_or_b32 exec_lo, exec_lo, s91
	v_dual_fmac_f32 v59, v63, v0 :: v_dual_add_nc_u32 v26, 64, v26
	v_add_nc_u64_e32 v[38:39], s[54:55], v[38:39]
	s_add_co_i32 s98, s98, -1
	s_add_co_i32 s90, s90, s96
	s_delay_alu instid0(VALU_DEP_2)
	v_fmac_f32_e32 v59, v62, v1
	s_cmp_eq_u32 s98, 0
	s_wait_storecnt 0x0
	s_barrier_signal -1
	s_barrier_wait -1
	v_fmac_f32_e32 v59, v61, v2
	s_delay_alu instid0(VALU_DEP_1) | instskip(NEXT) | instid1(VALU_DEP_1)
	v_fmac_f32_e32 v59, v60, v3
	v_fmac_f32_e32 v59, v67, v4
	s_delay_alu instid0(VALU_DEP_1) | instskip(NEXT) | instid1(VALU_DEP_1)
	v_fmac_f32_e32 v59, v66, v5
	;; [unrolled: 3-line block ×6, first 2 shown]
	v_fmac_f32_e32 v59, v73, v14
	s_delay_alu instid0(VALU_DEP_1)
	v_fmac_f32_e32 v59, v72, v15
	s_cbranch_scc1 .LBB87_71
.LBB87_67:                              ;   Parent Loop BB87_4 Depth=1
                                        ; =>  This Inner Loop Header: Depth=2
	s_and_saveexec_b32 s99, s0
	s_cbranch_execz .LBB87_69
; %bb.68:                               ;   in Loop: Header=BB87_67 Depth=2
	s_ashr_i32 s91, s90, 31
	s_delay_alu instid0(SALU_CYCLE_1)
	v_lshl_add_u64 v[0:1], s[90:91], 2, v[36:37]
	global_load_b32 v0, v[0:1], off
	s_wait_loadcnt 0x0
	ds_store_b32 v17, v0
.LBB87_69:                              ;   in Loop: Header=BB87_67 Depth=2
	s_wait_xcnt 0x0
	s_or_b32 exec_lo, exec_lo, s99
	v_add_nc_u64_e32 v[0:1], s[52:53], v[38:39]
	v_add_nc_u64_e32 v[2:3], s[56:57], v[38:39]
	;; [unrolled: 1-line block ×3, first 2 shown]
	s_wait_dscnt 0x0
	s_barrier_signal -1
	s_barrier_wait -1
	s_clause 0x3
	global_load_b32 v63, v[38:39], off
	global_load_b32 v62, v[0:1], off
	;; [unrolled: 1-line block ×4, first 2 shown]
	ds_load_b32 v6, v41
	s_wait_xcnt 0x1
	ds_load_b128 v[0:3], v47
	s_wait_xcnt 0x0
	v_add_nc_u64_e32 v[4:5], s[86:87], v[38:39]
	v_add_nc_u64_e32 v[8:9], s[60:61], v[38:39]
	;; [unrolled: 1-line block ×5, first 2 shown]
	s_wait_loadcnt_dscnt 0x201
	v_dual_mul_f32 v12, v63, v6 :: v_dual_mul_f32 v13, v62, v6
	s_wait_loadcnt 0x0
	v_dual_mul_f32 v14, v61, v6 :: v_dual_mul_f32 v15, v60, v6
	v_add_nc_u64_e32 v[6:7], s[84:85], v[38:39]
	ds_store_2addr_b32 v48, v12, v13 offset1:67
	ds_store_2addr_b32 v48, v14, v15 offset0:134 offset1:201
	s_wait_dscnt 0x0
	s_barrier_signal -1
	s_barrier_wait -1
	ds_load_2addr_b32 v[76:77], v55 offset1:1
	ds_load_2addr_b32 v[78:79], v55 offset0:2 offset1:3
	s_wait_dscnt 0x0
	s_barrier_signal -1
	s_barrier_wait -1
	s_clause 0x3
	global_load_b32 v67, v[4:5], off
	global_load_b32 v66, v[6:7], off
	;; [unrolled: 1-line block ×4, first 2 shown]
	s_wait_xcnt 0x0
	ds_load_b32 v10, v41
	ds_load_b128 v[4:7], v47 offset:64
	v_add_nc_u64_e32 v[8:9], s[82:83], v[38:39]
	v_add_nc_u64_e32 v[12:13], s[64:65], v[38:39]
	;; [unrolled: 1-line block ×3, first 2 shown]
	s_wait_loadcnt_dscnt 0x201
	v_dual_mul_f32 v68, v67, v10 :: v_dual_mul_f32 v69, v66, v10
	s_wait_loadcnt 0x0
	v_dual_mul_f32 v70, v65, v10 :: v_dual_mul_f32 v71, v64, v10
	v_add_nc_u64_e32 v[10:11], s[76:77], v[38:39]
	ds_store_2addr_b32 v48, v68, v69 offset1:67
	ds_store_2addr_b32 v48, v70, v71 offset0:134 offset1:201
	s_wait_dscnt 0x0
	s_barrier_signal -1
	s_barrier_wait -1
	ds_load_2addr_b32 v[80:81], v55 offset1:1
	ds_load_2addr_b32 v[82:83], v55 offset0:2 offset1:3
	s_wait_dscnt 0x0
	s_barrier_signal -1
	s_barrier_wait -1
	s_clause 0x3
	global_load_b32 v71, v[8:9], off
	global_load_b32 v70, v[10:11], off
	;; [unrolled: 1-line block ×4, first 2 shown]
	s_wait_xcnt 0x0
	ds_load_b32 v14, v41
	ds_load_b128 v[8:11], v47 offset:128
	v_add_nc_u64_e32 v[12:13], s[74:75], v[38:39]
	s_wait_loadcnt_dscnt 0x201
	v_dual_mul_f32 v74, v71, v14 :: v_dual_mul_f32 v75, v70, v14
	s_wait_loadcnt 0x0
	v_dual_mul_f32 v86, v69, v14 :: v_dual_mul_f32 v87, v68, v14
	v_add_nc_u64_e32 v[14:15], s[72:73], v[38:39]
	ds_store_2addr_b32 v48, v74, v75 offset1:67
	ds_store_2addr_b32 v48, v86, v87 offset0:134 offset1:201
	s_wait_dscnt 0x0
	s_barrier_signal -1
	s_barrier_wait -1
	ds_load_2addr_b32 v[86:87], v55 offset1:1
	ds_load_2addr_b32 v[88:89], v55 offset0:2 offset1:3
	s_wait_dscnt 0x0
	s_barrier_signal -1
	s_barrier_wait -1
	s_clause 0x3
	global_load_b32 v75, v[12:13], off
	global_load_b32 v74, v[14:15], off
	;; [unrolled: 1-line block ×4, first 2 shown]
	s_wait_xcnt 0x0
	ds_load_b32 v84, v41
	ds_load_b128 v[12:15], v47 offset:192
	v_dual_add_f32 v76, 0, v76 :: v_dual_add_f32 v86, 0, v86
	s_delay_alu instid0(VALU_DEP_1) | instskip(SKIP_1) | instid1(VALU_DEP_1)
	v_dual_add_f32 v80, 0, v80 :: v_dual_add_f32 v76, v76, v77
	s_wait_loadcnt_dscnt 0x301
	v_dual_add_f32 v77, v80, v81 :: v_dual_mul_f32 v85, v75, v84
	s_wait_loadcnt 0x1
	v_dual_mul_f32 v90, v74, v84 :: v_dual_mul_f32 v91, v73, v84
	s_wait_loadcnt 0x0
	v_mul_f32_e32 v84, v72, v84
	ds_store_2addr_b32 v48, v85, v90 offset1:67
	ds_store_2addr_b32 v48, v91, v84 offset0:134 offset1:201
	s_wait_dscnt 0x0
	s_barrier_signal -1
	s_barrier_wait -1
	ds_load_2addr_b32 v[84:85], v55 offset1:1
	ds_load_2addr_b32 v[90:91], v55 offset0:2 offset1:3
	s_wait_dscnt 0x0
	s_barrier_signal -1
	s_barrier_wait -1
	v_dual_add_f32 v84, 0, v84 :: v_dual_add_f32 v80, v86, v87
	s_delay_alu instid0(VALU_DEP_1) | instskip(SKIP_1) | instid1(VALU_DEP_2)
	v_dual_add_f32 v81, v84, v85 :: v_dual_add_f32 v77, v77, v82
	v_add_f32_e32 v76, v76, v78
	v_dual_add_f32 v78, v80, v88 :: v_dual_add_f32 v77, v77, v83
	s_delay_alu instid0(VALU_DEP_2) | instskip(NEXT) | instid1(VALU_DEP_1)
	v_dual_add_f32 v80, v81, v90 :: v_dual_add_f32 v76, v76, v79
	v_dual_add_f32 v78, v78, v89 :: v_dual_add_f32 v79, v80, v91
	ds_store_2addr_b32 v49, v76, v77 offset1:16
	ds_store_2addr_b32 v49, v78, v79 offset0:32 offset1:48
	s_wait_dscnt 0x0
	s_barrier_signal -1
	s_barrier_wait -1
	s_and_saveexec_b32 s91, s18
	s_cbranch_execz .LBB87_66
; %bb.70:                               ;   in Loop: Header=BB87_67 Depth=2
	ds_load_2addr_b32 v[76:77], v50 offset1:1
	ds_load_2addr_b32 v[78:79], v50 offset0:2 offset1:3
	ds_load_2addr_b32 v[80:81], v50 offset0:4 offset1:5
	;; [unrolled: 1-line block ×3, first 2 shown]
	s_wait_dscnt 0x3
	v_add_f32_e32 v76, v76, v77
	s_wait_dscnt 0x2
	s_delay_alu instid0(VALU_DEP_1) | instskip(NEXT) | instid1(VALU_DEP_1)
	v_add_f32_e32 v76, v76, v78
	v_add_f32_e32 v78, v76, v79
	ds_load_2addr_b32 v[76:77], v50 offset0:8 offset1:9
	s_wait_dscnt 0x2
	v_add_f32_e32 v78, v78, v80
	s_delay_alu instid0(VALU_DEP_1) | instskip(SKIP_3) | instid1(VALU_DEP_1)
	v_add_f32_e32 v80, v78, v81
	ds_load_2addr_b32 v[78:79], v50 offset0:10 offset1:11
	s_wait_dscnt 0x2
	v_add_f32_e32 v80, v80, v82
	v_add_f32_e32 v82, v80, v83
	ds_load_2addr_b32 v[80:81], v50 offset0:12 offset1:13
	ds_load_b32 v83, v50 offset:56
	s_wait_dscnt 0x3
	v_add_f32_e32 v76, v82, v76
	s_delay_alu instid0(VALU_DEP_1) | instskip(SKIP_3) | instid1(VALU_DEP_1)
	v_add_f32_e32 v76, v76, v77
	ds_load_b32 v77, v51
	s_wait_dscnt 0x3
	v_add_f32_e32 v76, v76, v78
	v_add_f32_e32 v76, v76, v79
	s_wait_dscnt 0x2
	s_delay_alu instid0(VALU_DEP_1) | instskip(NEXT) | instid1(VALU_DEP_1)
	v_add_f32_e32 v76, v76, v80
	v_add_f32_e32 v76, v76, v81
	s_wait_dscnt 0x1
	s_delay_alu instid0(VALU_DEP_1) | instskip(SKIP_1) | instid1(VALU_DEP_1)
	v_add_f32_e32 v76, v76, v83
	s_wait_dscnt 0x0
	v_add_f32_e32 v76, v76, v77
	global_store_b32 v26, v76, s[88:89] scale_offset
	s_branch .LBB87_66
.LBB87_71:                              ;   in Loop: Header=BB87_4 Depth=1
	ds_store_b32 v52, v59
	s_wait_dscnt 0x0
	s_barrier_signal -1
	s_barrier_wait -1
	s_and_saveexec_b32 s90, s97
	s_cbranch_execz .LBB87_2
; %bb.72:                               ;   in Loop: Header=BB87_4 Depth=1
	ds_load_2addr_b32 v[0:1], v40 offset1:67
	ds_load_2addr_b32 v[2:3], v40 offset0:134 offset1:201
	s_wait_dscnt 0x1
	v_add_f32_e32 v0, v0, v1
	s_wait_dscnt 0x0
	s_delay_alu instid0(VALU_DEP_1) | instskip(NEXT) | instid1(VALU_DEP_1)
	v_add_f32_e32 v0, v0, v2
	v_add_f32_e32 v2, v0, v3
	v_lshl_add_u64 v[0:1], v[20:21], 2, s[88:89]
	global_store_b32 v[0:1], v2, off
	s_branch .LBB87_2
.LBB87_73:                              ;   in Loop: Header=BB87_4 Depth=1
	ds_load_b32 v2, v57
	s_wait_dscnt 0x0
	ds_store_b32 v43, v2
	s_or_b32 exec_lo, exec_lo, s88
	s_and_saveexec_b32 s88, s7
	s_cbranch_execz .LBB87_24
.LBB87_74:                              ;   in Loop: Header=BB87_4 Depth=1
	ds_load_b32 v2, v58
	s_wait_dscnt 0x0
	ds_store_b32 v43, v2 offset:4
	s_or_b32 exec_lo, exec_lo, s88
	s_and_saveexec_b32 s88, s8
	s_cbranch_execz .LBB87_25
.LBB87_75:                              ;   in Loop: Header=BB87_4 Depth=1
	ds_load_b32 v2, v58 offset:132
	s_wait_dscnt 0x0
	ds_store_b32 v43, v2 offset:8
	s_or_b32 exec_lo, exec_lo, s88
	s_and_saveexec_b32 s88, s9
	s_cbranch_execnz .LBB87_26
	s_branch .LBB87_27
.LBB87_76:                              ;   in Loop: Header=BB87_4 Depth=1
	ds_load_b32 v2, v57
	s_wait_dscnt 0x0
	ds_store_b32 v43, v2
	s_or_b32 exec_lo, exec_lo, s88
	s_and_saveexec_b32 s88, s7
	s_cbranch_execz .LBB87_43
.LBB87_77:                              ;   in Loop: Header=BB87_4 Depth=1
	ds_load_b32 v2, v58
	s_wait_dscnt 0x0
	ds_store_b32 v43, v2 offset:4
	s_or_b32 exec_lo, exec_lo, s88
	s_and_saveexec_b32 s88, s8
	s_cbranch_execz .LBB87_44
.LBB87_78:                              ;   in Loop: Header=BB87_4 Depth=1
	ds_load_b32 v2, v58 offset:132
	s_wait_dscnt 0x0
	ds_store_b32 v43, v2 offset:8
	s_or_b32 exec_lo, exec_lo, s88
	s_and_saveexec_b32 s88, s9
	s_cbranch_execnz .LBB87_45
	s_branch .LBB87_46
.LBB87_79:
	s_sendmsg sendmsg(MSG_DEALLOC_VGPRS)
	s_endpgm
	.section	.rodata,"a",@progbits
	.p2align	6, 0x0
	.amdhsa_kernel _ZL26rocblas_hemvn_kernel_lowerILb0ELi64ELi4ELi33ELi32ELi16EifPKfPfEviT6_lT7_lT5_lS4_lS5_lS3_lT8_i
		.amdhsa_group_segment_fixed_size 4800
		.amdhsa_private_segment_fixed_size 0
		.amdhsa_kernarg_size 368
		.amdhsa_user_sgpr_count 2
		.amdhsa_user_sgpr_dispatch_ptr 0
		.amdhsa_user_sgpr_queue_ptr 0
		.amdhsa_user_sgpr_kernarg_segment_ptr 1
		.amdhsa_user_sgpr_dispatch_id 0
		.amdhsa_user_sgpr_kernarg_preload_length 0
		.amdhsa_user_sgpr_kernarg_preload_offset 0
		.amdhsa_user_sgpr_private_segment_size 0
		.amdhsa_wavefront_size32 1
		.amdhsa_uses_dynamic_stack 0
		.amdhsa_enable_private_segment 0
		.amdhsa_system_sgpr_workgroup_id_x 1
		.amdhsa_system_sgpr_workgroup_id_y 0
		.amdhsa_system_sgpr_workgroup_id_z 1
		.amdhsa_system_sgpr_workgroup_info 0
		.amdhsa_system_vgpr_workitem_id 1
		.amdhsa_next_free_vgpr 92
		.amdhsa_next_free_sgpr 100
		.amdhsa_named_barrier_count 0
		.amdhsa_reserve_vcc 1
		.amdhsa_float_round_mode_32 0
		.amdhsa_float_round_mode_16_64 0
		.amdhsa_float_denorm_mode_32 3
		.amdhsa_float_denorm_mode_16_64 3
		.amdhsa_fp16_overflow 0
		.amdhsa_memory_ordered 1
		.amdhsa_forward_progress 1
		.amdhsa_inst_pref_size 43
		.amdhsa_round_robin_scheduling 0
		.amdhsa_exception_fp_ieee_invalid_op 0
		.amdhsa_exception_fp_denorm_src 0
		.amdhsa_exception_fp_ieee_div_zero 0
		.amdhsa_exception_fp_ieee_overflow 0
		.amdhsa_exception_fp_ieee_underflow 0
		.amdhsa_exception_fp_ieee_inexact 0
		.amdhsa_exception_int_div_zero 0
	.end_amdhsa_kernel
	.section	.text._ZL26rocblas_hemvn_kernel_lowerILb0ELi64ELi4ELi33ELi32ELi16EifPKfPfEviT6_lT7_lT5_lS4_lS5_lS3_lT8_i,"axG",@progbits,_ZL26rocblas_hemvn_kernel_lowerILb0ELi64ELi4ELi33ELi32ELi16EifPKfPfEviT6_lT7_lT5_lS4_lS5_lS3_lT8_i,comdat
.Lfunc_end87:
	.size	_ZL26rocblas_hemvn_kernel_lowerILb0ELi64ELi4ELi33ELi32ELi16EifPKfPfEviT6_lT7_lT5_lS4_lS5_lS3_lT8_i, .Lfunc_end87-_ZL26rocblas_hemvn_kernel_lowerILb0ELi64ELi4ELi33ELi32ELi16EifPKfPfEviT6_lT7_lT5_lS4_lS5_lS3_lT8_i
                                        ; -- End function
	.set _ZL26rocblas_hemvn_kernel_lowerILb0ELi64ELi4ELi33ELi32ELi16EifPKfPfEviT6_lT7_lT5_lS4_lS5_lS3_lT8_i.num_vgpr, 92
	.set _ZL26rocblas_hemvn_kernel_lowerILb0ELi64ELi4ELi33ELi32ELi16EifPKfPfEviT6_lT7_lT5_lS4_lS5_lS3_lT8_i.num_agpr, 0
	.set _ZL26rocblas_hemvn_kernel_lowerILb0ELi64ELi4ELi33ELi32ELi16EifPKfPfEviT6_lT7_lT5_lS4_lS5_lS3_lT8_i.numbered_sgpr, 100
	.set _ZL26rocblas_hemvn_kernel_lowerILb0ELi64ELi4ELi33ELi32ELi16EifPKfPfEviT6_lT7_lT5_lS4_lS5_lS3_lT8_i.num_named_barrier, 0
	.set _ZL26rocblas_hemvn_kernel_lowerILb0ELi64ELi4ELi33ELi32ELi16EifPKfPfEviT6_lT7_lT5_lS4_lS5_lS3_lT8_i.private_seg_size, 0
	.set _ZL26rocblas_hemvn_kernel_lowerILb0ELi64ELi4ELi33ELi32ELi16EifPKfPfEviT6_lT7_lT5_lS4_lS5_lS3_lT8_i.uses_vcc, 1
	.set _ZL26rocblas_hemvn_kernel_lowerILb0ELi64ELi4ELi33ELi32ELi16EifPKfPfEviT6_lT7_lT5_lS4_lS5_lS3_lT8_i.uses_flat_scratch, 0
	.set _ZL26rocblas_hemvn_kernel_lowerILb0ELi64ELi4ELi33ELi32ELi16EifPKfPfEviT6_lT7_lT5_lS4_lS5_lS3_lT8_i.has_dyn_sized_stack, 0
	.set _ZL26rocblas_hemvn_kernel_lowerILb0ELi64ELi4ELi33ELi32ELi16EifPKfPfEviT6_lT7_lT5_lS4_lS5_lS3_lT8_i.has_recursion, 0
	.set _ZL26rocblas_hemvn_kernel_lowerILb0ELi64ELi4ELi33ELi32ELi16EifPKfPfEviT6_lT7_lT5_lS4_lS5_lS3_lT8_i.has_indirect_call, 0
	.section	.AMDGPU.csdata,"",@progbits
; Kernel info:
; codeLenInByte = 5464
; TotalNumSgprs: 102
; NumVgprs: 92
; ScratchSize: 0
; MemoryBound: 0
; FloatMode: 240
; IeeeMode: 1
; LDSByteSize: 4800 bytes/workgroup (compile time only)
; SGPRBlocks: 0
; VGPRBlocks: 5
; NumSGPRsForWavesPerEU: 102
; NumVGPRsForWavesPerEU: 92
; NamedBarCnt: 0
; Occupancy: 10
; WaveLimiterHint : 0
; COMPUTE_PGM_RSRC2:SCRATCH_EN: 0
; COMPUTE_PGM_RSRC2:USER_SGPR: 2
; COMPUTE_PGM_RSRC2:TRAP_HANDLER: 0
; COMPUTE_PGM_RSRC2:TGID_X_EN: 1
; COMPUTE_PGM_RSRC2:TGID_Y_EN: 0
; COMPUTE_PGM_RSRC2:TGID_Z_EN: 1
; COMPUTE_PGM_RSRC2:TIDIG_COMP_CNT: 1
	.section	.text._ZL36rocblas_hemvn_kernel_lower_block_sumILi64EifPffEviT1_lS1_lT2_lT0_lPT3_i,"axG",@progbits,_ZL36rocblas_hemvn_kernel_lower_block_sumILi64EifPffEviT1_lS1_lT2_lT0_lPT3_i,comdat
	.globl	_ZL36rocblas_hemvn_kernel_lower_block_sumILi64EifPffEviT1_lS1_lT2_lT0_lPT3_i ; -- Begin function _ZL36rocblas_hemvn_kernel_lower_block_sumILi64EifPffEviT1_lS1_lT2_lT0_lPT3_i
	.p2align	8
	.type	_ZL36rocblas_hemvn_kernel_lower_block_sumILi64EifPffEviT1_lS1_lT2_lT0_lPT3_i,@function
_ZL36rocblas_hemvn_kernel_lower_block_sumILi64EifPffEviT1_lS1_lT2_lT0_lPT3_i: ; @_ZL36rocblas_hemvn_kernel_lower_block_sumILi64EifPffEviT1_lS1_lT2_lT0_lPT3_i
; %bb.0:
	s_load_b32 s20, s[0:1], 0x48
	s_bfe_u32 s2, ttmp6, 0x40014
	s_lshr_b32 s3, ttmp7, 16
	s_add_co_i32 s2, s2, 1
	s_bfe_u32 s5, ttmp6, 0x40008
	s_mul_i32 s2, s3, s2
	s_getreg_b32 s4, hwreg(HW_REG_IB_STS2, 6, 4)
	s_add_co_i32 s5, s5, s2
	s_cmp_eq_u32 s4, 0
	s_cselect_b32 s2, s3, s5
	s_mov_b32 s3, 0
	s_wait_kmcnt 0x0
	s_cmp_ge_u32 s2, s20
	s_cbranch_scc1 .LBB88_25
; %bb.1:
	s_clause 0x3
	s_load_b128 s[16:19], s[0:1], 0x20
	s_load_b64 s[8:9], s[0:1], 0x0
	s_load_b32 s11, s[0:1], 0x10
	s_load_b32 s10, s[0:1], 0x30
	s_wait_kmcnt 0x0
	s_lshl_b64 s[14:15], s[18:19], 2
	s_cmp_eq_f32 s9, 0
	s_add_nc_u64 s[14:15], s[16:17], s[14:15]
	s_mov_b32 s16, s8
	s_cselect_b32 s21, -1, 0
	s_cmp_neq_f32 s9, 0
	s_cselect_b32 s5, -1, 0
	s_cmp_neq_f32 s11, 1.0
	s_cselect_b32 s6, -1, 0
	s_bfe_u32 s7, ttmp6, 0x4000c
	s_and_b32 s12, ttmp6, 15
	s_add_co_i32 s7, s7, 1
	s_or_b32 s22, s5, s6
	s_mul_i32 s7, ttmp9, s7
	s_delay_alu instid0(SALU_CYCLE_1)
	s_add_co_i32 s12, s12, s7
	s_cmp_eq_u32 s4, 0
	s_load_b128 s[4:7], s[0:1], 0x38
	s_cselect_b32 s23, ttmp9, s12
	s_cmp_neq_f32 s11, 0
	v_lshl_or_b32 v1, s23, 6, v0
	s_add_nc_u64 s[12:13], s[0:1], 0x50
	s_wait_xcnt 0x0
	s_cselect_b32 s1, -1, 0
	s_cmp_eq_f32 s11, 0
	v_mad_u32 v2, s8, s23, v1
	v_mul_lo_u32 v0, s10, v1
	v_cmp_gt_i32_e64 s0, s8, v1
	s_cselect_b32 s24, -1, 0
	s_ashr_i32 s17, s8, 31
	s_mov_b32 s10, s9
	v_dual_ashrrev_i32 v3, 31, v2 :: v_dual_ashrrev_i32 v1, 31, v0
	s_wait_kmcnt 0x0
	s_delay_alu instid0(VALU_DEP_1)
	v_lshl_add_u64 v[2:3], v[2:3], 2, s[6:7]
	s_lshl_b64 s[6:7], s[16:17], 2
	s_branch .LBB88_4
.LBB88_2:                               ;   in Loop: Header=BB88_4 Depth=1
	s_wait_xcnt 0x0
	s_or_b32 exec_lo, exec_lo, s18
.LBB88_3:                               ;   in Loop: Header=BB88_4 Depth=1
	s_add_co_i32 s2, s2, 0x10000
	s_delay_alu instid0(SALU_CYCLE_1)
	s_cmp_lt_u32 s2, s20
	s_cbranch_scc0 .LBB88_25
.LBB88_4:                               ; =>This Loop Header: Depth=1
                                        ;     Child Loop BB88_16 Depth 2
	s_and_not1_b32 vcc_lo, exec_lo, s22
	s_cbranch_vccnz .LBB88_3
; %bb.5:                                ;   in Loop: Header=BB88_4 Depth=1
	s_mul_u64 s[16:17], s[4:5], s[2:3]
	s_and_not1_b32 vcc_lo, exec_lo, s21
	s_lshl_b64 s[16:17], s[16:17], 2
	s_delay_alu instid0(SALU_CYCLE_1)
	s_add_nc_u64 s[16:17], s[14:15], s[16:17]
	s_cbranch_vccnz .LBB88_9
; %bb.6:                                ;   in Loop: Header=BB88_4 Depth=1
	s_mov_b32 s18, 0
	s_mov_b32 s8, 0
                                        ; implicit-def: $vgpr5
	s_and_saveexec_b32 s19, s0
	s_cbranch_execz .LBB88_10
; %bb.7:                                ;   in Loop: Header=BB88_4 Depth=1
	s_and_not1_b32 vcc_lo, exec_lo, s1
	s_cbranch_vccnz .LBB88_11
; %bb.8:                                ;   in Loop: Header=BB88_4 Depth=1
	v_lshl_add_u64 v[4:5], v[0:1], 2, s[16:17]
	global_load_b32 v4, v[4:5], off
	s_wait_loadcnt 0x0
	s_wait_xcnt 0x0
	v_mul_f32_e32 v5, s11, v4
	s_branch .LBB88_12
.LBB88_9:                               ;   in Loop: Header=BB88_4 Depth=1
	s_mov_b32 s8, 0
                                        ; implicit-def: $vgpr5
	s_cbranch_execnz .LBB88_13
	s_branch .LBB88_23
.LBB88_10:                              ;   in Loop: Header=BB88_4 Depth=1
	s_or_b32 exec_lo, exec_lo, s19
	s_delay_alu instid0(SALU_CYCLE_1)
	s_and_b32 vcc_lo, exec_lo, s18
	s_cbranch_vccnz .LBB88_13
	s_branch .LBB88_23
.LBB88_11:                              ;   in Loop: Header=BB88_4 Depth=1
	v_mov_b32_e32 v5, 0
.LBB88_12:                              ;   in Loop: Header=BB88_4 Depth=1
	s_mov_b32 s8, exec_lo
	s_or_b32 exec_lo, exec_lo, s19
	s_delay_alu instid0(SALU_CYCLE_1)
	s_and_b32 vcc_lo, exec_lo, s18
	s_cbranch_vccz .LBB88_23
.LBB88_13:                              ;   in Loop: Header=BB88_4 Depth=1
                                        ; implicit-def: $vgpr5
	s_and_saveexec_b32 s25, s0
	s_cbranch_execz .LBB88_22
; %bb.14:                               ;   in Loop: Header=BB88_4 Depth=1
	s_load_b32 s18, s[12:13], 0x0
	v_mov_b32_e32 v4, 0
	s_wait_kmcnt 0x0
	s_cmp_ge_i32 s23, s18
	s_cbranch_scc1 .LBB88_17
; %bb.15:                               ;   in Loop: Header=BB88_4 Depth=1
	s_mov_b32 s19, s3
	v_mov_b32_e32 v4, 0
	s_mul_u64 s[26:27], s[6:7], s[18:19]
	s_mov_b32 s19, s23
	v_mad_nc_u64_u32 v[6:7], s26, s2, v[2:3]
	s_delay_alu instid0(VALU_DEP_1)
	v_mad_u32 v7, s27, s2, v7
.LBB88_16:                              ;   Parent Loop BB88_4 Depth=1
                                        ; =>  This Inner Loop Header: Depth=2
	global_load_b32 v5, v[6:7], off
	s_wait_xcnt 0x0
	v_add_nc_u64_e32 v[6:7], s[6:7], v[6:7]
	s_add_co_i32 s19, s19, 1
	s_delay_alu instid0(SALU_CYCLE_1)
	s_cmp_ge_i32 s19, s18
	s_wait_loadcnt 0x0
	v_add_f32_e32 v4, v4, v5
	s_cbranch_scc0 .LBB88_16
.LBB88_17:                              ;   in Loop: Header=BB88_4 Depth=1
	s_and_b32 vcc_lo, exec_lo, s24
	s_mov_b32 s18, -1
                                        ; implicit-def: $vgpr5
	s_cbranch_vccz .LBB88_19
; %bb.18:                               ;   in Loop: Header=BB88_4 Depth=1
	v_mul_f32_e32 v5, s9, v4
	s_mov_b32 s18, 0
.LBB88_19:                              ;   in Loop: Header=BB88_4 Depth=1
	s_delay_alu instid0(SALU_CYCLE_1)
	s_and_not1_b32 vcc_lo, exec_lo, s18
	s_cbranch_vccnz .LBB88_21
; %bb.20:                               ;   in Loop: Header=BB88_4 Depth=1
	v_lshl_add_u64 v[6:7], v[0:1], 2, s[16:17]
	global_load_b32 v5, v[6:7], off
	s_wait_xcnt 0x0
	v_mov_b64_e32 v[6:7], s[10:11]
	s_wait_loadcnt 0x0
	s_delay_alu instid0(VALU_DEP_1) | instskip(NEXT) | instid1(VALU_DEP_1)
	v_pk_mul_f32 v[4:5], v[6:7], v[4:5]
	v_add_f32_e32 v5, v4, v5
.LBB88_21:                              ;   in Loop: Header=BB88_4 Depth=1
	s_or_b32 s8, s8, exec_lo
.LBB88_22:                              ;   in Loop: Header=BB88_4 Depth=1
	s_or_b32 exec_lo, exec_lo, s25
.LBB88_23:                              ;   in Loop: Header=BB88_4 Depth=1
	s_and_saveexec_b32 s18, s8
	s_cbranch_execz .LBB88_2
; %bb.24:                               ;   in Loop: Header=BB88_4 Depth=1
	v_lshl_add_u64 v[6:7], v[0:1], 2, s[16:17]
	global_store_b32 v[6:7], v5, off
	s_branch .LBB88_2
.LBB88_25:
	s_endpgm
	.section	.rodata,"a",@progbits
	.p2align	6, 0x0
	.amdhsa_kernel _ZL36rocblas_hemvn_kernel_lower_block_sumILi64EifPffEviT1_lS1_lT2_lT0_lPT3_i
		.amdhsa_group_segment_fixed_size 0
		.amdhsa_private_segment_fixed_size 0
		.amdhsa_kernarg_size 336
		.amdhsa_user_sgpr_count 2
		.amdhsa_user_sgpr_dispatch_ptr 0
		.amdhsa_user_sgpr_queue_ptr 0
		.amdhsa_user_sgpr_kernarg_segment_ptr 1
		.amdhsa_user_sgpr_dispatch_id 0
		.amdhsa_user_sgpr_kernarg_preload_length 0
		.amdhsa_user_sgpr_kernarg_preload_offset 0
		.amdhsa_user_sgpr_private_segment_size 0
		.amdhsa_wavefront_size32 1
		.amdhsa_uses_dynamic_stack 0
		.amdhsa_enable_private_segment 0
		.amdhsa_system_sgpr_workgroup_id_x 1
		.amdhsa_system_sgpr_workgroup_id_y 0
		.amdhsa_system_sgpr_workgroup_id_z 1
		.amdhsa_system_sgpr_workgroup_info 0
		.amdhsa_system_vgpr_workitem_id 0
		.amdhsa_next_free_vgpr 8
		.amdhsa_next_free_sgpr 28
		.amdhsa_named_barrier_count 0
		.amdhsa_reserve_vcc 1
		.amdhsa_float_round_mode_32 0
		.amdhsa_float_round_mode_16_64 0
		.amdhsa_float_denorm_mode_32 3
		.amdhsa_float_denorm_mode_16_64 3
		.amdhsa_fp16_overflow 0
		.amdhsa_memory_ordered 1
		.amdhsa_forward_progress 1
		.amdhsa_inst_pref_size 6
		.amdhsa_round_robin_scheduling 0
		.amdhsa_exception_fp_ieee_invalid_op 0
		.amdhsa_exception_fp_denorm_src 0
		.amdhsa_exception_fp_ieee_div_zero 0
		.amdhsa_exception_fp_ieee_overflow 0
		.amdhsa_exception_fp_ieee_underflow 0
		.amdhsa_exception_fp_ieee_inexact 0
		.amdhsa_exception_int_div_zero 0
	.end_amdhsa_kernel
	.section	.text._ZL36rocblas_hemvn_kernel_lower_block_sumILi64EifPffEviT1_lS1_lT2_lT0_lPT3_i,"axG",@progbits,_ZL36rocblas_hemvn_kernel_lower_block_sumILi64EifPffEviT1_lS1_lT2_lT0_lPT3_i,comdat
.Lfunc_end88:
	.size	_ZL36rocblas_hemvn_kernel_lower_block_sumILi64EifPffEviT1_lS1_lT2_lT0_lPT3_i, .Lfunc_end88-_ZL36rocblas_hemvn_kernel_lower_block_sumILi64EifPffEviT1_lS1_lT2_lT0_lPT3_i
                                        ; -- End function
	.set _ZL36rocblas_hemvn_kernel_lower_block_sumILi64EifPffEviT1_lS1_lT2_lT0_lPT3_i.num_vgpr, 8
	.set _ZL36rocblas_hemvn_kernel_lower_block_sumILi64EifPffEviT1_lS1_lT2_lT0_lPT3_i.num_agpr, 0
	.set _ZL36rocblas_hemvn_kernel_lower_block_sumILi64EifPffEviT1_lS1_lT2_lT0_lPT3_i.numbered_sgpr, 28
	.set _ZL36rocblas_hemvn_kernel_lower_block_sumILi64EifPffEviT1_lS1_lT2_lT0_lPT3_i.num_named_barrier, 0
	.set _ZL36rocblas_hemvn_kernel_lower_block_sumILi64EifPffEviT1_lS1_lT2_lT0_lPT3_i.private_seg_size, 0
	.set _ZL36rocblas_hemvn_kernel_lower_block_sumILi64EifPffEviT1_lS1_lT2_lT0_lPT3_i.uses_vcc, 1
	.set _ZL36rocblas_hemvn_kernel_lower_block_sumILi64EifPffEviT1_lS1_lT2_lT0_lPT3_i.uses_flat_scratch, 0
	.set _ZL36rocblas_hemvn_kernel_lower_block_sumILi64EifPffEviT1_lS1_lT2_lT0_lPT3_i.has_dyn_sized_stack, 0
	.set _ZL36rocblas_hemvn_kernel_lower_block_sumILi64EifPffEviT1_lS1_lT2_lT0_lPT3_i.has_recursion, 0
	.set _ZL36rocblas_hemvn_kernel_lower_block_sumILi64EifPffEviT1_lS1_lT2_lT0_lPT3_i.has_indirect_call, 0
	.section	.AMDGPU.csdata,"",@progbits
; Kernel info:
; codeLenInByte = 708
; TotalNumSgprs: 30
; NumVgprs: 8
; ScratchSize: 0
; MemoryBound: 0
; FloatMode: 240
; IeeeMode: 1
; LDSByteSize: 0 bytes/workgroup (compile time only)
; SGPRBlocks: 0
; VGPRBlocks: 0
; NumSGPRsForWavesPerEU: 30
; NumVGPRsForWavesPerEU: 8
; NamedBarCnt: 0
; Occupancy: 16
; WaveLimiterHint : 0
; COMPUTE_PGM_RSRC2:SCRATCH_EN: 0
; COMPUTE_PGM_RSRC2:USER_SGPR: 2
; COMPUTE_PGM_RSRC2:TRAP_HANDLER: 0
; COMPUTE_PGM_RSRC2:TGID_X_EN: 1
; COMPUTE_PGM_RSRC2:TGID_Y_EN: 0
; COMPUTE_PGM_RSRC2:TGID_Z_EN: 1
; COMPUTE_PGM_RSRC2:TIDIG_COMP_CNT: 0
	.section	.text._ZL50rocblas_symv_kernel_upper_double_buffered_diagonalILi32ELi4E24rocblas_internal_val_ptrIdEPKdPdEvbiT1_lT2_lllS6_lllS5_lT3_llli,"axG",@progbits,_ZL50rocblas_symv_kernel_upper_double_buffered_diagonalILi32ELi4E24rocblas_internal_val_ptrIdEPKdPdEvbiT1_lT2_lllS6_lllS5_lT3_llli,comdat
	.globl	_ZL50rocblas_symv_kernel_upper_double_buffered_diagonalILi32ELi4E24rocblas_internal_val_ptrIdEPKdPdEvbiT1_lT2_lllS6_lllS5_lT3_llli ; -- Begin function _ZL50rocblas_symv_kernel_upper_double_buffered_diagonalILi32ELi4E24rocblas_internal_val_ptrIdEPKdPdEvbiT1_lT2_lllS6_lllS5_lT3_llli
	.p2align	8
	.type	_ZL50rocblas_symv_kernel_upper_double_buffered_diagonalILi32ELi4E24rocblas_internal_val_ptrIdEPKdPdEvbiT1_lT2_lllS6_lllS5_lT3_llli,@function
_ZL50rocblas_symv_kernel_upper_double_buffered_diagonalILi32ELi4E24rocblas_internal_val_ptrIdEPKdPdEvbiT1_lT2_lllS6_lllS5_lT3_llli: ; @_ZL50rocblas_symv_kernel_upper_double_buffered_diagonalILi32ELi4E24rocblas_internal_val_ptrIdEPKdPdEvbiT1_lT2_lllS6_lllS5_lT3_llli
; %bb.0:
	s_load_b64 s[4:5], s[0:1], 0x4
	s_clause 0x1
	s_load_b512 s[8:23], s[2:3], 0x8
	s_load_b256 s[24:31], s[2:3], 0x48
	v_bfe_u32 v6, v0, 10, 10
	s_load_b32 s33, s[2:3], 0x88
	v_and_b32_e32 v8, 0x3ff, v0
	v_bfe_u32 v0, v0, 20, 10
	s_wait_xcnt 0x0
	s_bfe_u32 s1, ttmp6, 0x40014
	s_lshr_b32 s0, ttmp7, 16
	s_add_co_i32 s1, s1, 1
	s_wait_kmcnt 0x0
	v_mul_u32_u24_e32 v1, s5, v6
	s_lshr_b32 s4, s4, 16
	v_dual_mov_b32 v2, s8 :: v_dual_mov_b32 v3, s9
	s_mul_i32 s4, s4, s5
	s_bfe_u32 s5, ttmp6, 0x40008
	v_mad_u32_u24 v1, s4, v8, v1
	s_mul_i32 s4, s0, s1
	s_getreg_b32 s1, hwreg(HW_REG_IB_STS2, 6, 4)
	s_add_co_i32 s5, s5, s4
	s_cmp_eq_u32 s1, 0
	v_add_lshl_u32 v0, v1, v0, 3
	v_dual_mov_b32 v4, s28 :: v_dual_mov_b32 v5, s29
	s_cselect_b32 s28, s0, s5
	s_mov_b32 s29, 0
	s_delay_alu instid0(VALU_DEP_2)
	v_add_nc_u32_e32 v1, 0x100, v0
	s_cmp_ge_u32 s28, s33
	ds_store_2addr_stride64_b64 v1, v[4:5], v[2:3] offset0:20 offset1:22
	s_cbranch_scc1 .LBB89_42
; %bb.1:
	s_load_b32 s36, s[2:3], 0x0
	v_dual_mov_b32 v9, 0 :: v_dual_add_nc_u32 v14, 0x2d00, v0
	s_clause 0x2
	s_load_b64 s[8:9], s[2:3], 0x68
	s_load_b128 s[4:7], s[2:3], 0x70
	s_load_b64 s[34:35], s[2:3], 0x80
	v_add_nc_u32_e32 v15, 0x2900, v0
	v_dual_mov_b32 v7, v9 :: v_dual_lshlrev_b32 v10, 3, v8
	v_mul_u64_e32 v[4:5], s[24:25], v[8:9]
	s_wait_xcnt 0x0
	s_add_nc_u64 s[2:3], s[16:17], 1
	v_sub_co_u32 v17, s37, v8, v6
	v_mul_u64_e32 v[2:3], s[16:17], v[6:7]
	v_lshl_add_u32 v20, v6, 5, v8
	v_cmp_eq_u32_e64 s0, 0, v6
	v_dual_lshlrev_b32 v7, 8, v6 :: v_dual_mov_b32 v11, v9
	v_add_nc_u32_e32 v16, 0x2800, v10
	s_delay_alu instid0(VALU_DEP_4)
	v_lshl_add_u32 v20, v20, 3, 0x2000
	v_or_b32_e32 v21, 0x2000, v10
	v_lshlrev_b32_e32 v6, 3, v6
	s_wait_kmcnt 0x0
	s_bitcmp1_b32 s36, 0
	v_add_nc_u32_e32 v25, 0x1c00, v7
	s_cselect_b32 s36, -1, 0
	s_bfe_u32 s38, ttmp6, 0x4000c
	s_and_b32 s39, ttmp6, 15
	s_add_co_i32 s38, s38, 1
	v_mul_u64_e32 v[0:1], s[6:7], v[8:9]
	s_mul_i32 s38, ttmp9, s38
	s_lshl_b64 s[14:15], s[14:15], 3
	s_lshl_b64 s[22:23], s[22:23], 3
	;; [unrolled: 1-line block ×3, first 2 shown]
	s_xor_b32 s36, s36, -1
	s_add_co_i32 s39, s39, s38
	s_cmp_eq_u32 s1, 0
	s_add_nc_u64 s[12:13], s[12:13], s[14:15]
	s_cselect_b32 s1, ttmp9, s39
	s_add_nc_u64 s[4:5], s[8:9], s[4:5]
	s_lshl_b32 s14, s1, 5
	v_sub_nc_u32_e32 v9, 0, v17
	s_ashr_i32 s15, s14, 31
	v_cmp_gt_u32_e64 s1, 16, v8
	s_mul_u64 s[2:3], s[2:3], s[14:15]
	s_mul_u64 s[8:9], s[24:25], s[14:15]
	s_lshl_b64 s[2:3], s[2:3], 3
	v_mul_u32_u24_e32 v8, 0xf8, v8
	s_add_nc_u64 s[2:3], s[12:13], s[2:3]
	s_add_nc_u64 s[20:21], s[20:21], s[22:23]
	v_lshl_add_u64 v[12:13], v[2:3], 3, s[2:3]
	s_mul_u64 s[6:7], s[6:7], s[14:15]
	s_lshl_b64 s[8:9], s[8:9], 3
	s_lshl_b64 s[2:3], s[6:7], 3
	s_add_nc_u64 s[6:7], s[20:21], s[8:9]
	v_dual_add_nc_u32 v18, v10, v7 :: v_dual_max_i32 v9, v17, v9
	v_lshl_add_u64 v[2:3], v[4:5], 3, s[6:7]
	v_add_nc_u64_e32 v[4:5], v[12:13], v[10:11]
	v_add_nc_u32_e32 v11, 0x1000, v7
	v_add_nc_u32_e32 v12, 0x1400, v7
	;; [unrolled: 1-line block ×3, first 2 shown]
	v_add3_u32 v17, v10, v8, v6
	v_add_nc_u32_e32 v8, 0x400, v7
	v_add_nc_u32_e32 v27, 0x800, v7
	;; [unrolled: 1-line block ×3, first 2 shown]
	s_add_nc_u64 s[12:13], s[4:5], s[2:3]
	v_cmp_lt_u32_e64 s2, 16, v9
	v_cmp_lt_u32_e64 s3, 20, v9
	;; [unrolled: 1-line block ×7, first 2 shown]
	v_add_nc_u32_e32 v19, 0x2800, v6
	v_dual_add_nc_u32 v22, v10, v11 :: v_dual_add_nc_u32 v23, v10, v12
	v_dual_add_nc_u32 v24, v10, v13 :: v_dual_add_nc_u32 v26, v10, v8
	;; [unrolled: 1-line block ×3, first 2 shown]
	v_add_nc_u32_e32 v28, v10, v7
	s_lshl_b64 s[14:15], s[16:17], 2
	s_lshl_b64 s[20:21], s[16:17], 7
	s_xor_b32 s24, s37, -1
	s_lshl_b64 s[16:17], s[16:17], 5
	s_branch .LBB89_4
.LBB89_2:                               ;   in Loop: Header=BB89_4 Depth=1
	s_wait_xcnt 0x0
	s_or_b32 exec_lo, exec_lo, s25
.LBB89_3:                               ;   in Loop: Header=BB89_4 Depth=1
	s_delay_alu instid0(SALU_CYCLE_1) | instskip(SKIP_1) | instid1(SALU_CYCLE_1)
	s_or_b32 exec_lo, exec_lo, s9
	s_add_co_i32 s28, s28, 0x10000
	s_cmp_lt_u32 s28, s33
	s_cbranch_scc0 .LBB89_42
.LBB89_4:                               ; =>This Inner Loop Header: Depth=1
	s_and_b32 vcc_lo, exec_lo, s36
	s_mov_b32 s9, -1
                                        ; implicit-def: $vgpr6_vgpr7
	s_cbranch_vccnz .LBB89_32
; %bb.5:                                ;   in Loop: Header=BB89_4 Depth=1
	s_and_not1_b32 vcc_lo, exec_lo, s9
	s_cbranch_vccz .LBB89_33
.LBB89_6:                               ;   in Loop: Header=BB89_4 Depth=1
	s_and_b32 vcc_lo, exec_lo, s36
	s_mov_b32 s9, -1
                                        ; implicit-def: $vgpr8_vgpr9
	s_cbranch_vccnz .LBB89_34
.LBB89_7:                               ;   in Loop: Header=BB89_4 Depth=1
	s_and_not1_b32 vcc_lo, exec_lo, s9
	s_cbranch_vccnz .LBB89_9
.LBB89_8:                               ;   in Loop: Header=BB89_4 Depth=1
	s_wait_loadcnt_dscnt 0x0
	s_wait_xcnt 0x0
	ds_load_b64 v[8:9], v15
.LBB89_9:                               ;   in Loop: Header=BB89_4 Depth=1
	s_wait_loadcnt_dscnt 0x0
	v_cmp_neq_f64_e32 vcc_lo, 0, v[6:7]
	v_cmp_neq_f64_e64 s9, 1.0, v[8:9]
	s_or_b32 s22, vcc_lo, s9
	s_wait_xcnt 0x0
	s_and_saveexec_b32 s9, s22
	s_cbranch_execz .LBB89_3
; %bb.10:                               ;   in Loop: Header=BB89_4 Depth=1
	s_mul_u64 s[22:23], s[34:35], s[28:29]
	s_mov_b32 s25, exec_lo
	s_lshl_b64 s[22:23], s[22:23], 3
	s_delay_alu instid0(SALU_CYCLE_1)
	s_add_nc_u64 s[22:23], s[12:13], s[22:23]
	v_cmpx_eq_f64_e32 0, v[6:7]
	s_xor_b32 s25, exec_lo, s25
	s_cbranch_execz .LBB89_14
; %bb.11:                               ;   in Loop: Header=BB89_4 Depth=1
	s_and_saveexec_b32 s37, s0
	s_cbranch_execz .LBB89_13
; %bb.12:                               ;   in Loop: Header=BB89_4 Depth=1
	v_lshl_add_u64 v[6:7], v[0:1], 3, s[22:23]
	global_load_b64 v[10:11], v[6:7], off
	s_wait_loadcnt 0x0
	v_mul_f64_e32 v[8:9], v[8:9], v[10:11]
	global_store_b64 v[6:7], v[8:9], off
.LBB89_13:                              ;   in Loop: Header=BB89_4 Depth=1
	s_wait_xcnt 0x0
	s_or_b32 exec_lo, exec_lo, s37
                                        ; implicit-def: $vgpr6_vgpr7
                                        ; implicit-def: $vgpr8_vgpr9
.LBB89_14:                              ;   in Loop: Header=BB89_4 Depth=1
	s_and_not1_saveexec_b32 s25, s25
	s_cbranch_execz .LBB89_3
; %bb.15:                               ;   in Loop: Header=BB89_4 Depth=1
	v_mov_b64_e32 v[10:11], 0
	s_and_saveexec_b32 s25, s0
	s_cbranch_execz .LBB89_19
; %bb.16:                               ;   in Loop: Header=BB89_4 Depth=1
	v_mov_b64_e32 v[10:11], 0
	s_mov_b32 s37, exec_lo
	v_cmpx_neq_f64_e32 0, v[8:9]
	s_cbranch_execz .LBB89_18
; %bb.17:                               ;   in Loop: Header=BB89_4 Depth=1
	v_lshl_add_u64 v[10:11], v[0:1], 3, s[22:23]
	global_load_b64 v[10:11], v[10:11], off
	s_wait_loadcnt 0x0
	v_mul_f64_e32 v[10:11], v[8:9], v[10:11]
.LBB89_18:                              ;   in Loop: Header=BB89_4 Depth=1
	s_or_b32 exec_lo, exec_lo, s37
	s_mul_u64 s[38:39], s[26:27], s[28:29]
	s_delay_alu instid0(SALU_CYCLE_1)
	v_lshl_add_u64 v[12:13], s[38:39], 3, v[2:3]
	global_load_b64 v[12:13], v[12:13], off
	s_wait_loadcnt 0x0
	ds_store_b64 v16, v[12:13]
.LBB89_19:                              ;   in Loop: Header=BB89_4 Depth=1
	s_wait_xcnt 0x0
	s_or_b32 exec_lo, exec_lo, s25
	s_mul_u64 s[38:39], s[18:19], s[28:29]
	s_delay_alu instid0(SALU_CYCLE_1)
	v_lshl_add_u64 v[12:13], s[38:39], 3, v[4:5]
	s_and_saveexec_b32 s25, s1
	s_cbranch_execz .LBB89_21
; %bb.20:                               ;   in Loop: Header=BB89_4 Depth=1
	s_delay_alu instid0(VALU_DEP_1) | instskip(NEXT) | instid1(VALU_DEP_1)
	v_lshl_add_u64 v[30:31], s[14:15], 3, v[12:13]
	v_add_nc_u64_e32 v[32:33], s[16:17], v[30:31]
	s_delay_alu instid0(VALU_DEP_1)
	v_add_nc_u64_e32 v[34:35], s[16:17], v[32:33]
	s_clause 0x3
	global_load_b64 v[36:37], v[12:13], off
	global_load_b64 v[38:39], v[30:31], off
	;; [unrolled: 1-line block ×4, first 2 shown]
	s_wait_loadcnt 0x2
	ds_store_2addr_stride64_b64 v18, v[36:37], v[38:39] offset1:2
	s_wait_loadcnt 0x0
	ds_store_2addr_stride64_b64 v18, v[40:41], v[42:43] offset0:4 offset1:6
.LBB89_21:                              ;   in Loop: Header=BB89_4 Depth=1
	s_wait_xcnt 0x0
	s_or_b32 exec_lo, exec_lo, s25
	v_add_nc_u64_e32 v[12:13], s[20:21], v[12:13]
	s_delay_alu instid0(VALU_DEP_1) | instskip(NEXT) | instid1(VALU_DEP_1)
	v_lshl_add_u64 v[30:31], s[14:15], 3, v[12:13]
	v_add_nc_u64_e32 v[32:33], s[16:17], v[30:31]
	s_delay_alu instid0(VALU_DEP_1)
	v_add_nc_u64_e32 v[34:35], s[16:17], v[32:33]
	s_clause 0x3
	global_load_b64 v[36:37], v[12:13], off
	global_load_b64 v[38:39], v[30:31], off
	;; [unrolled: 1-line block ×4, first 2 shown]
	s_wait_loadcnt 0x3
	ds_store_b64 v22, v[36:37]
	s_wait_loadcnt 0x2
	ds_store_b64 v23, v[38:39]
	;; [unrolled: 2-line block ×4, first 2 shown]
	s_wait_storecnt_dscnt 0x0
	s_barrier_signal -1
	s_barrier_wait -1
	s_wait_xcnt 0x0
	s_and_saveexec_b32 s25, s2
	s_cbranch_execnz .LBB89_35
; %bb.22:                               ;   in Loop: Header=BB89_4 Depth=1
	s_or_b32 exec_lo, exec_lo, s25
	s_and_saveexec_b32 s25, s3
	s_cbranch_execnz .LBB89_36
.LBB89_23:                              ;   in Loop: Header=BB89_4 Depth=1
	s_or_b32 exec_lo, exec_lo, s25
	s_and_saveexec_b32 s25, s4
	s_cbranch_execnz .LBB89_37
.LBB89_24:                              ;   in Loop: Header=BB89_4 Depth=1
	s_or_b32 exec_lo, exec_lo, s25
	s_and_saveexec_b32 s25, s5
	s_cbranch_execnz .LBB89_38
.LBB89_25:                              ;   in Loop: Header=BB89_4 Depth=1
	s_or_b32 exec_lo, exec_lo, s25
	s_and_saveexec_b32 s25, s24
	s_cbranch_execnz .LBB89_39
.LBB89_26:                              ;   in Loop: Header=BB89_4 Depth=1
	s_or_b32 exec_lo, exec_lo, s25
	s_and_saveexec_b32 s25, s6
	s_cbranch_execnz .LBB89_40
.LBB89_27:                              ;   in Loop: Header=BB89_4 Depth=1
	s_or_b32 exec_lo, exec_lo, s25
	s_and_saveexec_b32 s25, s7
	s_cbranch_execnz .LBB89_41
.LBB89_28:                              ;   in Loop: Header=BB89_4 Depth=1
	s_or_b32 exec_lo, exec_lo, s25
	s_and_saveexec_b32 s25, s8
	s_cbranch_execz .LBB89_30
.LBB89_29:                              ;   in Loop: Header=BB89_4 Depth=1
	ds_load_b64 v[12:13], v17 offset:96
	s_wait_dscnt 0x0
	ds_store_b64 v28, v[12:13]
.LBB89_30:                              ;   in Loop: Header=BB89_4 Depth=1
	s_or_b32 exec_lo, exec_lo, s25
	s_wait_dscnt 0x0
	s_barrier_signal -1
	s_barrier_wait -1
	ds_load_2addr_b64 v[30:33], v19 offset1:4
	ds_load_b64 v[12:13], v18
	ds_load_b64 v[34:35], v22
	;; [unrolled: 1-line block ×4, first 2 shown]
	s_wait_dscnt 0x3
	v_fma_f64 v[12:13], v[12:13], v[30:31], 0
	ds_load_b64 v[30:31], v26
	ds_load_b64 v[40:41], v27
	;; [unrolled: 1-line block ×4, first 2 shown]
	s_wait_dscnt 0x3
	v_fmac_f64_e32 v[12:13], v[30:31], v[32:33]
	ds_load_2addr_b64 v[30:33], v19 offset0:8 offset1:12
	s_wait_dscnt 0x0
	v_fmac_f64_e32 v[12:13], v[40:41], v[30:31]
	s_delay_alu instid0(VALU_DEP_1) | instskip(SKIP_3) | instid1(VALU_DEP_1)
	v_fmac_f64_e32 v[12:13], v[42:43], v[32:33]
	ds_load_2addr_b64 v[30:33], v19 offset0:16 offset1:20
	s_wait_dscnt 0x0
	v_fmac_f64_e32 v[12:13], v[34:35], v[30:31]
	v_fmac_f64_e32 v[12:13], v[36:37], v[32:33]
	ds_load_2addr_b64 v[30:33], v19 offset0:24 offset1:28
	s_wait_dscnt 0x0
	v_fmac_f64_e32 v[12:13], v[38:39], v[30:31]
	s_delay_alu instid0(VALU_DEP_1)
	v_fmac_f64_e32 v[12:13], v[44:45], v[32:33]
	ds_store_b64 v20, v[12:13]
	s_wait_dscnt 0x0
	s_barrier_signal -1
	s_barrier_wait -1
	s_and_saveexec_b32 s25, s0
	s_cbranch_execz .LBB89_2
; %bb.31:                               ;   in Loop: Header=BB89_4 Depth=1
	ds_load_2addr_b64 v[30:33], v21 offset1:32
	v_cmp_neq_f64_e32 vcc_lo, 0, v[8:9]
	v_lshl_add_u64 v[8:9], v[0:1], 3, s[22:23]
	s_wait_dscnt 0x0
	v_add_f64_e32 v[12:13], 0, v[30:31]
	s_delay_alu instid0(VALU_DEP_1) | instskip(SKIP_3) | instid1(VALU_DEP_1)
	v_add_f64_e32 v[12:13], v[12:13], v[32:33]
	ds_load_2addr_b64 v[30:33], v21 offset0:64 offset1:96
	s_wait_dscnt 0x0
	v_add_f64_e32 v[12:13], v[12:13], v[30:31]
	v_add_f64_e32 v[12:13], v[12:13], v[32:33]
	s_delay_alu instid0(VALU_DEP_1) | instskip(SKIP_1) | instid1(VALU_DEP_1)
	v_mul_f64_e32 v[30:31], v[6:7], v[12:13]
	v_fmac_f64_e32 v[10:11], v[6:7], v[12:13]
	v_dual_cndmask_b32 v7, v31, v11 :: v_dual_cndmask_b32 v6, v30, v10
	global_store_b64 v[8:9], v[6:7], off
	s_branch .LBB89_2
.LBB89_32:                              ;   in Loop: Header=BB89_4 Depth=1
	ds_load_b64 v[6:7], v14
	s_mul_u64 s[22:23], s[10:11], s[28:29]
	s_wait_dscnt 0x0
	v_lshl_add_u64 v[6:7], s[22:23], 3, v[6:7]
	flat_load_b64 v[6:7], v[6:7]
	s_cbranch_execnz .LBB89_6
.LBB89_33:                              ;   in Loop: Header=BB89_4 Depth=1
	s_wait_loadcnt_dscnt 0x0
	s_wait_xcnt 0x0
	ds_load_b64 v[6:7], v14
	s_and_b32 vcc_lo, exec_lo, s36
	s_mov_b32 s9, -1
                                        ; implicit-def: $vgpr8_vgpr9
	s_cbranch_vccz .LBB89_7
.LBB89_34:                              ;   in Loop: Header=BB89_4 Depth=1
	ds_load_b64 v[8:9], v15
	s_mul_u64 s[22:23], s[30:31], s[28:29]
	s_wait_dscnt 0x0
	v_lshl_add_u64 v[8:9], s[22:23], 3, v[8:9]
	flat_load_b64 v[8:9], v[8:9]
	s_cbranch_execz .LBB89_8
	s_branch .LBB89_9
.LBB89_35:                              ;   in Loop: Header=BB89_4 Depth=1
	ds_load_b64 v[12:13], v17 offset:128
	s_wait_dscnt 0x0
	ds_store_b64 v22, v[12:13]
	s_or_b32 exec_lo, exec_lo, s25
	s_and_saveexec_b32 s25, s3
	s_cbranch_execz .LBB89_23
.LBB89_36:                              ;   in Loop: Header=BB89_4 Depth=1
	ds_load_b64 v[12:13], v17 offset:160
	s_wait_dscnt 0x0
	ds_store_b64 v23, v[12:13]
	s_or_b32 exec_lo, exec_lo, s25
	s_and_saveexec_b32 s25, s4
	s_cbranch_execz .LBB89_24
.LBB89_37:                              ;   in Loop: Header=BB89_4 Depth=1
	ds_load_b64 v[12:13], v17 offset:192
	s_wait_dscnt 0x0
	ds_store_b64 v24, v[12:13]
	s_or_b32 exec_lo, exec_lo, s25
	s_and_saveexec_b32 s25, s5
	s_cbranch_execz .LBB89_25
.LBB89_38:                              ;   in Loop: Header=BB89_4 Depth=1
	ds_load_b64 v[12:13], v17 offset:224
	s_wait_dscnt 0x0
	ds_store_b64 v25, v[12:13]
	s_or_b32 exec_lo, exec_lo, s25
	s_and_saveexec_b32 s25, s24
	s_cbranch_execz .LBB89_26
.LBB89_39:                              ;   in Loop: Header=BB89_4 Depth=1
	ds_load_b64 v[12:13], v17
	s_wait_dscnt 0x0
	ds_store_b64 v18, v[12:13]
	s_or_b32 exec_lo, exec_lo, s25
	s_and_saveexec_b32 s25, s6
	s_cbranch_execz .LBB89_27
.LBB89_40:                              ;   in Loop: Header=BB89_4 Depth=1
	ds_load_b64 v[12:13], v17 offset:32
	s_wait_dscnt 0x0
	ds_store_b64 v26, v[12:13]
	s_or_b32 exec_lo, exec_lo, s25
	s_and_saveexec_b32 s25, s7
	s_cbranch_execz .LBB89_28
.LBB89_41:                              ;   in Loop: Header=BB89_4 Depth=1
	ds_load_b64 v[12:13], v17 offset:64
	s_wait_dscnt 0x0
	ds_store_b64 v27, v[12:13]
	s_or_b32 exec_lo, exec_lo, s25
	s_and_saveexec_b32 s25, s8
	s_cbranch_execnz .LBB89_29
	s_branch .LBB89_30
.LBB89_42:
	s_endpgm
	.section	.rodata,"a",@progbits
	.p2align	6, 0x0
	.amdhsa_kernel _ZL50rocblas_symv_kernel_upper_double_buffered_diagonalILi32ELi4E24rocblas_internal_val_ptrIdEPKdPdEvbiT1_lT2_lllS6_lllS5_lT3_llli
		.amdhsa_group_segment_fixed_size 12544
		.amdhsa_private_segment_fixed_size 0
		.amdhsa_kernarg_size 140
		.amdhsa_user_sgpr_count 4
		.amdhsa_user_sgpr_dispatch_ptr 1
		.amdhsa_user_sgpr_queue_ptr 0
		.amdhsa_user_sgpr_kernarg_segment_ptr 1
		.amdhsa_user_sgpr_dispatch_id 0
		.amdhsa_user_sgpr_kernarg_preload_length 0
		.amdhsa_user_sgpr_kernarg_preload_offset 0
		.amdhsa_user_sgpr_private_segment_size 0
		.amdhsa_wavefront_size32 1
		.amdhsa_uses_dynamic_stack 0
		.amdhsa_enable_private_segment 0
		.amdhsa_system_sgpr_workgroup_id_x 1
		.amdhsa_system_sgpr_workgroup_id_y 0
		.amdhsa_system_sgpr_workgroup_id_z 1
		.amdhsa_system_sgpr_workgroup_info 0
		.amdhsa_system_vgpr_workitem_id 2
		.amdhsa_next_free_vgpr 46
		.amdhsa_next_free_sgpr 40
		.amdhsa_named_barrier_count 0
		.amdhsa_reserve_vcc 1
		.amdhsa_float_round_mode_32 0
		.amdhsa_float_round_mode_16_64 0
		.amdhsa_float_denorm_mode_32 3
		.amdhsa_float_denorm_mode_16_64 3
		.amdhsa_fp16_overflow 0
		.amdhsa_memory_ordered 1
		.amdhsa_forward_progress 1
		.amdhsa_inst_pref_size 17
		.amdhsa_round_robin_scheduling 0
		.amdhsa_exception_fp_ieee_invalid_op 0
		.amdhsa_exception_fp_denorm_src 0
		.amdhsa_exception_fp_ieee_div_zero 0
		.amdhsa_exception_fp_ieee_overflow 0
		.amdhsa_exception_fp_ieee_underflow 0
		.amdhsa_exception_fp_ieee_inexact 0
		.amdhsa_exception_int_div_zero 0
	.end_amdhsa_kernel
	.section	.text._ZL50rocblas_symv_kernel_upper_double_buffered_diagonalILi32ELi4E24rocblas_internal_val_ptrIdEPKdPdEvbiT1_lT2_lllS6_lllS5_lT3_llli,"axG",@progbits,_ZL50rocblas_symv_kernel_upper_double_buffered_diagonalILi32ELi4E24rocblas_internal_val_ptrIdEPKdPdEvbiT1_lT2_lllS6_lllS5_lT3_llli,comdat
.Lfunc_end89:
	.size	_ZL50rocblas_symv_kernel_upper_double_buffered_diagonalILi32ELi4E24rocblas_internal_val_ptrIdEPKdPdEvbiT1_lT2_lllS6_lllS5_lT3_llli, .Lfunc_end89-_ZL50rocblas_symv_kernel_upper_double_buffered_diagonalILi32ELi4E24rocblas_internal_val_ptrIdEPKdPdEvbiT1_lT2_lllS6_lllS5_lT3_llli
                                        ; -- End function
	.set _ZL50rocblas_symv_kernel_upper_double_buffered_diagonalILi32ELi4E24rocblas_internal_val_ptrIdEPKdPdEvbiT1_lT2_lllS6_lllS5_lT3_llli.num_vgpr, 46
	.set _ZL50rocblas_symv_kernel_upper_double_buffered_diagonalILi32ELi4E24rocblas_internal_val_ptrIdEPKdPdEvbiT1_lT2_lllS6_lllS5_lT3_llli.num_agpr, 0
	.set _ZL50rocblas_symv_kernel_upper_double_buffered_diagonalILi32ELi4E24rocblas_internal_val_ptrIdEPKdPdEvbiT1_lT2_lllS6_lllS5_lT3_llli.numbered_sgpr, 40
	.set _ZL50rocblas_symv_kernel_upper_double_buffered_diagonalILi32ELi4E24rocblas_internal_val_ptrIdEPKdPdEvbiT1_lT2_lllS6_lllS5_lT3_llli.num_named_barrier, 0
	.set _ZL50rocblas_symv_kernel_upper_double_buffered_diagonalILi32ELi4E24rocblas_internal_val_ptrIdEPKdPdEvbiT1_lT2_lllS6_lllS5_lT3_llli.private_seg_size, 0
	.set _ZL50rocblas_symv_kernel_upper_double_buffered_diagonalILi32ELi4E24rocblas_internal_val_ptrIdEPKdPdEvbiT1_lT2_lllS6_lllS5_lT3_llli.uses_vcc, 1
	.set _ZL50rocblas_symv_kernel_upper_double_buffered_diagonalILi32ELi4E24rocblas_internal_val_ptrIdEPKdPdEvbiT1_lT2_lllS6_lllS5_lT3_llli.uses_flat_scratch, 0
	.set _ZL50rocblas_symv_kernel_upper_double_buffered_diagonalILi32ELi4E24rocblas_internal_val_ptrIdEPKdPdEvbiT1_lT2_lllS6_lllS5_lT3_llli.has_dyn_sized_stack, 0
	.set _ZL50rocblas_symv_kernel_upper_double_buffered_diagonalILi32ELi4E24rocblas_internal_val_ptrIdEPKdPdEvbiT1_lT2_lllS6_lllS5_lT3_llli.has_recursion, 0
	.set _ZL50rocblas_symv_kernel_upper_double_buffered_diagonalILi32ELi4E24rocblas_internal_val_ptrIdEPKdPdEvbiT1_lT2_lllS6_lllS5_lT3_llli.has_indirect_call, 0
	.section	.AMDGPU.csdata,"",@progbits
; Kernel info:
; codeLenInByte = 2052
; TotalNumSgprs: 42
; NumVgprs: 46
; ScratchSize: 0
; MemoryBound: 0
; FloatMode: 240
; IeeeMode: 1
; LDSByteSize: 12544 bytes/workgroup (compile time only)
; SGPRBlocks: 0
; VGPRBlocks: 2
; NumSGPRsForWavesPerEU: 42
; NumVGPRsForWavesPerEU: 46
; NamedBarCnt: 0
; Occupancy: 16
; WaveLimiterHint : 1
; COMPUTE_PGM_RSRC2:SCRATCH_EN: 0
; COMPUTE_PGM_RSRC2:USER_SGPR: 4
; COMPUTE_PGM_RSRC2:TRAP_HANDLER: 0
; COMPUTE_PGM_RSRC2:TGID_X_EN: 1
; COMPUTE_PGM_RSRC2:TGID_Y_EN: 0
; COMPUTE_PGM_RSRC2:TGID_Z_EN: 1
; COMPUTE_PGM_RSRC2:TIDIG_COMP_CNT: 2
	.section	.text._ZL54rocblas_symv_kernel_upper_double_buffered_non_diagonalILi32ELi4ELi4E24rocblas_internal_val_ptrIdEPKdPdEvbiT2_lT3_lllS6_lllT4_llli,"axG",@progbits,_ZL54rocblas_symv_kernel_upper_double_buffered_non_diagonalILi32ELi4ELi4E24rocblas_internal_val_ptrIdEPKdPdEvbiT2_lT3_lllS6_lllT4_llli,comdat
	.globl	_ZL54rocblas_symv_kernel_upper_double_buffered_non_diagonalILi32ELi4ELi4E24rocblas_internal_val_ptrIdEPKdPdEvbiT2_lT3_lllS6_lllT4_llli ; -- Begin function _ZL54rocblas_symv_kernel_upper_double_buffered_non_diagonalILi32ELi4ELi4E24rocblas_internal_val_ptrIdEPKdPdEvbiT2_lT3_lllS6_lllT4_llli
	.p2align	8
	.type	_ZL54rocblas_symv_kernel_upper_double_buffered_non_diagonalILi32ELi4ELi4E24rocblas_internal_val_ptrIdEPKdPdEvbiT2_lT3_lllS6_lllT4_llli,@function
_ZL54rocblas_symv_kernel_upper_double_buffered_non_diagonalILi32ELi4ELi4E24rocblas_internal_val_ptrIdEPKdPdEvbiT2_lT3_lllS6_lllT4_llli: ; @_ZL54rocblas_symv_kernel_upper_double_buffered_non_diagonalILi32ELi4ELi4E24rocblas_internal_val_ptrIdEPKdPdEvbiT2_lT3_lllS6_lllT4_llli
; %bb.0:
	s_load_b64 s[20:21], s[0:1], 0x4
	s_load_b512 s[4:19], s[2:3], 0x8
	v_bfe_u32 v4, v0, 10, 10
	s_wait_xcnt 0x0
	s_load_b32 s1, s[2:3], 0x78
	v_and_b32_e32 v2, 0x3ff, v0
	s_bfe_u32 s0, ttmp6, 0x40014
	s_lshr_b32 s22, ttmp7, 16
	s_add_co_i32 s0, s0, 1
	v_bfe_u32 v0, v0, 20, 10
	s_wait_kmcnt 0x0
	v_mul_u32_u24_e32 v1, s21, v4
	s_lshr_b32 s20, s20, 16
	v_dual_mov_b32 v6, s4 :: v_dual_mov_b32 v7, s5
	s_mul_i32 s20, s20, s21
	s_mul_i32 s4, s22, s0
	v_mad_u32_u24 v1, s20, v2, v1
	s_bfe_u32 s5, ttmp6, 0x40008
	s_getreg_b32 s0, hwreg(HW_REG_IB_STS2, 6, 4)
	s_add_co_i32 s5, s5, s4
	s_cmp_eq_u32 s0, 0
	v_add_lshl_u32 v0, v1, v0, 3
	s_cselect_b32 s4, s22, s5
	s_mov_b32 s5, 0
	s_cmp_ge_u32 s4, s1
	ds_store_b64 v0, v[6:7] offset:6400
	s_cbranch_scc1 .LBB90_29
; %bb.1:
	s_clause 0x2
	s_load_b32 s33, s[2:3], 0x0
	s_load_b128 s[20:23], s[2:3], 0x60
	s_load_b64 s[30:31], s[2:3], 0x58
	v_dual_mov_b32 v3, 0 :: v_dual_add_nc_u32 v76, 0x1900, v0
	v_lshl_add_u32 v0, v4, 5, v2
	v_dual_add_nc_u32 v14, 1, v2 :: v_dual_bitop2_b32 v6, 15, v2 bitop3:0x40
	v_dual_add_nc_u32 v15, 2, v2 :: v_dual_add_nc_u32 v23, 14, v2
	s_delay_alu instid0(VALU_DEP_3)
	v_dual_lshrrev_b32 v13, 4, v0 :: v_dual_mov_b32 v7, v3
	v_lshlrev_b32_e32 v20, 7, v2
	s_clause 0x1
	s_load_b128 s[24:27], s[2:3], 0x48
	s_load_b64 s[28:29], s[2:3], 0x70
	v_dual_lshlrev_b32 v10, 2, v13 :: v_dual_lshlrev_b32 v12, 5, v13
	v_dual_lshlrev_b32 v80, 8, v13 :: v_dual_lshlrev_b32 v24, 9, v13
	v_and_b32_e32 v13, 15, v14
	v_dual_add_nc_u32 v15, 3, v2 :: v_dual_bitop2_b32 v14, 15, v15 bitop3:0x40
	v_dual_add_nc_u32 v16, 4, v2 :: v_dual_bitop2_b32 v30, 15, v23 bitop3:0x40
	v_mov_b32_e32 v23, v3
	s_delay_alu instid0(VALU_DEP_4) | instskip(NEXT) | instid1(VALU_DEP_4)
	v_lshl_or_b32 v83, v13, 3, v20
	v_lshl_or_b32 v84, v14, 3, v20
	v_dual_add_nc_u32 v14, 5, v2 :: v_dual_bitop2_b32 v13, 15, v15 bitop3:0x40
	v_and_b32_e32 v15, 15, v16
	s_wait_kmcnt 0x0
	s_bitcmp1_b32 s33, 0
	v_dual_add_nc_u32 v16, 6, v2 :: v_dual_add_nc_u32 v17, 7, v2
	s_cselect_b32 s33, -1, 0
	s_lshl_b64 s[34:35], s[20:21], 3
	s_lshl_b64 s[44:45], s[10:11], 3
	s_bfe_u32 s11, ttmp6, 0x4000c
	s_bfe_u32 s21, ttmp6, 0x40010
	v_lshl_or_b32 v85, v13, 3, v20
	v_and_b32_e32 v13, 15, v14
	s_and_b32 s20, ttmp7, 0xffff
	s_add_co_i32 s11, s11, 1
	s_add_co_i32 s21, s21, 1
	s_and_b32 s10, ttmp6, 15
	s_bfe_u32 s36, ttmp6, 0x40004
	s_mul_i32 s11, ttmp9, s11
	s_mul_i32 s21, s20, s21
	v_dual_lshlrev_b32 v22, 3, v6 :: v_dual_bitop2_b32 v8, 16, v6 bitop3:0x54
	v_lshl_or_b32 v86, v15, 3, v20
	v_dual_add_nc_u32 v16, 9, v2 :: v_dual_bitop2_b32 v14, 15, v16 bitop3:0x40
	v_and_b32_e32 v15, 15, v17
	v_lshl_or_b32 v87, v13, 3, v20
	v_bitop3_b32 v13, v2, 8, 15 bitop3:0x6c
	s_lshl_b64 s[18:19], s[18:19], 3
	s_xor_b32 s33, s33, -1
	s_add_co_i32 s10, s10, s11
	s_add_co_i32 s36, s36, s21
	s_cmp_eq_u32 s0, 0
	v_mad_nc_u64_u32 v[0:1], s12, v10, v[6:7]
	s_cselect_b32 s10, ttmp9, s10
	v_or_b32_e32 v82, v20, v22
	v_lshl_or_b32 v88, v14, 3, v20
	v_and_b32_e32 v14, 15, v16
	v_lshl_or_b32 v90, v13, 3, v20
	v_add_nc_u32_e32 v16, 11, v2
	v_lshl_or_b32 v89, v15, 3, v20
	v_dual_add_nc_u32 v15, 10, v2 :: v_dual_add_nc_u32 v17, 12, v2
	v_mov_b32_e32 v13, v3
	s_cselect_b32 s66, s20, s36
	s_lshl_b32 s40, s10, 5
	v_dual_lshlrev_b32 v11, 3, v2 :: v_dual_mov_b32 v9, v3
	s_ashr_i32 s41, s40, 31
	v_add_nc_u32_e32 v79, 0x1800, v12
	v_lshl_or_b32 v91, v14, 3, v20
	v_and_b32_e32 v14, 15, v15
	v_and_b32_e32 v15, 15, v16
	;; [unrolled: 1-line block ×3, first 2 shown]
	v_lshl_add_u64 v[12:13], s[40:41], 3, v[12:13]
	v_cmp_eq_u32_e64 s0, 0, v4
	v_mul_u64_e32 v[4:5], s[24:25], v[2:3]
	v_add_nc_u32_e32 v77, 0x1800, v11
	v_mad_u32 v1, s13, v10, v1
	v_add_nc_u32_e32 v81, 0x1000, v11
	v_mul_u64_e32 v[10:11], s[22:23], v[2:3]
	v_add_nc_u32_e32 v17, 13, v2
	v_mul_lo_u32 v25, s12, v13
	v_or_b32_e32 v13, 16, v12
	v_dual_add_nc_u32 v2, -1, v2 :: v_dual_bitop2_b32 v18, 8, v12 bitop3:0x54
	v_lshl_or_b32 v94, v16, 3, v20
	v_or_b32_e32 v16, 24, v12
	v_mul_u64_e32 v[6:7], s[24:25], v[6:7]
	v_mul_u64_e32 v[8:9], s[24:25], v[8:9]
	v_lshl_or_b32 v92, v14, 3, v20
	v_lshl_or_b32 v93, v15, 3, v20
	v_dual_add_nc_u32 v98, v22, v24 :: v_dual_bitop2_b32 v21, 15, v17 bitop3:0x40
	v_mul_lo_u32 v26, s13, v12
	v_mad_nc_u64_u32 v[14:15], s12, v12, s[44:45]
	v_mul_lo_u32 v27, s13, v13
	v_mad_nc_u64_u32 v[12:13], s12, v13, s[44:45]
	;; [unrolled: 2-line block ×4, first 2 shown]
	v_and_b32_e32 v2, 15, v2
	v_lshl_or_b32 v95, v21, 3, v20
	v_lshl_or_b32 v96, v30, 3, v20
	s_add_nc_u64 s[30:31], s[30:31], s[34:35]
	v_add3_u32 v15, v26, v15, v25
	v_lshl_or_b32 v97, v2, 3, v20
	v_add3_u32 v13, v27, v13, v25
	s_mul_u64 s[34:35], s[12:13], s[40:41]
	v_add3_u32 v17, v28, v17, v25
	v_add_nc_u64_e32 v[14:15], v[14:15], v[22:23]
	v_add3_u32 v19, v29, v19, v25
	v_add_nc_u64_e32 v[20:21], v[12:13], v[22:23]
	s_lshl_b64 s[46:47], s[34:35], 3
	v_add_nc_u64_e32 v[16:17], v[16:17], v[22:23]
	s_lshl_b32 s67, s66, 5
	v_add_nc_u64_e32 v[18:19], v[18:19], v[22:23]
	v_add_nc_u64_e32 v[12:13], s[8:9], v[14:15]
	v_or_b32_e32 v78, 0x1000, v22
	v_add_nc_u64_e32 v[14:15], s[8:9], v[20:21]
	v_or_b32_e32 v2, 0x80, v22
	;; [unrolled: 2-line block ×3, first 2 shown]
	v_add_nc_u64_e32 v[18:19], s[8:9], v[18:19]
	v_mov_b32_e32 v21, v3
	s_add_nc_u64 s[36:37], s[8:9], s[44:45]
	s_cmp_lg_u32 s10, 0
	s_mul_u64 s[48:49], s[24:25], s[40:41]
	s_mul_u64 s[50:51], s[22:23], s[40:41]
	s_add_nc_u64 s[44:45], s[46:47], s[44:45]
	s_add_nc_u64 s[2:3], s[2:3], 0x80
	s_add_nc_u64 s[20:21], s[16:17], s[18:19]
	s_add_nc_u64 s[34:35], s[36:37], s[46:47]
	s_cselect_b32 s68, -1, 0
	s_lshl_b64 s[36:37], s[24:25], 8
	s_lshl_b64 s[38:39], s[22:23], 8
	s_mov_b32 s11, s5
	s_lshl_b64 s[40:41], s[12:13], 3
	s_lshl_b64 s[42:43], s[14:15], 3
	s_add_nc_u64 s[8:9], s[8:9], s[44:45]
	s_lshl_b64 s[44:45], s[26:27], 3
	s_lshl_b64 s[46:47], s[24:25], 3
	;; [unrolled: 1-line block ×4, first 2 shown]
	s_branch .LBB90_3
.LBB90_2:                               ;   in Loop: Header=BB90_3 Depth=1
	s_wait_xcnt 0x0
	s_or_b32 exec_lo, exec_lo, s69
	s_add_co_i32 s4, s4, 0x10000
	s_delay_alu instid0(SALU_CYCLE_1)
	s_cmp_lt_u32 s4, s1
	s_cbranch_scc0 .LBB90_29
.LBB90_3:                               ; =>This Loop Header: Depth=1
                                        ;     Child Loop BB90_17 Depth 2
	s_and_b32 vcc_lo, exec_lo, s33
	s_mov_b32 s52, -1
                                        ; implicit-def: $vgpr22_vgpr23
	s_cbranch_vccz .LBB90_5
; %bb.4:                                ;   in Loop: Header=BB90_3 Depth=1
	ds_load_b64 v[22:23], v76
	s_mul_u64 s[52:53], s[6:7], s[4:5]
	s_wait_dscnt 0x0
	v_lshl_add_u64 v[22:23], s[52:53], 3, v[22:23]
	s_mov_b32 s52, 0
	flat_load_b64 v[22:23], v[22:23]
.LBB90_5:                               ;   in Loop: Header=BB90_3 Depth=1
	s_and_not1_b32 vcc_lo, exec_lo, s52
	s_cbranch_vccnz .LBB90_7
; %bb.6:                                ;   in Loop: Header=BB90_3 Depth=1
	s_wait_loadcnt_dscnt 0x0
	s_wait_xcnt 0x0
	ds_load_b64 v[22:23], v76
.LBB90_7:                               ;   in Loop: Header=BB90_3 Depth=1
	s_mov_b32 s69, exec_lo
	s_wait_loadcnt_dscnt 0x0
	s_wait_xcnt 0x0
	v_cmpx_neq_f64_e32 0, v[22:23]
	s_cbranch_execz .LBB90_2
; %bb.8:                                ;   in Loop: Header=BB90_3 Depth=1
	s_and_not1_b32 vcc_lo, exec_lo, s68
	s_cbranch_vccnz .LBB90_2
; %bb.9:                                ;   in Loop: Header=BB90_3 Depth=1
	s_mul_u64 s[52:53], s[26:27], s[4:5]
	s_delay_alu instid0(SALU_CYCLE_1) | instskip(NEXT) | instid1(SALU_CYCLE_1)
	s_lshl_b64 s[52:53], s[52:53], 3
	s_add_nc_u64 s[56:57], s[20:21], s[52:53]
	s_and_saveexec_b32 s52, s0
	s_cbranch_execz .LBB90_11
; %bb.10:                               ;   in Loop: Header=BB90_3 Depth=1
	s_add_nc_u64 s[54:55], s[56:57], s[48:49]
	s_delay_alu instid0(SALU_CYCLE_1)
	v_lshl_add_u64 v[24:25], v[4:5], 3, s[54:55]
	global_load_b64 v[24:25], v[24:25], off
	s_wait_loadcnt 0x0
	ds_store_b64 v77, v[24:25]
.LBB90_11:                              ;   in Loop: Header=BB90_3 Depth=1
	s_wait_xcnt 0x0
	s_or_b32 exec_lo, exec_lo, s52
	s_load_b32 s52, s[2:3], 0x4
	s_mov_b32 s55, s5
	s_wait_kmcnt 0x0
	s_cvt_f32_u32 s53, s52
	s_sub_co_i32 s54, 0, s52
	s_delay_alu instid0(SALU_CYCLE_2) | instskip(SKIP_1) | instid1(TRANS32_DEP_1)
	v_rcp_iflag_f32_e32 v24, s53
	v_nop
	v_readfirstlane_b32 s53, v24
	s_mul_f32 s53, s53, 0x4f7ffffe
	s_delay_alu instid0(SALU_CYCLE_3) | instskip(NEXT) | instid1(SALU_CYCLE_3)
	s_cvt_u32_f32 s53, s53
	s_mul_i32 s54, s54, s53
	s_delay_alu instid0(SALU_CYCLE_1) | instskip(NEXT) | instid1(SALU_CYCLE_1)
	s_mul_hi_u32 s54, s53, s54
	s_add_co_i32 s54, s53, s54
	s_delay_alu instid0(SALU_CYCLE_1) | instskip(NEXT) | instid1(SALU_CYCLE_1)
	s_mul_u64 s[54:55], s[10:11], s[54:55]
	s_mul_i32 s53, s55, s52
	s_add_co_i32 s54, s55, 1
	s_sub_co_i32 s53, s10, s53
	s_delay_alu instid0(SALU_CYCLE_1)
	s_sub_co_i32 s58, s53, s52
	s_cmp_ge_u32 s53, s52
	s_cselect_b32 s54, s54, s55
	s_cselect_b32 s53, s58, s53
	s_add_co_i32 s55, s54, 1
	s_cmp_ge_u32 s53, s52
	s_cselect_b32 s54, s55, s54
	s_add_co_i32 s53, s52, -1
	s_mov_b32 s70, s54
	s_cmp_lg_u32 s66, s53
	s_cbranch_scc1 .LBB90_13
; %bb.12:                               ;   in Loop: Header=BB90_3 Depth=1
	s_mul_i32 s52, s54, s52
	s_delay_alu instid0(SALU_CYCLE_1) | instskip(NEXT) | instid1(SALU_CYCLE_1)
	s_sub_co_i32 s52, s10, s52
	s_add_co_i32 s70, s52, s54
.LBB90_13:                              ;   in Loop: Header=BB90_3 Depth=1
	s_delay_alu instid0(SALU_CYCLE_1)
	s_cmp_eq_u32 s70, 0
	s_cbranch_scc1 .LBB90_2
; %bb.14:                               ;   in Loop: Header=BB90_3 Depth=1
	s_mul_u64 s[52:53], s[28:29], s[4:5]
	s_wait_dscnt 0x0
	s_lshl_b64 s[52:53], s[52:53], 3
	s_cmp_lt_i32 s70, 1
	s_add_nc_u64 s[52:53], s[30:31], s[52:53]
	s_barrier_signal -1
	s_barrier_wait -1
	s_cbranch_scc1 .LBB90_21
; %bb.15:                               ;   in Loop: Header=BB90_3 Depth=1
	s_mul_u64 s[60:61], s[14:15], s[4:5]
	s_mul_i32 s58, s67, s54
	s_lshl_b64 s[54:55], s[60:61], 3
	s_ashr_i32 s59, s58, 31
	s_add_nc_u64 s[60:61], s[34:35], s[54:55]
	s_lshl_b64 s[54:55], s[58:59], 3
	s_mul_u64 s[62:63], s[24:25], s[58:59]
	s_add_nc_u64 s[60:61], s[60:61], s[54:55]
	s_lshl_b64 s[62:63], s[62:63], 3
	v_lshl_add_u64 v[24:25], v[0:1], 3, s[60:61]
	s_add_nc_u64 s[62:63], s[56:57], s[62:63]
	s_mul_u64 s[56:57], s[22:23], s[58:59]
	v_lshl_add_u64 v[32:33], v[6:7], 3, s[62:63]
	s_lshl_b64 s[56:57], s[56:57], 3
	v_lshl_add_u64 v[26:27], s[12:13], 3, v[24:25]
	s_add_nc_u64 s[64:65], s[52:53], s[56:57]
	s_cmp_eq_u32 s70, 1
	s_delay_alu instid0(VALU_DEP_1) | instskip(NEXT) | instid1(VALU_DEP_1)
	v_add_nc_u64_e32 v[28:29], s[40:41], v[26:27]
	v_add_nc_u64_e32 v[30:31], s[40:41], v[28:29]
	s_clause 0x3
	global_load_b64 v[46:47], v[24:25], off
	global_load_b64 v[54:55], v[26:27], off
	;; [unrolled: 1-line block ×5, first 2 shown]
	s_wait_xcnt 0x4
	v_mov_b64_e32 v[24:25], 0
	s_cbranch_scc1 .LBB90_22
; %bb.16:                               ;   in Loop: Header=BB90_3 Depth=1
	v_add_nc_u64_e32 v[24:25], s[54:55], v[2:3]
	s_wait_xcnt 0x3
	v_add_nc_u64_e32 v[26:27], s[54:55], v[20:21]
	s_mul_u64 s[60:61], s[44:45], s[4:5]
	s_wait_xcnt 0x1
	v_mov_b64_e32 v[30:31], 0
	s_add_nc_u64 s[56:57], s[16:17], s[60:61]
	v_mov_b64_e32 v[28:29], 0
	s_wait_xcnt 0x0
	v_mov_b64_e32 v[32:33], s[64:65]
	v_mad_nc_u64_u32 v[48:49], s24, v24, s[56:57]
	v_mad_nc_u64_u32 v[50:51], s24, v26, s[56:57]
	s_mul_u64 s[56:57], s[42:43], s[4:5]
	s_mul_u64 s[58:59], s[46:47], s[58:59]
	v_add_nc_u64_e32 v[52:53], s[56:57], v[12:13]
	v_add_nc_u64_e32 v[56:57], s[56:57], v[14:15]
	;; [unrolled: 1-line block ×4, first 2 shown]
	s_add_nc_u64 s[58:59], s[58:59], s[60:61]
	s_add_nc_u64 s[56:57], s[8:9], s[56:57]
	s_add_co_i32 s60, s70, -1
	v_mad_u32 v24, s25, v24, v49
	v_mad_u32 v26, s25, v26, v51
	s_add_nc_u64 s[58:59], s[16:17], s[58:59]
	s_delay_alu instid0(VALU_DEP_2) | instskip(NEXT) | instid1(VALU_DEP_2)
	v_mad_u32 v49, s24, v25, v24
	v_mad_u32 v51, s24, v27, v26
	v_mov_b64_e32 v[26:27], 0
	v_mov_b64_e32 v[24:25], 0
.LBB90_17:                              ;   Parent Loop BB90_3 Depth=1
                                        ; =>  This Inner Loop Header: Depth=2
	v_add_nc_u64_e32 v[34:35], s[54:55], v[52:53]
	v_add_nc_u64_e32 v[36:37], s[54:55], v[64:65]
	;; [unrolled: 1-line block ×6, first 2 shown]
	v_add_nc_u32_e32 v99, v78, v80
	global_load_b64 v[66:67], v[34:35], off offset:128
	global_load_b64 v[68:69], v[36:37], off offset:128
	;; [unrolled: 1-line block ×4, first 2 shown]
	global_load_b64 v[74:75], v[38:39], off
	global_load_b64 v[40:41], v[34:35], off offset:256
	global_load_b64 v[38:39], v[36:37], off offset:256
	;; [unrolled: 1-line block ×4, first 2 shown]
	global_load_b64 v[42:43], v[102:103], off
	s_wait_xcnt 0x0
	ds_load_b128 v[100:103], v79
	ds_load_b128 v[104:107], v79 offset:16
	s_wait_loadcnt_dscnt 0x0
	s_barrier_signal -1
	s_barrier_wait -1
	v_fma_f64 v[108:109], v[46:47], v[100:101], 0
	s_delay_alu instid0(VALU_DEP_1) | instskip(NEXT) | instid1(VALU_DEP_1)
	v_fmac_f64_e32 v[108:109], v[54:55], v[102:103]
	v_fmac_f64_e32 v[108:109], v[58:59], v[104:105]
	s_delay_alu instid0(VALU_DEP_1) | instskip(SKIP_1) | instid1(VALU_DEP_1)
	v_fmac_f64_e32 v[108:109], v[62:63], v[106:107]
	v_fma_f64 v[100:101], v[66:67], v[100:101], 0
	v_fmac_f64_e32 v[100:101], v[68:69], v[102:103]
	s_delay_alu instid0(VALU_DEP_1) | instskip(NEXT) | instid1(VALU_DEP_1)
	v_fmac_f64_e32 v[100:101], v[70:71], v[104:105]
	v_fmac_f64_e32 v[100:101], v[72:73], v[106:107]
	ds_store_2addr_b64 v99, v[108:109], v[100:101] offset1:16
	s_wait_dscnt 0x0
	s_barrier_signal -1
	s_barrier_wait -1
	s_and_saveexec_b32 s61, s0
	s_cbranch_execz .LBB90_19
; %bb.18:                               ;   in Loop: Header=BB90_17 Depth=2
	ds_load_2addr_b64 v[100:103], v81 offset1:32
	s_wait_dscnt 0x0
	v_add_f64_e32 v[100:101], 0, v[100:101]
	s_delay_alu instid0(VALU_DEP_1) | instskip(SKIP_3) | instid1(VALU_DEP_1)
	v_add_f64_e32 v[104:105], v[100:101], v[102:103]
	ds_load_2addr_b64 v[100:103], v81 offset0:64 offset1:96
	s_wait_dscnt 0x0
	v_add_f64_e32 v[100:101], v[104:105], v[100:101]
	v_add_f64_e32 v[104:105], v[100:101], v[102:103]
	ds_load_2addr_b64 v[100:103], v81 offset0:128 offset1:160
	s_wait_dscnt 0x0
	v_add_f64_e32 v[100:101], v[104:105], v[100:101]
	s_delay_alu instid0(VALU_DEP_1) | instskip(SKIP_3) | instid1(VALU_DEP_1)
	v_add_f64_e32 v[104:105], v[100:101], v[102:103]
	ds_load_2addr_b64 v[100:103], v81 offset0:192 offset1:224
	s_wait_dscnt 0x0
	v_add_f64_e32 v[100:101], v[104:105], v[100:101]
	v_add_f64_e32 v[100:101], v[100:101], v[102:103]
	v_lshl_add_u64 v[102:103], v[10:11], 3, v[32:33]
	v_add_nc_u64_e32 v[32:33], s[38:39], v[32:33]
	s_delay_alu instid0(VALU_DEP_3)
	v_mul_f64_e32 v[100:101], v[22:23], v[100:101]
	global_atomic_add_f64 v[102:103], v[100:101], off scope:SCOPE_DEV
.LBB90_19:                              ;   in Loop: Header=BB90_17 Depth=2
	s_wait_xcnt 0x0
	s_or_b32 exec_lo, exec_lo, s61
	v_fmac_f64_e32 v[26:27], v[44:45], v[46:47]
	v_fmac_f64_e32 v[30:31], v[44:45], v[54:55]
	v_fmac_f64_e32 v[28:29], v[44:45], v[58:59]
	v_fmac_f64_e32 v[24:25], v[44:45], v[62:63]
	v_add_nc_u64_e32 v[52:53], 0x100, v[52:53]
	v_add_nc_u64_e32 v[56:57], 0x100, v[56:57]
	;; [unrolled: 1-line block ×6, first 2 shown]
	s_add_co_i32 s60, s60, -1
	s_add_nc_u64 s[56:57], s[56:57], 0x100
	s_cmp_eq_u32 s60, 0
	s_add_nc_u64 s[58:59], s[58:59], s[36:37]
	v_fmac_f64_e32 v[26:27], v[74:75], v[66:67]
	v_fmac_f64_e32 v[30:31], v[74:75], v[68:69]
	;; [unrolled: 1-line block ×4, first 2 shown]
	s_cbranch_scc1 .LBB90_23
; %bb.20:                               ;   in Loop: Header=BB90_17 Depth=2
	v_mov_b64_e32 v[44:45], v[42:43]
	v_mov_b64_e32 v[46:47], v[40:41]
	;; [unrolled: 1-line block ×5, first 2 shown]
	s_branch .LBB90_17
.LBB90_21:                              ;   in Loop: Header=BB90_3 Depth=1
	v_mov_b64_e32 v[24:25], 0
	v_mov_b64_e32 v[28:29], 0
	;; [unrolled: 1-line block ×4, first 2 shown]
	s_branch .LBB90_27
.LBB90_22:                              ;   in Loop: Header=BB90_3 Depth=1
	s_wait_xcnt 0x0
	v_mov_b64_e32 v[32:33], s[64:65]
	s_wait_loadcnt 0x1
	v_mov_b64_e32 v[34:35], v[62:63]
	v_mov_b64_e32 v[36:37], v[58:59]
	;; [unrolled: 1-line block ×7, first 2 shown]
	s_wait_loadcnt 0x0
	v_mov_b64_e32 v[42:43], v[44:45]
	s_branch .LBB90_24
.LBB90_23:                              ;   in Loop: Header=BB90_3 Depth=1
	s_add_nc_u64 s[62:63], s[58:59], s[18:19]
	s_add_nc_u64 s[60:61], s[56:57], s[54:55]
.LBB90_24:                              ;   in Loop: Header=BB90_3 Depth=1
	s_delay_alu instid0(SALU_CYCLE_1)
	v_lshl_add_u64 v[46:47], v[0:1], 3, s[60:61]
	v_lshl_add_u64 v[52:53], v[8:9], 3, s[62:63]
	global_load_b64 v[44:45], v[46:47], off offset:128
	v_lshl_add_u64 v[48:49], s[12:13], 3, v[46:47]
	global_load_b64 v[52:53], v[52:53], off
	global_load_b64 v[46:47], v[48:49], off offset:128
	v_add_nc_u64_e32 v[50:51], s[40:41], v[48:49]
	global_load_b64 v[48:49], v[50:51], off offset:128
	s_wait_xcnt 0x0
	v_add_nc_u64_e32 v[50:51], s[40:41], v[50:51]
	global_load_b64 v[50:51], v[50:51], off offset:128
	ds_load_b128 v[54:57], v79
	ds_load_b128 v[58:61], v79 offset:16
	s_wait_storecnt 0x0
	s_wait_loadcnt_dscnt 0x0
	s_barrier_signal -1
	s_barrier_wait -1
	v_fma_f64 v[62:63], v[40:41], v[54:55], 0
	s_delay_alu instid0(VALU_DEP_1) | instskip(NEXT) | instid1(VALU_DEP_1)
	v_fmac_f64_e32 v[62:63], v[38:39], v[56:57]
	v_fmac_f64_e32 v[62:63], v[36:37], v[58:59]
	s_delay_alu instid0(VALU_DEP_1) | instskip(SKIP_1) | instid1(VALU_DEP_1)
	v_fmac_f64_e32 v[62:63], v[34:35], v[60:61]
	v_fma_f64 v[54:55], v[44:45], v[54:55], 0
	v_fmac_f64_e32 v[54:55], v[46:47], v[56:57]
	v_add_nc_u32_e32 v56, v78, v80
	s_delay_alu instid0(VALU_DEP_2) | instskip(NEXT) | instid1(VALU_DEP_1)
	v_fmac_f64_e32 v[54:55], v[48:49], v[58:59]
	v_fmac_f64_e32 v[54:55], v[50:51], v[60:61]
	ds_store_2addr_b64 v56, v[62:63], v[54:55] offset1:16
	s_wait_dscnt 0x0
	s_barrier_signal -1
	s_barrier_wait -1
	s_wait_xcnt 0x0
	s_and_saveexec_b32 s54, s0
	s_cbranch_execz .LBB90_26
; %bb.25:                               ;   in Loop: Header=BB90_3 Depth=1
	ds_load_2addr_b64 v[54:57], v81 offset1:32
	v_lshl_add_u64 v[32:33], v[10:11], 3, v[32:33]
	s_wait_dscnt 0x0
	v_add_f64_e32 v[54:55], 0, v[54:55]
	s_delay_alu instid0(VALU_DEP_1) | instskip(SKIP_3) | instid1(VALU_DEP_1)
	v_add_f64_e32 v[58:59], v[54:55], v[56:57]
	ds_load_2addr_b64 v[54:57], v81 offset0:64 offset1:96
	s_wait_dscnt 0x0
	v_add_f64_e32 v[54:55], v[58:59], v[54:55]
	v_add_f64_e32 v[58:59], v[54:55], v[56:57]
	ds_load_2addr_b64 v[54:57], v81 offset0:128 offset1:160
	s_wait_dscnt 0x0
	v_add_f64_e32 v[54:55], v[58:59], v[54:55]
	s_delay_alu instid0(VALU_DEP_1) | instskip(SKIP_3) | instid1(VALU_DEP_1)
	v_add_f64_e32 v[58:59], v[54:55], v[56:57]
	ds_load_2addr_b64 v[54:57], v81 offset0:192 offset1:224
	s_wait_dscnt 0x0
	v_add_f64_e32 v[54:55], v[58:59], v[54:55]
	v_add_f64_e32 v[54:55], v[54:55], v[56:57]
	s_delay_alu instid0(VALU_DEP_1)
	v_mul_f64_e32 v[54:55], v[22:23], v[54:55]
	global_atomic_add_f64 v[32:33], v[54:55], off scope:SCOPE_DEV
.LBB90_26:                              ;   in Loop: Header=BB90_3 Depth=1
	s_wait_xcnt 0x0
	s_or_b32 exec_lo, exec_lo, s54
	v_fmac_f64_e32 v[26:27], v[42:43], v[40:41]
	v_fmac_f64_e32 v[30:31], v[42:43], v[38:39]
	;; [unrolled: 1-line block ×4, first 2 shown]
	s_delay_alu instid0(VALU_DEP_4) | instskip(NEXT) | instid1(VALU_DEP_4)
	v_fmac_f64_e32 v[26:27], v[52:53], v[44:45]
	v_fmac_f64_e32 v[30:31], v[52:53], v[46:47]
	s_delay_alu instid0(VALU_DEP_4) | instskip(NEXT) | instid1(VALU_DEP_4)
	v_fmac_f64_e32 v[28:29], v[52:53], v[48:49]
	v_fmac_f64_e32 v[24:25], v[52:53], v[50:51]
.LBB90_27:                              ;   in Loop: Header=BB90_3 Depth=1
	ds_store_2addr_b64 v98, v[26:27], v[30:31] offset1:16
	ds_store_2addr_b64 v98, v[28:29], v[24:25] offset0:32 offset1:48
	s_wait_storecnt_dscnt 0x0
	s_barrier_signal -1
	s_barrier_wait -1
	s_and_b32 exec_lo, exec_lo, s0
	s_cbranch_execz .LBB90_2
; %bb.28:                               ;   in Loop: Header=BB90_3 Depth=1
	ds_load_b64 v[24:25], v82
	ds_load_b64 v[26:27], v83
	;; [unrolled: 1-line block ×4, first 2 shown]
	s_add_nc_u64 s[52:53], s[52:53], s[50:51]
	s_wait_dscnt 0x3
	v_add_f64_e32 v[24:25], 0, v[24:25]
	s_wait_dscnt 0x2
	s_delay_alu instid0(VALU_DEP_1) | instskip(SKIP_1) | instid1(VALU_DEP_1)
	v_add_f64_e32 v[24:25], v[24:25], v[26:27]
	s_wait_dscnt 0x1
	v_add_f64_e32 v[24:25], v[24:25], v[28:29]
	s_wait_dscnt 0x0
	s_delay_alu instid0(VALU_DEP_1)
	v_add_f64_e32 v[24:25], v[24:25], v[30:31]
	ds_load_b64 v[26:27], v86
	ds_load_b64 v[28:29], v87
	ds_load_b64 v[30:31], v88
	ds_load_b64 v[32:33], v89
	s_wait_dscnt 0x3
	v_add_f64_e32 v[24:25], v[24:25], v[26:27]
	s_wait_dscnt 0x2
	s_delay_alu instid0(VALU_DEP_1) | instskip(SKIP_1) | instid1(VALU_DEP_1)
	v_add_f64_e32 v[24:25], v[24:25], v[28:29]
	s_wait_dscnt 0x1
	v_add_f64_e32 v[24:25], v[24:25], v[30:31]
	s_wait_dscnt 0x0
	s_delay_alu instid0(VALU_DEP_1)
	v_add_f64_e32 v[24:25], v[24:25], v[32:33]
	ds_load_b64 v[26:27], v90
	ds_load_b64 v[28:29], v91
	ds_load_b64 v[30:31], v92
	ds_load_b64 v[32:33], v93
	s_wait_dscnt 0x3
	v_add_f64_e32 v[24:25], v[24:25], v[26:27]
	s_wait_dscnt 0x2
	s_delay_alu instid0(VALU_DEP_1) | instskip(SKIP_1) | instid1(VALU_DEP_1)
	v_add_f64_e32 v[24:25], v[24:25], v[28:29]
	s_wait_dscnt 0x1
	v_add_f64_e32 v[24:25], v[24:25], v[30:31]
	s_wait_dscnt 0x0
	s_delay_alu instid0(VALU_DEP_1)
	v_add_f64_e32 v[24:25], v[24:25], v[32:33]
	ds_load_b64 v[26:27], v94
	ds_load_b64 v[28:29], v95
	ds_load_b64 v[30:31], v96
	ds_load_b64 v[32:33], v97
	s_wait_dscnt 0x3
	v_add_f64_e32 v[24:25], v[24:25], v[26:27]
	s_wait_dscnt 0x2
	s_delay_alu instid0(VALU_DEP_1) | instskip(SKIP_1) | instid1(VALU_DEP_1)
	v_add_f64_e32 v[24:25], v[24:25], v[28:29]
	s_wait_dscnt 0x1
	v_add_f64_e32 v[24:25], v[24:25], v[30:31]
	s_wait_dscnt 0x0
	s_delay_alu instid0(VALU_DEP_1) | instskip(NEXT) | instid1(VALU_DEP_1)
	v_add_f64_e32 v[24:25], v[24:25], v[32:33]
	v_mul_f64_e32 v[22:23], v[22:23], v[24:25]
	v_lshl_add_u64 v[24:25], v[10:11], 3, s[52:53]
	global_atomic_add_f64 v[24:25], v[22:23], off scope:SCOPE_DEV
	s_branch .LBB90_2
.LBB90_29:
	s_sendmsg sendmsg(MSG_DEALLOC_VGPRS)
	s_endpgm
	.section	.rodata,"a",@progbits
	.p2align	6, 0x0
	.amdhsa_kernel _ZL54rocblas_symv_kernel_upper_double_buffered_non_diagonalILi32ELi4ELi4E24rocblas_internal_val_ptrIdEPKdPdEvbiT2_lT3_lllS6_lllT4_llli
		.amdhsa_group_segment_fixed_size 7424
		.amdhsa_private_segment_fixed_size 0
		.amdhsa_kernarg_size 384
		.amdhsa_user_sgpr_count 4
		.amdhsa_user_sgpr_dispatch_ptr 1
		.amdhsa_user_sgpr_queue_ptr 0
		.amdhsa_user_sgpr_kernarg_segment_ptr 1
		.amdhsa_user_sgpr_dispatch_id 0
		.amdhsa_user_sgpr_kernarg_preload_length 0
		.amdhsa_user_sgpr_kernarg_preload_offset 0
		.amdhsa_user_sgpr_private_segment_size 0
		.amdhsa_wavefront_size32 1
		.amdhsa_uses_dynamic_stack 0
		.amdhsa_enable_private_segment 0
		.amdhsa_system_sgpr_workgroup_id_x 1
		.amdhsa_system_sgpr_workgroup_id_y 1
		.amdhsa_system_sgpr_workgroup_id_z 1
		.amdhsa_system_sgpr_workgroup_info 0
		.amdhsa_system_vgpr_workitem_id 2
		.amdhsa_next_free_vgpr 110
		.amdhsa_next_free_sgpr 71
		.amdhsa_named_barrier_count 0
		.amdhsa_reserve_vcc 1
		.amdhsa_float_round_mode_32 0
		.amdhsa_float_round_mode_16_64 0
		.amdhsa_float_denorm_mode_32 3
		.amdhsa_float_denorm_mode_16_64 3
		.amdhsa_fp16_overflow 0
		.amdhsa_memory_ordered 1
		.amdhsa_forward_progress 1
		.amdhsa_inst_pref_size 25
		.amdhsa_round_robin_scheduling 0
		.amdhsa_exception_fp_ieee_invalid_op 0
		.amdhsa_exception_fp_denorm_src 0
		.amdhsa_exception_fp_ieee_div_zero 0
		.amdhsa_exception_fp_ieee_overflow 0
		.amdhsa_exception_fp_ieee_underflow 0
		.amdhsa_exception_fp_ieee_inexact 0
		.amdhsa_exception_int_div_zero 0
	.end_amdhsa_kernel
	.section	.text._ZL54rocblas_symv_kernel_upper_double_buffered_non_diagonalILi32ELi4ELi4E24rocblas_internal_val_ptrIdEPKdPdEvbiT2_lT3_lllS6_lllT4_llli,"axG",@progbits,_ZL54rocblas_symv_kernel_upper_double_buffered_non_diagonalILi32ELi4ELi4E24rocblas_internal_val_ptrIdEPKdPdEvbiT2_lT3_lllS6_lllT4_llli,comdat
.Lfunc_end90:
	.size	_ZL54rocblas_symv_kernel_upper_double_buffered_non_diagonalILi32ELi4ELi4E24rocblas_internal_val_ptrIdEPKdPdEvbiT2_lT3_lllS6_lllT4_llli, .Lfunc_end90-_ZL54rocblas_symv_kernel_upper_double_buffered_non_diagonalILi32ELi4ELi4E24rocblas_internal_val_ptrIdEPKdPdEvbiT2_lT3_lllS6_lllT4_llli
                                        ; -- End function
	.set _ZL54rocblas_symv_kernel_upper_double_buffered_non_diagonalILi32ELi4ELi4E24rocblas_internal_val_ptrIdEPKdPdEvbiT2_lT3_lllS6_lllT4_llli.num_vgpr, 110
	.set _ZL54rocblas_symv_kernel_upper_double_buffered_non_diagonalILi32ELi4ELi4E24rocblas_internal_val_ptrIdEPKdPdEvbiT2_lT3_lllS6_lllT4_llli.num_agpr, 0
	.set _ZL54rocblas_symv_kernel_upper_double_buffered_non_diagonalILi32ELi4ELi4E24rocblas_internal_val_ptrIdEPKdPdEvbiT2_lT3_lllS6_lllT4_llli.numbered_sgpr, 71
	.set _ZL54rocblas_symv_kernel_upper_double_buffered_non_diagonalILi32ELi4ELi4E24rocblas_internal_val_ptrIdEPKdPdEvbiT2_lT3_lllS6_lllT4_llli.num_named_barrier, 0
	.set _ZL54rocblas_symv_kernel_upper_double_buffered_non_diagonalILi32ELi4ELi4E24rocblas_internal_val_ptrIdEPKdPdEvbiT2_lT3_lllS6_lllT4_llli.private_seg_size, 0
	.set _ZL54rocblas_symv_kernel_upper_double_buffered_non_diagonalILi32ELi4ELi4E24rocblas_internal_val_ptrIdEPKdPdEvbiT2_lT3_lllS6_lllT4_llli.uses_vcc, 1
	.set _ZL54rocblas_symv_kernel_upper_double_buffered_non_diagonalILi32ELi4ELi4E24rocblas_internal_val_ptrIdEPKdPdEvbiT2_lT3_lllS6_lllT4_llli.uses_flat_scratch, 0
	.set _ZL54rocblas_symv_kernel_upper_double_buffered_non_diagonalILi32ELi4ELi4E24rocblas_internal_val_ptrIdEPKdPdEvbiT2_lT3_lllS6_lllT4_llli.has_dyn_sized_stack, 0
	.set _ZL54rocblas_symv_kernel_upper_double_buffered_non_diagonalILi32ELi4ELi4E24rocblas_internal_val_ptrIdEPKdPdEvbiT2_lT3_lllS6_lllT4_llli.has_recursion, 0
	.set _ZL54rocblas_symv_kernel_upper_double_buffered_non_diagonalILi32ELi4ELi4E24rocblas_internal_val_ptrIdEPKdPdEvbiT2_lT3_lllS6_lllT4_llli.has_indirect_call, 0
	.section	.AMDGPU.csdata,"",@progbits
; Kernel info:
; codeLenInByte = 3100
; TotalNumSgprs: 73
; NumVgprs: 110
; ScratchSize: 0
; MemoryBound: 0
; FloatMode: 240
; IeeeMode: 1
; LDSByteSize: 7424 bytes/workgroup (compile time only)
; SGPRBlocks: 0
; VGPRBlocks: 6
; NumSGPRsForWavesPerEU: 73
; NumVGPRsForWavesPerEU: 110
; NamedBarCnt: 0
; Occupancy: 9
; WaveLimiterHint : 1
; COMPUTE_PGM_RSRC2:SCRATCH_EN: 0
; COMPUTE_PGM_RSRC2:USER_SGPR: 4
; COMPUTE_PGM_RSRC2:TRAP_HANDLER: 0
; COMPUTE_PGM_RSRC2:TGID_X_EN: 1
; COMPUTE_PGM_RSRC2:TGID_Y_EN: 1
; COMPUTE_PGM_RSRC2:TGID_Z_EN: 1
; COMPUTE_PGM_RSRC2:TIDIG_COMP_CNT: 2
	.section	.text._ZL58rocblas_symv_kernel_upper_double_buffered_diagonal_genericILi32ELi8E24rocblas_internal_val_ptrIdEPKdPdEvbiT1_lT2_lllS6_lllS5_lT3_lllii,"axG",@progbits,_ZL58rocblas_symv_kernel_upper_double_buffered_diagonal_genericILi32ELi8E24rocblas_internal_val_ptrIdEPKdPdEvbiT1_lT2_lllS6_lllS5_lT3_lllii,comdat
	.globl	_ZL58rocblas_symv_kernel_upper_double_buffered_diagonal_genericILi32ELi8E24rocblas_internal_val_ptrIdEPKdPdEvbiT1_lT2_lllS6_lllS5_lT3_lllii ; -- Begin function _ZL58rocblas_symv_kernel_upper_double_buffered_diagonal_genericILi32ELi8E24rocblas_internal_val_ptrIdEPKdPdEvbiT1_lT2_lllS6_lllS5_lT3_lllii
	.p2align	8
	.type	_ZL58rocblas_symv_kernel_upper_double_buffered_diagonal_genericILi32ELi8E24rocblas_internal_val_ptrIdEPKdPdEvbiT1_lT2_lllS6_lllS5_lT3_lllii,@function
_ZL58rocblas_symv_kernel_upper_double_buffered_diagonal_genericILi32ELi8E24rocblas_internal_val_ptrIdEPKdPdEvbiT1_lT2_lllS6_lllS5_lT3_lllii: ; @_ZL58rocblas_symv_kernel_upper_double_buffered_diagonal_genericILi32ELi8E24rocblas_internal_val_ptrIdEPKdPdEvbiT1_lT2_lllS6_lllS5_lT3_lllii
; %bb.0:
	s_load_b64 s[4:5], s[0:1], 0x4
	s_clause 0x1
	s_load_b512 s[8:23], s[2:3], 0x8
	s_load_b256 s[24:31], s[2:3], 0x48
	v_bfe_u32 v6, v0, 10, 10
	v_and_b32_e32 v8, 0x3ff, v0
	s_load_b64 s[34:35], s[2:3], 0x88
	v_bfe_u32 v0, v0, 20, 10
	s_wait_xcnt 0x0
	s_lshr_b32 s1, ttmp7, 16
	s_wait_kmcnt 0x0
	v_mul_u32_u24_e32 v1, s5, v6
	s_lshr_b32 s0, s4, 16
	s_bfe_u32 s4, ttmp6, 0x40008
	s_mul_i32 s0, s0, s5
	s_getreg_b32 s5, hwreg(HW_REG_IB_STS2, 6, 4)
	v_mad_u32 v1, s0, v8, v1
	s_bfe_u32 s0, ttmp6, 0x40014
	v_dual_mov_b32 v2, s8 :: v_dual_mov_b32 v3, s9
	s_add_co_i32 s0, s0, 1
	v_dual_mov_b32 v4, s28 :: v_dual_mov_b32 v5, s29
	s_mul_i32 s0, s1, s0
	s_mov_b32 s29, 0
	s_add_co_i32 s4, s4, s0
	s_cmp_eq_u32 s5, 0
	s_delay_alu instid0(VALU_DEP_3) | instskip(SKIP_1) | instid1(SALU_CYCLE_1)
	v_add_lshl_u32 v0, v1, v0, 3
	s_cselect_b32 s28, s1, s4
	s_cmp_ge_u32 s28, s35
	s_delay_alu instid0(VALU_DEP_1)
	v_add_nc_u32_e32 v1, 0x100, v0
	ds_store_2addr_stride64_b64 v1, v[4:5], v[2:3] offset0:24 offset1:28
	s_cbranch_scc1 .LBB91_51
; %bb.1:
	v_dual_mov_b32 v9, 0 :: v_dual_add_nc_u32 v20, 0x3900, v0
	s_clause 0x3
	s_load_b64 s[6:7], s[2:3], 0x68
	s_load_b32 s8, s[2:3], 0x0
	s_load_b128 s[36:39], s[2:3], 0x70
	s_load_b64 s[40:41], s[2:3], 0x80
	s_add_nc_u64 s[42:43], s[16:17], 1
	v_add_nc_u32_e32 v21, 0x3100, v0
	v_dual_mov_b32 v7, v9 :: v_dual_lshlrev_b32 v10, 3, v8
	v_mul_u64_e32 v[4:5], s[24:25], v[8:9]
	v_mov_b32_e32 v11, v9
	v_cmp_gt_i32_e64 s9, s34, v8
	s_delay_alu instid0(VALU_DEP_4) | instskip(SKIP_4) | instid1(VALU_DEP_4)
	v_mul_u64_e32 v[2:3], s[16:17], v[6:7]
	v_sub_co_u32 v7, s50, v8, v6
	v_cmp_ne_u32_e64 s4, 0, v6
	v_lshl_add_u32 v16, v6, 5, v8
	v_cmp_le_i32_e64 s1, s34, v8
	v_sub_nc_u32_e32 v17, 0, v7
	v_add_nc_u32_e32 v22, 0x3000, v10
	v_cmp_eq_u32_e64 s0, 0, v6
	v_lshl_add_u32 v26, v16, 3, 0x2000
	s_wait_kmcnt 0x0
	s_bitcmp1_b32 s8, 0
	v_mul_u64_e32 v[0:1], s[38:39], v[8:9]
	s_cselect_b32 s8, -1, 0
	s_bfe_u32 s33, ttmp6, 0x4000c
	s_lshl_b64 s[44:45], s[14:15], 3
	s_lshl_b64 s[14:15], s[22:23], 3
	;; [unrolled: 1-line block ×3, first 2 shown]
	s_add_co_i32 s37, s33, 1
	s_and_b32 s36, ttmp6, 15
	s_xor_b32 s33, s8, -1
	s_mul_i32 s8, ttmp9, s37
	s_add_nc_u64 s[6:7], s[6:7], s[22:23]
	s_add_co_i32 s36, s36, s8
	s_cmp_eq_u32 s5, 0
	s_add_nc_u64 s[46:47], s[12:13], s[44:45]
	s_cselect_b32 s36, ttmp9, s36
	s_add_nc_u64 s[20:21], s[20:21], s[14:15]
	s_lshl_b32 s22, s36, 5
	s_lshl_b64 s[14:15], s[16:17], 6
	s_ashr_i32 s23, s22, 31
	s_nor_b32 s37, s4, s9
	s_mul_u64 s[42:43], s[42:43], s[22:23]
	v_lshlrev_b64_e32 v[12:13], 3, v[2:3]
	s_lshl_b64 s[48:49], s[42:43], 3
	s_mul_u64 s[24:25], s[24:25], s[22:23]
	s_add_nc_u64 s[46:47], s[46:47], s[48:49]
	s_mul_u64 s[22:23], s[38:39], s[22:23]
	s_lshl_b64 s[24:25], s[24:25], 3
	s_lshl_b64 s[22:23], s[22:23], 3
	v_add_nc_u64_e32 v[14:15], s[46:47], v[12:13]
	s_add_nc_u64 s[24:25], s[20:21], s[24:25]
	s_add_nc_u64 s[20:21], s[6:7], s[22:23]
	;; [unrolled: 1-line block ×3, first 2 shown]
	v_lshl_add_u64 v[2:3], v[4:5], 3, s[24:25]
	s_lshr_b32 s42, s34, 3
	s_cmp_gt_u32 s34, 7
	v_add_nc_u64_e32 v[4:5], v[14:15], v[10:11]
	v_mul_u32_u24_e32 v15, 0xf8, v8
	v_add_nc_u64_e32 v[8:9], s[6:7], v[12:13]
	v_dual_lshlrev_b32 v14, 8, v6 :: v_dual_max_i32 v7, v7, v17
	v_lshlrev_b32_e32 v17, 3, v6
	s_cselect_b32 s24, -1, 0
	s_and_b32 s5, s34, 7
	s_delay_alu instid0(VALU_DEP_2)
	v_add_nc_u32_e32 v12, 0x1800, v14
	v_cmp_gt_u32_e64 s5, s5, v6
	v_cmp_lt_u32_e64 s6, 16, v7
	v_cmp_lt_u32_e64 s7, 24, v7
	;; [unrolled: 1-line block ×3, first 2 shown]
	v_add_nc_u64_e32 v[6:7], v[8:9], v[10:11]
	v_add_nc_u32_e32 v8, 0x800, v14
	v_add_nc_u32_e32 v11, 0x1000, v14
	;; [unrolled: 1-line block ×3, first 2 shown]
	v_add3_u32 v24, v10, v15, v17
	v_add_nc_u32_e32 v25, 0x3000, v17
	v_add_nc_u32_e32 v28, v10, v8
	v_add_nc_u64_e32 v[6:7], s[12:13], v[6:7]
	v_mov_b64_e32 v[8:9], 0
	v_or_b32_e32 v27, 0x2000, v10
	v_dual_add_nc_u32 v29, v10, v11 :: v_dual_add_nc_u32 v30, v10, v12
	s_add_nc_u64 s[12:13], s[2:3], 0x90
	s_xor_b32 s25, s50, -1
	s_lshl_b64 s[22:23], s[18:19], 3
	s_branch .LBB91_4
.LBB91_2:                               ;   in Loop: Header=BB91_4 Depth=1
	s_wait_xcnt 0x0
	s_or_b32 exec_lo, exec_lo, s38
.LBB91_3:                               ;   in Loop: Header=BB91_4 Depth=1
	s_delay_alu instid0(SALU_CYCLE_1) | instskip(SKIP_1) | instid1(SALU_CYCLE_1)
	s_or_b32 exec_lo, exec_lo, s34
	s_add_co_i32 s28, s28, 0x10000
	s_cmp_lt_u32 s28, s35
	s_cbranch_scc0 .LBB91_51
.LBB91_4:                               ; =>This Loop Header: Depth=1
                                        ;     Child Loop BB91_34 Depth 2
	s_and_b32 vcc_lo, exec_lo, s33
	s_mov_b32 s2, -1
                                        ; implicit-def: $vgpr12_vgpr13
	s_cbranch_vccnz .LBB91_45
; %bb.5:                                ;   in Loop: Header=BB91_4 Depth=1
	s_and_not1_b32 vcc_lo, exec_lo, s2
	s_cbranch_vccz .LBB91_46
.LBB91_6:                               ;   in Loop: Header=BB91_4 Depth=1
	s_and_b32 vcc_lo, exec_lo, s33
	s_mov_b32 s2, -1
                                        ; implicit-def: $vgpr10_vgpr11
	s_cbranch_vccnz .LBB91_47
.LBB91_7:                               ;   in Loop: Header=BB91_4 Depth=1
	s_and_not1_b32 vcc_lo, exec_lo, s2
	s_cbranch_vccnz .LBB91_9
.LBB91_8:                               ;   in Loop: Header=BB91_4 Depth=1
	s_wait_loadcnt_dscnt 0x0
	s_wait_xcnt 0x0
	ds_load_b64 v[10:11], v21
.LBB91_9:                               ;   in Loop: Header=BB91_4 Depth=1
	s_wait_loadcnt_dscnt 0x0
	v_cmp_neq_f64_e32 vcc_lo, 0, v[12:13]
	v_cmp_neq_f64_e64 s2, 1.0, v[10:11]
	s_or_b32 s2, vcc_lo, s2
	s_wait_xcnt 0x0
	s_and_saveexec_b32 s34, s2
	s_cbranch_execz .LBB91_3
; %bb.10:                               ;   in Loop: Header=BB91_4 Depth=1
	s_mul_u64 s[2:3], s[40:41], s[28:29]
	s_mov_b32 s38, exec_lo
	s_lshl_b64 s[2:3], s[2:3], 3
	s_delay_alu instid0(SALU_CYCLE_1)
	s_add_nc_u64 s[2:3], s[20:21], s[2:3]
	v_cmpx_eq_f64_e32 0, v[12:13]
	s_xor_b32 s38, exec_lo, s38
	s_cbranch_execz .LBB91_17
; %bb.11:                               ;   in Loop: Header=BB91_4 Depth=1
	s_and_saveexec_b32 s39, s0
	s_cbranch_execz .LBB91_16
; %bb.12:                               ;   in Loop: Header=BB91_4 Depth=1
	s_mov_b32 s44, s9
	s_and_saveexec_b32 s43, s1
	s_cbranch_execz .LBB91_14
; %bb.13:                               ;   in Loop: Header=BB91_4 Depth=1
	s_load_b32 s44, s[12:13], 0x0
	s_wait_kmcnt 0x0
	s_add_co_i32 s44, s44, -1
	s_delay_alu instid0(SALU_CYCLE_1) | instskip(SKIP_3) | instid1(SALU_CYCLE_1)
	s_cmp_lt_u32 s36, s44
	s_cselect_b32 s44, -1, 0
	s_and_not1_b32 s45, s9, exec_lo
	s_and_b32 s44, s44, exec_lo
	s_or_b32 s44, s45, s44
.LBB91_14:                              ;   in Loop: Header=BB91_4 Depth=1
	s_or_b32 exec_lo, exec_lo, s43
	s_delay_alu instid0(SALU_CYCLE_1)
	s_and_b32 exec_lo, exec_lo, s44
	s_cbranch_execz .LBB91_16
; %bb.15:                               ;   in Loop: Header=BB91_4 Depth=1
	v_lshl_add_u64 v[12:13], v[0:1], 3, s[2:3]
	global_load_b64 v[14:15], v[12:13], off
	s_wait_loadcnt 0x0
	v_mul_f64_e32 v[10:11], v[10:11], v[14:15]
	global_store_b64 v[12:13], v[10:11], off
.LBB91_16:                              ;   in Loop: Header=BB91_4 Depth=1
	s_wait_xcnt 0x0
	s_or_b32 exec_lo, exec_lo, s39
                                        ; implicit-def: $vgpr10_vgpr11
                                        ; implicit-def: $vgpr12_vgpr13
.LBB91_17:                              ;   in Loop: Header=BB91_4 Depth=1
	s_and_not1_saveexec_b32 s38, s38
	s_cbranch_execz .LBB91_3
; %bb.18:                               ;   in Loop: Header=BB91_4 Depth=1
	v_mov_b64_e32 v[14:15], 0
	s_and_saveexec_b32 s38, s0
	s_cbranch_execz .LBB91_26
; %bb.19:                               ;   in Loop: Header=BB91_4 Depth=1
	s_mov_b32 s43, s9
	s_and_saveexec_b32 s39, s1
	s_cbranch_execz .LBB91_21
; %bb.20:                               ;   in Loop: Header=BB91_4 Depth=1
	s_load_b32 s43, s[12:13], 0x0
	s_wait_kmcnt 0x0
	s_add_co_i32 s43, s43, -1
	s_delay_alu instid0(SALU_CYCLE_1) | instskip(SKIP_3) | instid1(SALU_CYCLE_1)
	s_cmp_lt_u32 s36, s43
	s_cselect_b32 s43, -1, 0
	s_and_not1_b32 s44, s9, exec_lo
	s_and_b32 s43, s43, exec_lo
	s_or_b32 s43, s44, s43
.LBB91_21:                              ;   in Loop: Header=BB91_4 Depth=1
	s_or_b32 exec_lo, exec_lo, s39
	v_mov_b64_e32 v[14:15], 0
	s_and_saveexec_b32 s39, s43
	s_cbranch_execz .LBB91_25
; %bb.22:                               ;   in Loop: Header=BB91_4 Depth=1
	s_mul_u64 s[44:45], s[26:27], s[28:29]
	s_mov_b32 s43, exec_lo
	v_lshl_add_u64 v[14:15], s[44:45], 3, v[2:3]
	global_load_b64 v[16:17], v[14:15], off
	s_wait_xcnt 0x0
	v_mov_b64_e32 v[14:15], 0
	s_wait_loadcnt 0x0
	ds_store_b64 v22, v[16:17]
	v_cmpx_neq_f64_e32 0, v[10:11]
	s_cbranch_execz .LBB91_24
; %bb.23:                               ;   in Loop: Header=BB91_4 Depth=1
	v_lshl_add_u64 v[14:15], v[0:1], 3, s[2:3]
	global_load_b64 v[14:15], v[14:15], off
	s_wait_loadcnt 0x0
	v_mul_f64_e32 v[14:15], v[10:11], v[14:15]
.LBB91_24:                              ;   in Loop: Header=BB91_4 Depth=1
	s_or_b32 exec_lo, exec_lo, s43
.LBB91_25:                              ;   in Loop: Header=BB91_4 Depth=1
	s_delay_alu instid0(SALU_CYCLE_1)
	s_or_b32 exec_lo, exec_lo, s39
.LBB91_26:                              ;   in Loop: Header=BB91_4 Depth=1
	s_delay_alu instid0(SALU_CYCLE_1) | instskip(SKIP_2) | instid1(SALU_CYCLE_1)
	s_or_b32 exec_lo, exec_lo, s38
	s_load_b32 s43, s[12:13], 0x0
	s_mul_u64 s[38:39], s[18:19], s[28:29]
	v_lshl_add_u64 v[16:17], s[38:39], 3, v[4:5]
	s_mov_b32 s39, -1
	s_wait_kmcnt 0x0
	s_add_co_i32 s38, s43, -1
	s_delay_alu instid0(SALU_CYCLE_1)
	s_cmp_eq_u32 s36, s38
	s_cbranch_scc1 .LBB91_28
; %bb.27:                               ;   in Loop: Header=BB91_4 Depth=1
	v_add_nc_u64_e32 v[18:19], s[14:15], v[16:17]
	s_mov_b32 s39, 0
	s_delay_alu instid0(VALU_DEP_1) | instskip(NEXT) | instid1(VALU_DEP_1)
	v_add_nc_u64_e32 v[32:33], s[14:15], v[18:19]
	v_add_nc_u64_e32 v[34:35], s[14:15], v[32:33]
	s_clause 0x3
	global_load_b64 v[36:37], v[16:17], off
	global_load_b64 v[38:39], v[18:19], off
	;; [unrolled: 1-line block ×4, first 2 shown]
	s_wait_loadcnt 0x2
	ds_store_2addr_stride64_b64 v23, v[36:37], v[38:39] offset1:4
	s_wait_loadcnt 0x0
	ds_store_2addr_stride64_b64 v23, v[40:41], v[42:43] offset0:8 offset1:12
.LBB91_28:                              ;   in Loop: Header=BB91_4 Depth=1
	s_and_not1_b32 vcc_lo, exec_lo, s39
	s_cbranch_vccnz .LBB91_38
; %bb.29:                               ;   in Loop: Header=BB91_4 Depth=1
	ds_store_2addr_stride64_b64 v23, v[8:9], v[8:9] offset1:4
	ds_store_2addr_stride64_b64 v23, v[8:9], v[8:9] offset0:8 offset1:12
	s_wait_xcnt 0x0
	s_and_saveexec_b32 s39, s37
; %bb.30:                               ;   in Loop: Header=BB91_4 Depth=1
	ds_store_b64 v22, v[8:9]
; %bb.31:                               ;   in Loop: Header=BB91_4 Depth=1
	s_or_b32 exec_lo, exec_lo, s39
	s_and_saveexec_b32 s39, s9
	s_cbranch_execz .LBB91_37
; %bb.32:                               ;   in Loop: Header=BB91_4 Depth=1
	s_and_not1_b32 vcc_lo, exec_lo, s24
	s_mov_b32 s43, 0
	s_cbranch_vccnz .LBB91_35
; %bb.33:                               ;   in Loop: Header=BB91_4 Depth=1
	v_mad_nc_u64_u32 v[18:19], s22, s28, v[6:7]
	v_mov_b32_e32 v31, v23
	s_mov_b32 s44, s42
	s_delay_alu instid0(VALU_DEP_2)
	v_mad_u32 v19, s23, s28, v19
.LBB91_34:                              ;   Parent Loop BB91_4 Depth=1
                                        ; =>  This Inner Loop Header: Depth=2
	global_load_b64 v[32:33], v[18:19], off
	s_wait_xcnt 0x0
	v_add_nc_u64_e32 v[18:19], s[14:15], v[18:19]
	s_add_co_i32 s44, s44, -1
	s_mov_b32 s43, s42
	s_cmp_lg_u32 s44, 0
	s_wait_loadcnt 0x0
	ds_store_b64 v31, v[32:33]
	v_add_nc_u32_e32 v31, 0x800, v31
	s_cbranch_scc1 .LBB91_34
.LBB91_35:                              ;   in Loop: Header=BB91_4 Depth=1
	s_and_b32 exec_lo, exec_lo, s5
	s_cbranch_execz .LBB91_37
; %bb.36:                               ;   in Loop: Header=BB91_4 Depth=1
	s_lshl_b32 s44, s43, 3
	s_mov_b32 s45, s29
	v_lshl_add_u32 v18, s43, 11, v23
	s_mul_u64 s[44:45], s[16:17], s[44:45]
	s_delay_alu instid0(SALU_CYCLE_1)
	v_lshl_add_u64 v[16:17], s[44:45], 3, v[16:17]
	global_load_b64 v[16:17], v[16:17], off
	s_wait_loadcnt 0x0
	ds_store_b64 v18, v[16:17]
.LBB91_37:                              ;   in Loop: Header=BB91_4 Depth=1
	s_wait_xcnt 0x0
	s_or_b32 exec_lo, exec_lo, s39
.LBB91_38:                              ;   in Loop: Header=BB91_4 Depth=1
	s_wait_storecnt_dscnt 0x0
	s_barrier_signal -1
	s_barrier_wait -1
	s_wait_xcnt 0x0
	s_and_saveexec_b32 s39, s6
	s_cbranch_execnz .LBB91_48
; %bb.39:                               ;   in Loop: Header=BB91_4 Depth=1
	s_or_b32 exec_lo, exec_lo, s39
	s_and_saveexec_b32 s39, s7
	s_cbranch_execnz .LBB91_49
.LBB91_40:                              ;   in Loop: Header=BB91_4 Depth=1
	s_or_b32 exec_lo, exec_lo, s39
	s_and_saveexec_b32 s39, s25
	s_cbranch_execnz .LBB91_50
.LBB91_41:                              ;   in Loop: Header=BB91_4 Depth=1
	s_or_b32 exec_lo, exec_lo, s39
	s_and_saveexec_b32 s39, s8
	s_cbranch_execz .LBB91_43
.LBB91_42:                              ;   in Loop: Header=BB91_4 Depth=1
	ds_load_b64 v[16:17], v24 offset:64
	s_wait_dscnt 0x0
	ds_store_b64 v28, v[16:17]
.LBB91_43:                              ;   in Loop: Header=BB91_4 Depth=1
	s_or_b32 exec_lo, exec_lo, s39
	s_wait_dscnt 0x0
	s_barrier_signal -1
	s_barrier_wait -1
	ds_load_2addr_b64 v[16:19], v25 offset1:8
	ds_load_b64 v[32:33], v23
	ds_load_b64 v[34:35], v28
	;; [unrolled: 1-line block ×4, first 2 shown]
	s_cmp_ge_u32 s36, s38
	s_cselect_b32 s38, -1, 0
	s_delay_alu instid0(SALU_CYCLE_1) | instskip(NEXT) | instid1(SALU_CYCLE_1)
	s_and_b32 s38, s1, s38
	s_nor_b32 s39, s38, s4
	s_wait_dscnt 0x3
	v_fma_f64 v[32:33], v[32:33], v[16:17], 0
	s_wait_dscnt 0x2
	s_delay_alu instid0(VALU_DEP_1) | instskip(SKIP_3) | instid1(VALU_DEP_1)
	v_fmac_f64_e32 v[32:33], v[34:35], v[18:19]
	ds_load_2addr_b64 v[16:19], v25 offset0:16 offset1:24
	s_wait_dscnt 0x0
	v_fmac_f64_e32 v[32:33], v[36:37], v[16:17]
	v_fmac_f64_e32 v[32:33], v[38:39], v[18:19]
	ds_store_b64 v26, v[32:33]
	s_wait_dscnt 0x0
	s_barrier_signal -1
	s_barrier_wait -1
	s_and_saveexec_b32 s38, s39
	s_cbranch_execz .LBB91_2
; %bb.44:                               ;   in Loop: Header=BB91_4 Depth=1
	ds_load_2addr_b64 v[16:19], v27 offset1:32
	v_cmp_neq_f64_e32 vcc_lo, 0, v[10:11]
	s_wait_dscnt 0x0
	v_add_f64_e32 v[16:17], 0, v[16:17]
	s_delay_alu instid0(VALU_DEP_1) | instskip(SKIP_3) | instid1(VALU_DEP_1)
	v_add_f64_e32 v[32:33], v[16:17], v[18:19]
	ds_load_2addr_b64 v[16:19], v27 offset0:64 offset1:96
	s_wait_dscnt 0x0
	v_add_f64_e32 v[16:17], v[32:33], v[16:17]
	v_add_f64_e32 v[32:33], v[16:17], v[18:19]
	ds_load_2addr_b64 v[16:19], v27 offset0:128 offset1:160
	s_wait_dscnt 0x0
	v_add_f64_e32 v[16:17], v[32:33], v[16:17]
	s_delay_alu instid0(VALU_DEP_1) | instskip(SKIP_3) | instid1(VALU_DEP_1)
	v_add_f64_e32 v[32:33], v[16:17], v[18:19]
	ds_load_2addr_b64 v[16:19], v27 offset0:192 offset1:224
	s_wait_dscnt 0x0
	v_add_f64_e32 v[16:17], v[32:33], v[16:17]
	v_add_f64_e32 v[16:17], v[16:17], v[18:19]
	s_delay_alu instid0(VALU_DEP_1) | instskip(SKIP_2) | instid1(VALU_DEP_2)
	v_mul_f64_e32 v[18:19], v[12:13], v[16:17]
	v_fmac_f64_e32 v[14:15], v[12:13], v[16:17]
	v_lshl_add_u64 v[12:13], v[0:1], 3, s[2:3]
	v_dual_cndmask_b32 v11, v19, v15 :: v_dual_cndmask_b32 v10, v18, v14
	global_store_b64 v[12:13], v[10:11], off
	s_branch .LBB91_2
.LBB91_45:                              ;   in Loop: Header=BB91_4 Depth=1
	ds_load_b64 v[10:11], v20
	s_mul_u64 s[2:3], s[10:11], s[28:29]
	s_wait_dscnt 0x0
	v_lshl_add_u64 v[10:11], s[2:3], 3, v[10:11]
	flat_load_b64 v[12:13], v[10:11]
	s_cbranch_execnz .LBB91_6
.LBB91_46:                              ;   in Loop: Header=BB91_4 Depth=1
	s_wait_loadcnt_dscnt 0x0
	ds_load_b64 v[12:13], v20
	s_and_b32 vcc_lo, exec_lo, s33
	s_mov_b32 s2, -1
                                        ; implicit-def: $vgpr10_vgpr11
	s_cbranch_vccz .LBB91_7
.LBB91_47:                              ;   in Loop: Header=BB91_4 Depth=1
	s_wait_xcnt 0x0
	ds_load_b64 v[10:11], v21
	s_mul_u64 s[2:3], s[30:31], s[28:29]
	s_wait_dscnt 0x0
	v_lshl_add_u64 v[10:11], s[2:3], 3, v[10:11]
	flat_load_b64 v[10:11], v[10:11]
	s_cbranch_execz .LBB91_8
	s_branch .LBB91_9
.LBB91_48:                              ;   in Loop: Header=BB91_4 Depth=1
	ds_load_b64 v[16:17], v24 offset:128
	s_wait_dscnt 0x0
	ds_store_b64 v23, v[16:17] offset:4096
	s_or_b32 exec_lo, exec_lo, s39
	s_and_saveexec_b32 s39, s7
	s_cbranch_execz .LBB91_40
.LBB91_49:                              ;   in Loop: Header=BB91_4 Depth=1
	ds_load_b64 v[16:17], v24 offset:192
	s_wait_dscnt 0x0
	ds_store_b64 v23, v[16:17] offset:6144
	s_or_b32 exec_lo, exec_lo, s39
	s_and_saveexec_b32 s39, s25
	s_cbranch_execz .LBB91_41
.LBB91_50:                              ;   in Loop: Header=BB91_4 Depth=1
	ds_load_b64 v[16:17], v24
	s_wait_dscnt 0x0
	ds_store_b64 v23, v[16:17]
	s_or_b32 exec_lo, exec_lo, s39
	s_and_saveexec_b32 s39, s8
	s_cbranch_execnz .LBB91_42
	s_branch .LBB91_43
.LBB91_51:
	s_endpgm
	.section	.rodata,"a",@progbits
	.p2align	6, 0x0
	.amdhsa_kernel _ZL58rocblas_symv_kernel_upper_double_buffered_diagonal_genericILi32ELi8E24rocblas_internal_val_ptrIdEPKdPdEvbiT1_lT2_lllS6_lllS5_lT3_lllii
		.amdhsa_group_segment_fixed_size 16640
		.amdhsa_private_segment_fixed_size 0
		.amdhsa_kernarg_size 400
		.amdhsa_user_sgpr_count 4
		.amdhsa_user_sgpr_dispatch_ptr 1
		.amdhsa_user_sgpr_queue_ptr 0
		.amdhsa_user_sgpr_kernarg_segment_ptr 1
		.amdhsa_user_sgpr_dispatch_id 0
		.amdhsa_user_sgpr_kernarg_preload_length 0
		.amdhsa_user_sgpr_kernarg_preload_offset 0
		.amdhsa_user_sgpr_private_segment_size 0
		.amdhsa_wavefront_size32 1
		.amdhsa_uses_dynamic_stack 0
		.amdhsa_enable_private_segment 0
		.amdhsa_system_sgpr_workgroup_id_x 1
		.amdhsa_system_sgpr_workgroup_id_y 0
		.amdhsa_system_sgpr_workgroup_id_z 1
		.amdhsa_system_sgpr_workgroup_info 0
		.amdhsa_system_vgpr_workitem_id 2
		.amdhsa_next_free_vgpr 44
		.amdhsa_next_free_sgpr 51
		.amdhsa_named_barrier_count 0
		.amdhsa_reserve_vcc 1
		.amdhsa_float_round_mode_32 0
		.amdhsa_float_round_mode_16_64 0
		.amdhsa_float_denorm_mode_32 3
		.amdhsa_float_denorm_mode_16_64 3
		.amdhsa_fp16_overflow 0
		.amdhsa_memory_ordered 1
		.amdhsa_forward_progress 1
		.amdhsa_inst_pref_size 17
		.amdhsa_round_robin_scheduling 0
		.amdhsa_exception_fp_ieee_invalid_op 0
		.amdhsa_exception_fp_denorm_src 0
		.amdhsa_exception_fp_ieee_div_zero 0
		.amdhsa_exception_fp_ieee_overflow 0
		.amdhsa_exception_fp_ieee_underflow 0
		.amdhsa_exception_fp_ieee_inexact 0
		.amdhsa_exception_int_div_zero 0
	.end_amdhsa_kernel
	.section	.text._ZL58rocblas_symv_kernel_upper_double_buffered_diagonal_genericILi32ELi8E24rocblas_internal_val_ptrIdEPKdPdEvbiT1_lT2_lllS6_lllS5_lT3_lllii,"axG",@progbits,_ZL58rocblas_symv_kernel_upper_double_buffered_diagonal_genericILi32ELi8E24rocblas_internal_val_ptrIdEPKdPdEvbiT1_lT2_lllS6_lllS5_lT3_lllii,comdat
.Lfunc_end91:
	.size	_ZL58rocblas_symv_kernel_upper_double_buffered_diagonal_genericILi32ELi8E24rocblas_internal_val_ptrIdEPKdPdEvbiT1_lT2_lllS6_lllS5_lT3_lllii, .Lfunc_end91-_ZL58rocblas_symv_kernel_upper_double_buffered_diagonal_genericILi32ELi8E24rocblas_internal_val_ptrIdEPKdPdEvbiT1_lT2_lllS6_lllS5_lT3_lllii
                                        ; -- End function
	.set _ZL58rocblas_symv_kernel_upper_double_buffered_diagonal_genericILi32ELi8E24rocblas_internal_val_ptrIdEPKdPdEvbiT1_lT2_lllS6_lllS5_lT3_lllii.num_vgpr, 44
	.set _ZL58rocblas_symv_kernel_upper_double_buffered_diagonal_genericILi32ELi8E24rocblas_internal_val_ptrIdEPKdPdEvbiT1_lT2_lllS6_lllS5_lT3_lllii.num_agpr, 0
	.set _ZL58rocblas_symv_kernel_upper_double_buffered_diagonal_genericILi32ELi8E24rocblas_internal_val_ptrIdEPKdPdEvbiT1_lT2_lllS6_lllS5_lT3_lllii.numbered_sgpr, 51
	.set _ZL58rocblas_symv_kernel_upper_double_buffered_diagonal_genericILi32ELi8E24rocblas_internal_val_ptrIdEPKdPdEvbiT1_lT2_lllS6_lllS5_lT3_lllii.num_named_barrier, 0
	.set _ZL58rocblas_symv_kernel_upper_double_buffered_diagonal_genericILi32ELi8E24rocblas_internal_val_ptrIdEPKdPdEvbiT1_lT2_lllS6_lllS5_lT3_lllii.private_seg_size, 0
	.set _ZL58rocblas_symv_kernel_upper_double_buffered_diagonal_genericILi32ELi8E24rocblas_internal_val_ptrIdEPKdPdEvbiT1_lT2_lllS6_lllS5_lT3_lllii.uses_vcc, 1
	.set _ZL58rocblas_symv_kernel_upper_double_buffered_diagonal_genericILi32ELi8E24rocblas_internal_val_ptrIdEPKdPdEvbiT1_lT2_lllS6_lllS5_lT3_lllii.uses_flat_scratch, 0
	.set _ZL58rocblas_symv_kernel_upper_double_buffered_diagonal_genericILi32ELi8E24rocblas_internal_val_ptrIdEPKdPdEvbiT1_lT2_lllS6_lllS5_lT3_lllii.has_dyn_sized_stack, 0
	.set _ZL58rocblas_symv_kernel_upper_double_buffered_diagonal_genericILi32ELi8E24rocblas_internal_val_ptrIdEPKdPdEvbiT1_lT2_lllS6_lllS5_lT3_lllii.has_recursion, 0
	.set _ZL58rocblas_symv_kernel_upper_double_buffered_diagonal_genericILi32ELi8E24rocblas_internal_val_ptrIdEPKdPdEvbiT1_lT2_lllS6_lllS5_lT3_lllii.has_indirect_call, 0
	.section	.AMDGPU.csdata,"",@progbits
; Kernel info:
; codeLenInByte = 2088
; TotalNumSgprs: 53
; NumVgprs: 44
; ScratchSize: 0
; MemoryBound: 0
; FloatMode: 240
; IeeeMode: 1
; LDSByteSize: 16640 bytes/workgroup (compile time only)
; SGPRBlocks: 0
; VGPRBlocks: 2
; NumSGPRsForWavesPerEU: 53
; NumVGPRsForWavesPerEU: 44
; NamedBarCnt: 0
; Occupancy: 16
; WaveLimiterHint : 1
; COMPUTE_PGM_RSRC2:SCRATCH_EN: 0
; COMPUTE_PGM_RSRC2:USER_SGPR: 4
; COMPUTE_PGM_RSRC2:TRAP_HANDLER: 0
; COMPUTE_PGM_RSRC2:TGID_X_EN: 1
; COMPUTE_PGM_RSRC2:TGID_Y_EN: 0
; COMPUTE_PGM_RSRC2:TGID_Z_EN: 1
; COMPUTE_PGM_RSRC2:TIDIG_COMP_CNT: 2
	.section	.text._ZL62rocblas_symv_kernel_upper_double_buffered_non_diagonal_genericILi32ELi8ELi2ELi0E24rocblas_internal_val_ptrIdEPKdPdEvbiT3_lT4_lllS6_lllT5_lllii,"axG",@progbits,_ZL62rocblas_symv_kernel_upper_double_buffered_non_diagonal_genericILi32ELi8ELi2ELi0E24rocblas_internal_val_ptrIdEPKdPdEvbiT3_lT4_lllS6_lllT5_lllii,comdat
	.globl	_ZL62rocblas_symv_kernel_upper_double_buffered_non_diagonal_genericILi32ELi8ELi2ELi0E24rocblas_internal_val_ptrIdEPKdPdEvbiT3_lT4_lllS6_lllT5_lllii ; -- Begin function _ZL62rocblas_symv_kernel_upper_double_buffered_non_diagonal_genericILi32ELi8ELi2ELi0E24rocblas_internal_val_ptrIdEPKdPdEvbiT3_lT4_lllS6_lllT5_lllii
	.p2align	8
	.type	_ZL62rocblas_symv_kernel_upper_double_buffered_non_diagonal_genericILi32ELi8ELi2ELi0E24rocblas_internal_val_ptrIdEPKdPdEvbiT3_lT4_lllS6_lllT5_lllii,@function
_ZL62rocblas_symv_kernel_upper_double_buffered_non_diagonal_genericILi32ELi8ELi2ELi0E24rocblas_internal_val_ptrIdEPKdPdEvbiT3_lT4_lllS6_lllT5_lllii: ; @_ZL62rocblas_symv_kernel_upper_double_buffered_non_diagonal_genericILi32ELi8ELi2ELi0E24rocblas_internal_val_ptrIdEPKdPdEvbiT3_lT4_lllS6_lllT5_lllii
; %bb.0:
	s_load_b64 s[20:21], s[0:1], 0x4
	s_load_b512 s[4:19], s[2:3], 0x8
	v_bfe_u32 v1, v0, 10, 10
	s_load_b64 s[28:29], s[2:3], 0x78
	v_and_b32_e32 v2, 0x3ff, v0
	s_wait_xcnt 0x0
	s_lshr_b32 s1, ttmp7, 16
	v_bfe_u32 v0, v0, 20, 10
	s_wait_kmcnt 0x0
	v_mul_u32_u24_e32 v3, s21, v1
	s_lshr_b32 s0, s20, 16
	v_dual_mov_b32 v4, s4 :: v_dual_mov_b32 v5, s5
	s_mul_i32 s0, s0, s21
	s_bfe_u32 s5, ttmp6, 0x40008
	v_mad_u32 v3, s0, v2, v3
	s_bfe_u32 s0, ttmp6, 0x40014
	s_delay_alu instid0(SALU_CYCLE_1) | instskip(NEXT) | instid1(SALU_CYCLE_1)
	s_add_co_i32 s0, s0, 1
	s_mul_i32 s4, s1, s0
	s_getreg_b32 s0, hwreg(HW_REG_IB_STS2, 6, 4)
	s_add_co_i32 s5, s5, s4
	s_cmp_eq_u32 s0, 0
	s_cselect_b32 s4, s1, s5
	s_delay_alu instid0(VALU_DEP_1)
	v_add_lshl_u32 v0, v3, v0, 3
	s_cmp_ge_u32 s4, s29
	s_mov_b32 s5, 0
	ds_store_b64 v0, v[4:5] offset:8448
	s_cbranch_scc1 .LBB92_44
; %bb.1:
	s_clause 0x2
	s_load_b32 s1, s[2:3], 0x0
	s_load_b128 s[20:23], s[2:3], 0x60
	s_load_b64 s[34:35], s[2:3], 0x58
	v_lshl_add_u32 v8, v1, 5, v2
	v_add_nc_u32_e32 v64, 0x2100, v0
	v_dual_mov_b32 v0, 0 :: v_dual_bitop2_b32 v4, 15, v2 bitop3:0x40
	s_clause 0x1
	s_load_b128 s[24:27], s[2:3], 0x48
	s_load_b64 s[30:31], s[2:3], 0x70
	v_lshrrev_b32_e32 v9, 4, v8
	v_and_b32_e32 v8, 0xfff0, v8
	v_dual_mov_b32 v7, v0 :: v_dual_bitop2_b32 v6, 16, v4 bitop3:0x54
	v_dual_mov_b32 v5, v0 :: v_dual_mov_b32 v3, v0
	s_delay_alu instid0(VALU_DEP_4) | instskip(SKIP_2) | instid1(VALU_DEP_3)
	v_dual_lshlrev_b32 v10, 1, v9 :: v_dual_lshlrev_b32 v14, 3, v4
	v_dual_lshlrev_b32 v65, 3, v2 :: v_dual_lshlrev_b32 v66, 8, v9
	v_add_nc_u32_e32 v70, 0x2000, v8
	v_mad_nc_u64_u32 v[16:17], s12, v10, v[4:5]
	s_wait_kmcnt 0x0
	s_bitcmp1_b32 s1, 0
	v_mul_u64_e32 v[24:25], s[22:23], v[2:3]
	s_cselect_b32 s1, -1, 0
	s_lshl_b64 s[36:37], s[20:21], 3
	s_lshl_b64 s[44:45], s[10:11], 3
	s_bfe_u32 s11, ttmp6, 0x4000c
	s_bfe_u32 s20, ttmp6, 0x40010
	s_and_b32 s21, ttmp7, 0xffff
	s_add_co_i32 s11, s11, 1
	s_add_co_i32 s20, s20, 1
	s_and_b32 s10, ttmp6, 15
	s_bfe_u32 s38, ttmp6, 0x40004
	s_xor_b32 s33, s1, -1
	s_mul_i32 s1, ttmp9, s11
	s_mul_i32 s11, s21, s20
	s_lshl_b64 s[18:19], s[18:19], 3
	s_add_co_i32 s1, s10, s1
	s_add_co_i32 s38, s38, s11
	s_cmp_eq_u32 s0, 0
	s_add_nc_u64 s[34:35], s[34:35], s[36:37]
	s_cselect_b32 s20, ttmp9, s1
	s_cselect_b32 s66, s21, s38
	s_lshl_b32 s42, s20, 5
	s_add_nc_u64 s[0:1], s[8:9], s[44:45]
	s_ashr_i32 s43, s42, 31
	v_mul_u64_e32 v[18:19], s[24:25], v[2:3]
	s_mul_u64 s[36:37], s[12:13], s[42:43]
	v_mad_u32 v17, s13, v10, v17
	s_lshl_b64 s[46:47], s[36:37], 3
	v_mul_u64_e32 v[20:21], s[24:25], v[4:5]
	s_add_nc_u64 s[36:37], s[0:1], s[46:47]
	v_cmp_eq_u32_e64 s0, 0, v1
	v_or_b32_e32 v1, 0x1000, v14
	v_or_b32_e32 v68, v14, v66
	v_lshl_add_u32 v10, v2, 7, 0x1000
	v_dual_add_nc_u32 v3, 2, v2 :: v_dual_add_nc_u32 v4, 3, v2
	s_delay_alu instid0(VALU_DEP_4) | instskip(SKIP_1) | instid1(VALU_DEP_3)
	v_add_nc_u32_e32 v69, v1, v66
	v_dual_add_nc_u32 v1, 1, v2 :: v_dual_add_nc_u32 v5, 4, v2
	v_and_b32_e32 v3, 15, v3
	s_lshl_b32 s67, s66, 5
	s_cmp_lg_u32 s20, 0
	s_delay_alu instid0(VALU_DEP_2)
	v_and_b32_e32 v1, 15, v1
	s_cselect_b32 s68, -1, 0
	s_lshr_b32 s21, s28, 31
	v_and_b32_e32 v5, 15, v5
	v_lshl_or_b32 v73, v3, 3, v10
	v_lshl_or_b32 v72, v1, 3, v10
	v_dual_add_nc_u32 v4, 5, v2 :: v_dual_bitop2_b32 v1, 15, v4 bitop3:0x40
	v_add_nc_u32_e32 v3, 6, v2
	s_add_co_i32 s21, s28, s21
	v_cmp_gt_i32_e64 s1, s28, v2
	s_delay_alu instid0(VALU_DEP_3)
	v_lshl_or_b32 v74, v1, 3, v10
	v_dual_add_nc_u32 v4, 7, v2 :: v_dual_bitop2_b32 v1, 15, v4 bitop3:0x40
	s_ashr_i32 s21, s21, 1
	v_and_b32_e32 v3, 15, v3
	v_cmp_gt_i32_e64 s28, s21, v9
	v_mov_b32_e32 v9, v0
	v_lshl_or_b32 v76, v1, 3, v10
	v_add_nc_u32_e32 v1, 9, v2
	v_mul_u64_e32 v[22:23], s[24:25], v[6:7]
	v_lshl_or_b32 v75, v5, 3, v10
	v_and_b32_e32 v6, 15, v4
	v_lshl_add_u64 v[4:5], s[42:43], 3, v[8:9]
	v_and_b32_e32 v1, 15, v1
	v_lshl_or_b32 v77, v3, 3, v10
	v_bitop3_b32 v3, v2, 8, 15 bitop3:0x6c
	s_delay_alu instid0(VALU_DEP_4) | instskip(NEXT) | instid1(VALU_DEP_4)
	v_dual_add_nc_u32 v11, 12, v2 :: v_dual_bitop2_b32 v7, 8, v4 bitop3:0x54
	v_lshl_or_b32 v80, v1, 3, v10
	v_add_nc_u32_e32 v1, 11, v2
	v_lshl_or_b32 v78, v6, 3, v10
	v_add_nc_u32_e32 v6, 10, v2
	v_lshl_or_b32 v79, v3, 3, v10
	v_mul_lo_u32 v8, s13, v7
	v_mul_lo_u32 v9, s12, v5
	;; [unrolled: 1-line block ×3, first 2 shown]
	v_dual_mov_b32 v31, v0 :: v_dual_bitop2_b32 v3, 15, v6 bitop3:0x40
	v_mad_nc_u64_u32 v[6:7], s12, v7, s[44:45]
	v_mad_nc_u64_u32 v[4:5], s12, v4, s[44:45]
	v_and_b32_e32 v1, 15, v1
	v_dual_mov_b32 v15, v0 :: v_dual_bitop2_b32 v71, v10, v14 bitop3:0x54
	v_lshl_or_b32 v81, v3, 3, v10
	v_add_nc_u32_e32 v3, 13, v2
	s_delay_alu instid0(VALU_DEP_4)
	v_lshl_or_b32 v82, v1, 3, v10
	v_dual_add_nc_u32 v11, 14, v2 :: v_dual_bitop2_b32 v1, 15, v11 bitop3:0x40
	v_add_nc_u32_e32 v2, -1, v2
	v_add3_u32 v7, v8, v7, v9
	v_add3_u32 v5, v12, v5, v9
	v_and_b32_e32 v8, 15, v3
	v_dual_mov_b32 v33, v0 :: v_dual_bitop2_b32 v11, 15, v11 bitop3:0x40
	v_and_b32_e32 v9, 15, v2
	v_add_nc_u64_e32 v[2:3], v[6:7], v[14:15]
	v_add_nc_u64_e32 v[4:5], v[4:5], v[14:15]
	v_mov_b64_e32 v[34:35], 0
	v_or_b32_e32 v67, 0x2000, v65
	v_lshl_or_b32 v83, v1, 3, v10
	v_lshl_or_b32 v84, v8, 3, v10
	;; [unrolled: 1-line block ×3, first 2 shown]
	v_add_nc_u64_e32 v[26:27], s[8:9], v[2:3]
	v_add_nc_u64_e32 v[28:29], s[8:9], v[4:5]
	v_lshl_or_b32 v85, v9, 3, v10
	v_or_b32_e32 v30, 0x80, v14
	v_or_b32_e32 v32, 0x100, v14
	s_mul_u64 s[48:49], s[24:25], s[42:43]
	s_mul_u64 s[50:51], s[22:23], s[42:43]
	s_add_nc_u64 s[44:45], s[46:47], s[44:45]
	s_add_nc_u64 s[2:3], s[2:3], 0x80
	;; [unrolled: 1-line block ×3, first 2 shown]
	s_lshl_b64 s[38:39], s[24:25], 8
	s_lshl_b64 s[40:41], s[22:23], 8
	s_mov_b32 s21, s5
	s_lshl_b64 s[42:43], s[14:15], 3
	s_add_nc_u64 s[8:9], s[8:9], s[44:45]
	s_lshl_b64 s[44:45], s[26:27], 3
	s_lshl_b64 s[46:47], s[24:25], 3
	;; [unrolled: 1-line block ×4, first 2 shown]
	s_branch .LBB92_3
.LBB92_2:                               ;   in Loop: Header=BB92_3 Depth=1
	s_wait_xcnt 0x0
	s_or_b32 exec_lo, exec_lo, s69
	s_add_co_i32 s4, s4, 0x10000
	s_delay_alu instid0(SALU_CYCLE_1)
	s_cmp_lt_u32 s4, s29
	s_cbranch_scc0 .LBB92_44
.LBB92_3:                               ; =>This Loop Header: Depth=1
                                        ;     Child Loop BB92_27 Depth 2
	s_and_b32 vcc_lo, exec_lo, s33
	s_mov_b32 s52, -1
                                        ; implicit-def: $vgpr36_vgpr37
	s_cbranch_vccz .LBB92_5
; %bb.4:                                ;   in Loop: Header=BB92_3 Depth=1
	ds_load_b64 v[2:3], v64
	s_mul_u64 s[52:53], s[6:7], s[4:5]
	s_wait_dscnt 0x0
	v_lshl_add_u64 v[2:3], s[52:53], 3, v[2:3]
	s_mov_b32 s52, 0
	flat_load_b64 v[36:37], v[2:3]
.LBB92_5:                               ;   in Loop: Header=BB92_3 Depth=1
	s_and_not1_b32 vcc_lo, exec_lo, s52
	s_cbranch_vccnz .LBB92_7
; %bb.6:                                ;   in Loop: Header=BB92_3 Depth=1
	s_wait_loadcnt_dscnt 0x0
	ds_load_b64 v[36:37], v64
.LBB92_7:                               ;   in Loop: Header=BB92_3 Depth=1
	s_mov_b32 s69, exec_lo
	s_wait_loadcnt_dscnt 0x0
	s_wait_xcnt 0x0
	v_cmpx_neq_f64_e32 0, v[36:37]
	s_cbranch_execz .LBB92_2
; %bb.8:                                ;   in Loop: Header=BB92_3 Depth=1
	s_and_not1_b32 vcc_lo, exec_lo, s68
	s_cbranch_vccnz .LBB92_2
; %bb.9:                                ;   in Loop: Header=BB92_3 Depth=1
	s_load_b32 s52, s[2:3], 0x4
	s_mov_b32 s55, s5
	s_wait_kmcnt 0x0
	s_cvt_f32_u32 s53, s52
	s_sub_co_i32 s54, 0, s52
	s_delay_alu instid0(SALU_CYCLE_2) | instskip(SKIP_1) | instid1(TRANS32_DEP_1)
	v_rcp_iflag_f32_e32 v1, s53
	v_nop
	v_readfirstlane_b32 s53, v1
	s_mul_f32 s53, s53, 0x4f7ffffe
	s_delay_alu instid0(SALU_CYCLE_3) | instskip(NEXT) | instid1(SALU_CYCLE_3)
	s_cvt_u32_f32 s53, s53
	s_mul_i32 s54, s54, s53
	s_delay_alu instid0(SALU_CYCLE_1) | instskip(NEXT) | instid1(SALU_CYCLE_1)
	s_mul_hi_u32 s54, s53, s54
	s_add_co_i32 s54, s53, s54
	s_delay_alu instid0(SALU_CYCLE_1) | instskip(NEXT) | instid1(SALU_CYCLE_1)
	s_mul_u64 s[54:55], s[20:21], s[54:55]
	s_mul_i32 s53, s55, s52
	s_add_co_i32 s54, s55, 1
	s_sub_co_i32 s53, s20, s53
	s_delay_alu instid0(SALU_CYCLE_1)
	s_sub_co_i32 s56, s53, s52
	s_cmp_ge_u32 s53, s52
	s_cselect_b32 s54, s54, s55
	s_cselect_b32 s53, s56, s53
	s_add_co_i32 s55, s54, 1
	s_cmp_ge_u32 s53, s52
	s_cselect_b32 s54, s55, s54
	s_add_co_i32 s53, s52, -1
	s_mov_b32 s72, s54
	s_cmp_lg_u32 s66, s53
	s_cbranch_scc1 .LBB92_11
; %bb.10:                               ;   in Loop: Header=BB92_3 Depth=1
	s_mul_i32 s52, s54, s52
	s_delay_alu instid0(SALU_CYCLE_1) | instskip(NEXT) | instid1(SALU_CYCLE_1)
	s_sub_co_i32 s52, s20, s52
	s_add_co_i32 s72, s52, s54
.LBB92_11:                              ;   in Loop: Header=BB92_3 Depth=1
	s_delay_alu instid0(SALU_CYCLE_1)
	s_cmp_eq_u32 s72, 0
	s_cbranch_scc1 .LBB92_2
; %bb.12:                               ;   in Loop: Header=BB92_3 Depth=1
	s_load_b32 s70, s[2:3], 0x0
	s_mul_u64 s[52:53], s[26:27], s[4:5]
	s_mov_b32 s71, -1
	s_lshl_b64 s[52:53], s[52:53], 3
	s_mov_b32 s55, -1
	s_add_nc_u64 s[56:57], s[10:11], s[52:53]
	s_delay_alu instid0(SALU_CYCLE_1) | instskip(SKIP_2) | instid1(SALU_CYCLE_1)
	s_add_nc_u64 s[52:53], s[56:57], s[48:49]
	s_wait_kmcnt 0x0
	s_add_co_i32 s70, s70, -1
	s_cmp_lg_u32 s20, s70
	s_cbranch_scc0 .LBB92_16
; %bb.13:                               ;   in Loop: Header=BB92_3 Depth=1
	s_and_saveexec_b32 s55, s0
	s_cbranch_execz .LBB92_15
; %bb.14:                               ;   in Loop: Header=BB92_3 Depth=1
	v_lshl_add_u64 v[2:3], v[18:19], 3, s[52:53]
	global_load_b64 v[2:3], v[2:3], off
	s_wait_loadcnt 0x0
	ds_store_b64 v67, v[2:3]
.LBB92_15:                              ;   in Loop: Header=BB92_3 Depth=1
	s_wait_xcnt 0x0
	s_or_b32 exec_lo, exec_lo, s55
	s_mov_b32 s55, 0
.LBB92_16:                              ;   in Loop: Header=BB92_3 Depth=1
	s_delay_alu instid0(SALU_CYCLE_1)
	s_and_not1_b32 vcc_lo, exec_lo, s55
	s_cbranch_vccnz .LBB92_22
; %bb.17:                               ;   in Loop: Header=BB92_3 Depth=1
	s_and_saveexec_b32 s55, s0
	s_cbranch_execz .LBB92_21
; %bb.18:                               ;   in Loop: Header=BB92_3 Depth=1
	v_mov_b64_e32 v[2:3], 0
	s_and_saveexec_b32 s58, s1
	s_cbranch_execz .LBB92_20
; %bb.19:                               ;   in Loop: Header=BB92_3 Depth=1
	v_lshl_add_u64 v[2:3], v[18:19], 3, s[52:53]
	global_load_b64 v[2:3], v[2:3], off
.LBB92_20:                              ;   in Loop: Header=BB92_3 Depth=1
	s_wait_xcnt 0x0
	s_or_b32 exec_lo, exec_lo, s58
	s_wait_loadcnt 0x0
	ds_store_b64 v67, v[2:3]
.LBB92_21:                              ;   in Loop: Header=BB92_3 Depth=1
	s_or_b32 exec_lo, exec_lo, s55
	s_mov_b32 s71, s28
	ds_store_2addr_b64 v68, v[34:35], v[34:35] offset1:16
	ds_store_2addr_b64 v69, v[34:35], v[34:35] offset1:16
.LBB92_22:                              ;   in Loop: Header=BB92_3 Depth=1
	v_dual_mov_b32 v1, v0 :: v_dual_mov_b32 v2, v0
	v_mov_b32_e32 v3, v0
	s_mul_u64 s[52:53], s[14:15], s[4:5]
	s_mul_i32 s58, s67, s54
	s_lshl_b64 s[52:53], s[52:53], 3
	s_ashr_i32 s59, s58, 31
	v_mov_b64_e32 v[4:5], v[2:3]
	v_mov_b64_e32 v[2:3], v[0:1]
	s_add_nc_u64 s[52:53], s[36:37], s[52:53]
	s_lshl_b64 s[54:55], s[58:59], 3
	s_wait_dscnt 0x0
	s_add_nc_u64 s[60:61], s[52:53], s[54:55]
	s_barrier_signal -1
	s_barrier_wait -1
	s_and_saveexec_b32 s52, s71
	s_cbranch_execz .LBB92_24
; %bb.23:                               ;   in Loop: Header=BB92_3 Depth=1
	v_lshl_add_u64 v[2:3], v[16:17], 3, s[60:61]
	s_delay_alu instid0(VALU_DEP_1)
	v_lshl_add_u64 v[4:5], s[12:13], 3, v[2:3]
	s_clause 0x1
	global_load_b64 v[2:3], v[2:3], off
	global_load_b64 v[4:5], v[4:5], off
.LBB92_24:                              ;   in Loop: Header=BB92_3 Depth=1
	s_wait_xcnt 0x0
	s_or_b32 exec_lo, exec_lo, s52
	s_mul_u64 s[52:53], s[30:31], s[4:5]
	s_delay_alu instid0(SALU_CYCLE_1)
	s_lshl_b64 s[52:53], s[52:53], 3
	s_cmp_lt_i32 s72, 1
	s_add_nc_u64 s[52:53], s[34:35], s[52:53]
	s_cbranch_scc1 .LBB92_35
; %bb.25:                               ;   in Loop: Header=BB92_3 Depth=1
	s_mul_u64 s[62:63], s[24:25], s[58:59]
	v_mov_b64_e32 v[42:43], 0
	s_lshl_b64 s[62:63], s[62:63], 3
	s_delay_alu instid0(SALU_CYCLE_1)
	s_add_nc_u64 s[64:65], s[56:57], s[62:63]
	s_mul_u64 s[56:57], s[22:23], s[58:59]
	v_lshl_add_u64 v[6:7], v[20:21], 3, s[64:65]
	s_lshl_b64 s[56:57], s[56:57], 3
	s_cmp_eq_u32 s72, 1
	s_add_nc_u64 s[62:63], s[52:53], s[56:57]
	global_load_b64 v[50:51], v[6:7], off
	s_cbranch_scc1 .LBB92_36
; %bb.26:                               ;   in Loop: Header=BB92_3 Depth=1
	s_wait_xcnt 0x0
	v_add_nc_u64_e32 v[6:7], s[54:55], v[30:31]
	v_add_nc_u64_e32 v[8:9], s[54:55], v[32:33]
	s_mul_u64 s[60:61], s[44:45], s[4:5]
	v_mov_b64_e32 v[38:39], 0
	s_add_nc_u64 s[56:57], s[16:17], s[60:61]
	v_mov_b64_e32 v[40:41], 0
	v_mov_b64_e32 v[44:45], 0
	v_mad_nc_u64_u32 v[52:53], s24, v6, s[56:57]
	v_mad_nc_u64_u32 v[54:55], s24, v8, s[56:57]
	s_mul_u64 s[56:57], s[42:43], s[4:5]
	v_mov_b64_e32 v[42:43], 0
	v_add_nc_u64_e32 v[56:57], s[56:57], v[26:27]
	v_add_nc_u64_e32 v[58:59], s[56:57], v[28:29]
	v_mov_b64_e32 v[46:47], s[62:63]
	s_mul_u64 s[58:59], s[46:47], s[58:59]
	s_add_nc_u64 s[56:57], s[8:9], s[56:57]
	s_add_nc_u64 s[58:59], s[58:59], s[60:61]
	s_add_co_i32 s60, s72, -1
	v_mad_u32 v1, s25, v6, v53
	v_mad_u32 v6, s25, v8, v55
	s_add_nc_u64 s[58:59], s[16:17], s[58:59]
	s_delay_alu instid0(VALU_DEP_2) | instskip(NEXT) | instid1(VALU_DEP_2)
	v_mad_u32 v53, s24, v7, v1
	v_mad_u32 v55, s24, v9, v6
.LBB92_27:                              ;   Parent Loop BB92_3 Depth=1
                                        ; =>  This Inner Loop Header: Depth=2
	s_delay_alu instid0(VALU_DEP_2)
	v_add_nc_u64_e32 v[6:7], s[18:19], v[52:53]
	v_add_nc_u64_e32 v[48:49], s[54:55], v[58:59]
	;; [unrolled: 1-line block ×3, first 2 shown]
	global_load_b64 v[60:61], v[6:7], off
	s_wait_xcnt 0x0
	s_and_saveexec_b32 s61, s71
	s_cbranch_execz .LBB92_29
; %bb.28:                               ;   in Loop: Header=BB92_27 Depth=2
	global_load_b64 v[44:45], v[48:49], off offset:128
	global_load_b64 v[42:43], v[62:63], off offset:128
.LBB92_29:                              ;   in Loop: Header=BB92_27 Depth=2
	s_wait_xcnt 0x0
	s_or_b32 exec_lo, exec_lo, s61
	ds_load_b128 v[10:13], v70
	s_wait_loadcnt 0x2
	v_mov_b64_e32 v[8:9], v[4:5]
	v_mov_b64_e32 v[6:7], v[2:3]
	s_and_saveexec_b32 s61, s71
	s_cbranch_execz .LBB92_31
; %bb.30:                               ;   in Loop: Header=BB92_27 Depth=2
	global_load_b64 v[6:7], v[48:49], off offset:256
	global_load_b64 v[8:9], v[62:63], off offset:256
.LBB92_31:                              ;   in Loop: Header=BB92_27 Depth=2
	s_wait_xcnt 0x0
	s_or_b32 exec_lo, exec_lo, s61
	v_add_nc_u64_e32 v[48:49], s[18:19], v[54:55]
	s_wait_dscnt 0x0
	v_fma_f64 v[62:63], v[2:3], v[10:11], 0
	s_wait_loadcnt 0x1
	v_fma_f64 v[10:11], v[44:45], v[10:11], 0
	v_add_nc_u32_e32 v1, v14, v66
	global_load_b64 v[48:49], v[48:49], off
	s_wait_loadcnt 0x0
	s_barrier_signal -1
	s_barrier_wait -1
	v_fmac_f64_e32 v[62:63], v[4:5], v[12:13]
	v_fmac_f64_e32 v[10:11], v[42:43], v[12:13]
	ds_store_2addr_b64 v1, v[62:63], v[10:11] offset1:16
	s_wait_dscnt 0x0
	s_barrier_signal -1
	s_barrier_wait -1
	s_wait_xcnt 0x0
	s_and_saveexec_b32 s61, s0
	s_cbranch_execz .LBB92_33
; %bb.32:                               ;   in Loop: Header=BB92_27 Depth=2
	ds_load_2addr_b64 v[10:13], v65 offset1:32
	v_add_nc_u32_e32 v1, 0x800, v65
	s_wait_dscnt 0x0
	v_add_f64_e32 v[10:11], 0, v[10:11]
	s_delay_alu instid0(VALU_DEP_1) | instskip(SKIP_3) | instid1(VALU_DEP_1)
	v_add_f64_e32 v[62:63], v[10:11], v[12:13]
	ds_load_2addr_b64 v[10:13], v65 offset0:64 offset1:96
	s_wait_dscnt 0x0
	v_add_f64_e32 v[10:11], v[62:63], v[10:11]
	v_add_f64_e32 v[62:63], v[10:11], v[12:13]
	ds_load_2addr_b64 v[10:13], v65 offset0:128 offset1:160
	s_wait_dscnt 0x0
	v_add_f64_e32 v[10:11], v[62:63], v[10:11]
	s_delay_alu instid0(VALU_DEP_1) | instskip(SKIP_3) | instid1(VALU_DEP_1)
	v_add_f64_e32 v[62:63], v[10:11], v[12:13]
	ds_load_2addr_b64 v[10:13], v65 offset0:192 offset1:224
	s_wait_dscnt 0x0
	v_add_f64_e32 v[10:11], v[62:63], v[10:11]
	v_add_f64_e32 v[62:63], v[10:11], v[12:13]
	ds_load_2addr_b64 v[10:13], v1 offset1:32
	s_wait_dscnt 0x0
	v_add_f64_e32 v[10:11], v[62:63], v[10:11]
	s_delay_alu instid0(VALU_DEP_1) | instskip(SKIP_3) | instid1(VALU_DEP_1)
	v_add_f64_e32 v[62:63], v[10:11], v[12:13]
	ds_load_2addr_b64 v[10:13], v1 offset0:64 offset1:96
	s_wait_dscnt 0x0
	v_add_f64_e32 v[10:11], v[62:63], v[10:11]
	v_add_f64_e32 v[62:63], v[10:11], v[12:13]
	ds_load_2addr_b64 v[10:13], v1 offset0:128 offset1:160
	s_wait_dscnt 0x0
	v_add_f64_e32 v[10:11], v[62:63], v[10:11]
	s_delay_alu instid0(VALU_DEP_1) | instskip(SKIP_3) | instid1(VALU_DEP_1)
	v_add_f64_e32 v[62:63], v[10:11], v[12:13]
	ds_load_2addr_b64 v[10:13], v1 offset0:192 offset1:224
	s_wait_dscnt 0x0
	v_add_f64_e32 v[10:11], v[62:63], v[10:11]
	v_add_f64_e32 v[10:11], v[10:11], v[12:13]
	v_lshl_add_u64 v[12:13], v[24:25], 3, v[46:47]
	v_add_nc_u64_e32 v[46:47], s[40:41], v[46:47]
	s_delay_alu instid0(VALU_DEP_3)
	v_mul_f64_e32 v[10:11], v[36:37], v[10:11]
	global_atomic_add_f64 v[12:13], v[10:11], off scope:SCOPE_DEV
.LBB92_33:                              ;   in Loop: Header=BB92_27 Depth=2
	s_wait_xcnt 0x0
	s_or_b32 exec_lo, exec_lo, s61
	v_fmac_f64_e32 v[38:39], v[50:51], v[2:3]
	v_fmac_f64_e32 v[40:41], v[50:51], v[4:5]
	v_add_nc_u64_e32 v[56:57], 0x100, v[56:57]
	v_add_nc_u64_e32 v[58:59], 0x100, v[58:59]
	;; [unrolled: 1-line block ×4, first 2 shown]
	s_add_co_i32 s60, s60, -1
	s_add_nc_u64 s[56:57], s[56:57], 0x100
	s_cmp_eq_u32 s60, 0
	s_add_nc_u64 s[58:59], s[58:59], s[38:39]
	v_fmac_f64_e32 v[38:39], v[60:61], v[44:45]
	v_fmac_f64_e32 v[40:41], v[60:61], v[42:43]
	s_cbranch_scc1 .LBB92_37
; %bb.34:                               ;   in Loop: Header=BB92_27 Depth=2
	v_mov_b64_e32 v[2:3], v[6:7]
	v_mov_b64_e32 v[50:51], v[48:49]
	;; [unrolled: 1-line block ×3, first 2 shown]
	s_branch .LBB92_27
.LBB92_35:                              ;   in Loop: Header=BB92_3 Depth=1
	v_mov_b64_e32 v[40:41], 0
	v_mov_b64_e32 v[38:39], 0
	s_branch .LBB92_42
.LBB92_36:                              ;   in Loop: Header=BB92_3 Depth=1
	s_wait_loadcnt 0x1
	s_wait_xcnt 0x0
	v_mov_b64_e32 v[8:9], v[4:5]
	v_mov_b64_e32 v[46:47], s[62:63]
	;; [unrolled: 1-line block ×6, first 2 shown]
	s_wait_loadcnt 0x0
	v_mov_b64_e32 v[48:49], v[50:51]
	v_lshl_add_u64 v[2:3], v[22:23], 3, s[64:65]
	global_load_b64 v[2:3], v[2:3], off
	s_wait_xcnt 0x0
	s_and_saveexec_b32 s54, s71
	s_cbranch_execnz .LBB92_38
	s_branch .LBB92_39
.LBB92_37:                              ;   in Loop: Header=BB92_3 Depth=1
	s_add_nc_u64 s[64:65], s[58:59], s[18:19]
	s_add_nc_u64 s[60:61], s[56:57], s[54:55]
	v_lshl_add_u64 v[2:3], v[22:23], 3, s[64:65]
	global_load_b64 v[2:3], v[2:3], off
	s_wait_xcnt 0x0
	s_and_saveexec_b32 s54, s71
	s_cbranch_execz .LBB92_39
.LBB92_38:                              ;   in Loop: Header=BB92_3 Depth=1
	v_lshl_add_u64 v[4:5], v[16:17], 3, s[60:61]
	s_delay_alu instid0(VALU_DEP_1)
	v_lshl_add_u64 v[10:11], s[12:13], 3, v[4:5]
	s_clause 0x1
	global_load_b64 v[44:45], v[4:5], off offset:128
	global_load_b64 v[42:43], v[10:11], off offset:128
.LBB92_39:                              ;   in Loop: Header=BB92_3 Depth=1
	s_wait_xcnt 0x0
	s_or_b32 exec_lo, exec_lo, s54
	ds_load_b128 v[10:13], v70
	v_add_nc_u32_e32 v1, v14, v66
	s_wait_storecnt 0x0
	s_wait_loadcnt_dscnt 0x0
	s_barrier_signal -1
	s_barrier_wait -1
	v_fma_f64 v[4:5], v[6:7], v[10:11], 0
	v_fma_f64 v[10:11], v[44:45], v[10:11], 0
	s_delay_alu instid0(VALU_DEP_2) | instskip(NEXT) | instid1(VALU_DEP_2)
	v_fmac_f64_e32 v[4:5], v[8:9], v[12:13]
	v_fmac_f64_e32 v[10:11], v[42:43], v[12:13]
	ds_store_2addr_b64 v1, v[4:5], v[10:11] offset1:16
	s_wait_dscnt 0x0
	s_barrier_signal -1
	s_barrier_wait -1
	s_and_saveexec_b32 s54, s0
	s_cbranch_execz .LBB92_41
; %bb.40:                               ;   in Loop: Header=BB92_3 Depth=1
	ds_load_2addr_b64 v[10:13], v65 offset1:32
	v_add_nc_u32_e32 v1, 0x800, v65
	s_wait_dscnt 0x0
	v_add_f64_e32 v[4:5], 0, v[10:11]
	s_delay_alu instid0(VALU_DEP_1) | instskip(SKIP_3) | instid1(VALU_DEP_1)
	v_add_f64_e32 v[4:5], v[4:5], v[12:13]
	ds_load_2addr_b64 v[10:13], v65 offset0:64 offset1:96
	s_wait_dscnt 0x0
	v_add_f64_e32 v[4:5], v[4:5], v[10:11]
	v_add_f64_e32 v[4:5], v[4:5], v[12:13]
	ds_load_2addr_b64 v[10:13], v65 offset0:128 offset1:160
	s_wait_dscnt 0x0
	v_add_f64_e32 v[4:5], v[4:5], v[10:11]
	s_delay_alu instid0(VALU_DEP_1) | instskip(SKIP_3) | instid1(VALU_DEP_1)
	v_add_f64_e32 v[4:5], v[4:5], v[12:13]
	ds_load_2addr_b64 v[10:13], v65 offset0:192 offset1:224
	s_wait_dscnt 0x0
	v_add_f64_e32 v[4:5], v[4:5], v[10:11]
	v_add_f64_e32 v[4:5], v[4:5], v[12:13]
	ds_load_2addr_b64 v[10:13], v1 offset1:32
	s_wait_dscnt 0x0
	v_add_f64_e32 v[4:5], v[4:5], v[10:11]
	s_delay_alu instid0(VALU_DEP_1) | instskip(SKIP_3) | instid1(VALU_DEP_1)
	v_add_f64_e32 v[4:5], v[4:5], v[12:13]
	ds_load_2addr_b64 v[10:13], v1 offset0:64 offset1:96
	s_wait_dscnt 0x0
	v_add_f64_e32 v[4:5], v[4:5], v[10:11]
	v_add_f64_e32 v[4:5], v[4:5], v[12:13]
	ds_load_2addr_b64 v[10:13], v1 offset0:128 offset1:160
	s_wait_dscnt 0x0
	v_add_f64_e32 v[4:5], v[4:5], v[10:11]
	s_delay_alu instid0(VALU_DEP_1) | instskip(SKIP_4) | instid1(VALU_DEP_2)
	v_add_f64_e32 v[4:5], v[4:5], v[12:13]
	ds_load_2addr_b64 v[10:13], v1 offset0:192 offset1:224
	s_wait_dscnt 0x0
	v_add_f64_e32 v[4:5], v[4:5], v[10:11]
	v_lshl_add_u64 v[10:11], v[24:25], 3, v[46:47]
	v_add_f64_e32 v[4:5], v[4:5], v[12:13]
	s_delay_alu instid0(VALU_DEP_1)
	v_mul_f64_e32 v[4:5], v[36:37], v[4:5]
	global_atomic_add_f64 v[10:11], v[4:5], off scope:SCOPE_DEV
.LBB92_41:                              ;   in Loop: Header=BB92_3 Depth=1
	s_wait_xcnt 0x0
	s_or_b32 exec_lo, exec_lo, s54
	v_fmac_f64_e32 v[38:39], v[48:49], v[6:7]
	v_fmac_f64_e32 v[40:41], v[48:49], v[8:9]
	s_delay_alu instid0(VALU_DEP_2) | instskip(NEXT) | instid1(VALU_DEP_2)
	v_fmac_f64_e32 v[38:39], v[2:3], v[44:45]
	v_fmac_f64_e32 v[40:41], v[2:3], v[42:43]
.LBB92_42:                              ;   in Loop: Header=BB92_3 Depth=1
	s_cmp_lt_u32 s20, s70
	ds_store_2addr_b64 v69, v[38:39], v[40:41] offset1:16
	s_cselect_b32 s54, -1, 0
	s_wait_storecnt 0x0
	s_wait_loadcnt_dscnt 0x0
	s_or_b32 s54, s1, s54
	s_barrier_signal -1
	s_and_b32 s54, s0, s54
	s_barrier_wait -1
	s_and_b32 exec_lo, exec_lo, s54
	s_cbranch_execz .LBB92_2
; %bb.43:                               ;   in Loop: Header=BB92_3 Depth=1
	ds_load_b64 v[2:3], v71
	ds_load_b64 v[4:5], v72
	;; [unrolled: 1-line block ×4, first 2 shown]
	s_add_nc_u64 s[52:53], s[52:53], s[50:51]
	s_wait_dscnt 0x3
	v_add_f64_e32 v[2:3], 0, v[2:3]
	s_wait_dscnt 0x2
	s_delay_alu instid0(VALU_DEP_1) | instskip(SKIP_1) | instid1(VALU_DEP_1)
	v_add_f64_e32 v[2:3], v[2:3], v[4:5]
	s_wait_dscnt 0x1
	v_add_f64_e32 v[2:3], v[2:3], v[6:7]
	s_wait_dscnt 0x0
	s_delay_alu instid0(VALU_DEP_1)
	v_add_f64_e32 v[2:3], v[2:3], v[8:9]
	ds_load_b64 v[4:5], v75
	ds_load_b64 v[6:7], v76
	ds_load_b64 v[8:9], v77
	ds_load_b64 v[10:11], v78
	s_wait_dscnt 0x3
	v_add_f64_e32 v[2:3], v[2:3], v[4:5]
	s_wait_dscnt 0x2
	s_delay_alu instid0(VALU_DEP_1) | instskip(SKIP_1) | instid1(VALU_DEP_1)
	v_add_f64_e32 v[2:3], v[2:3], v[6:7]
	s_wait_dscnt 0x1
	v_add_f64_e32 v[2:3], v[2:3], v[8:9]
	s_wait_dscnt 0x0
	s_delay_alu instid0(VALU_DEP_1)
	v_add_f64_e32 v[2:3], v[2:3], v[10:11]
	ds_load_b64 v[4:5], v79
	ds_load_b64 v[6:7], v80
	ds_load_b64 v[8:9], v81
	ds_load_b64 v[10:11], v82
	;; [unrolled: 14-line block ×3, first 2 shown]
	s_wait_dscnt 0x3
	v_add_f64_e32 v[2:3], v[2:3], v[4:5]
	v_lshl_add_u64 v[4:5], v[24:25], 3, s[52:53]
	s_wait_dscnt 0x2
	s_delay_alu instid0(VALU_DEP_2) | instskip(SKIP_1) | instid1(VALU_DEP_1)
	v_add_f64_e32 v[2:3], v[2:3], v[6:7]
	s_wait_dscnt 0x1
	v_add_f64_e32 v[2:3], v[2:3], v[8:9]
	s_wait_dscnt 0x0
	s_delay_alu instid0(VALU_DEP_1) | instskip(NEXT) | instid1(VALU_DEP_1)
	v_add_f64_e32 v[2:3], v[2:3], v[10:11]
	v_mul_f64_e32 v[2:3], v[36:37], v[2:3]
	global_atomic_add_f64 v[4:5], v[2:3], off scope:SCOPE_DEV
	s_branch .LBB92_2
.LBB92_44:
	s_sendmsg sendmsg(MSG_DEALLOC_VGPRS)
	s_endpgm
	.section	.rodata,"a",@progbits
	.p2align	6, 0x0
	.amdhsa_kernel _ZL62rocblas_symv_kernel_upper_double_buffered_non_diagonal_genericILi32ELi8ELi2ELi0E24rocblas_internal_val_ptrIdEPKdPdEvbiT3_lT4_lllS6_lllT5_lllii
		.amdhsa_group_segment_fixed_size 10496
		.amdhsa_private_segment_fixed_size 0
		.amdhsa_kernarg_size 384
		.amdhsa_user_sgpr_count 4
		.amdhsa_user_sgpr_dispatch_ptr 1
		.amdhsa_user_sgpr_queue_ptr 0
		.amdhsa_user_sgpr_kernarg_segment_ptr 1
		.amdhsa_user_sgpr_dispatch_id 0
		.amdhsa_user_sgpr_kernarg_preload_length 0
		.amdhsa_user_sgpr_kernarg_preload_offset 0
		.amdhsa_user_sgpr_private_segment_size 0
		.amdhsa_wavefront_size32 1
		.amdhsa_uses_dynamic_stack 0
		.amdhsa_enable_private_segment 0
		.amdhsa_system_sgpr_workgroup_id_x 1
		.amdhsa_system_sgpr_workgroup_id_y 1
		.amdhsa_system_sgpr_workgroup_id_z 1
		.amdhsa_system_sgpr_workgroup_info 0
		.amdhsa_system_vgpr_workitem_id 2
		.amdhsa_next_free_vgpr 86
		.amdhsa_next_free_sgpr 73
		.amdhsa_named_barrier_count 0
		.amdhsa_reserve_vcc 1
		.amdhsa_float_round_mode_32 0
		.amdhsa_float_round_mode_16_64 0
		.amdhsa_float_denorm_mode_32 3
		.amdhsa_float_denorm_mode_16_64 3
		.amdhsa_fp16_overflow 0
		.amdhsa_memory_ordered 1
		.amdhsa_forward_progress 1
		.amdhsa_inst_pref_size 26
		.amdhsa_round_robin_scheduling 0
		.amdhsa_exception_fp_ieee_invalid_op 0
		.amdhsa_exception_fp_denorm_src 0
		.amdhsa_exception_fp_ieee_div_zero 0
		.amdhsa_exception_fp_ieee_overflow 0
		.amdhsa_exception_fp_ieee_underflow 0
		.amdhsa_exception_fp_ieee_inexact 0
		.amdhsa_exception_int_div_zero 0
	.end_amdhsa_kernel
	.section	.text._ZL62rocblas_symv_kernel_upper_double_buffered_non_diagonal_genericILi32ELi8ELi2ELi0E24rocblas_internal_val_ptrIdEPKdPdEvbiT3_lT4_lllS6_lllT5_lllii,"axG",@progbits,_ZL62rocblas_symv_kernel_upper_double_buffered_non_diagonal_genericILi32ELi8ELi2ELi0E24rocblas_internal_val_ptrIdEPKdPdEvbiT3_lT4_lllS6_lllT5_lllii,comdat
.Lfunc_end92:
	.size	_ZL62rocblas_symv_kernel_upper_double_buffered_non_diagonal_genericILi32ELi8ELi2ELi0E24rocblas_internal_val_ptrIdEPKdPdEvbiT3_lT4_lllS6_lllT5_lllii, .Lfunc_end92-_ZL62rocblas_symv_kernel_upper_double_buffered_non_diagonal_genericILi32ELi8ELi2ELi0E24rocblas_internal_val_ptrIdEPKdPdEvbiT3_lT4_lllS6_lllT5_lllii
                                        ; -- End function
	.set _ZL62rocblas_symv_kernel_upper_double_buffered_non_diagonal_genericILi32ELi8ELi2ELi0E24rocblas_internal_val_ptrIdEPKdPdEvbiT3_lT4_lllS6_lllT5_lllii.num_vgpr, 86
	.set _ZL62rocblas_symv_kernel_upper_double_buffered_non_diagonal_genericILi32ELi8ELi2ELi0E24rocblas_internal_val_ptrIdEPKdPdEvbiT3_lT4_lllS6_lllT5_lllii.num_agpr, 0
	.set _ZL62rocblas_symv_kernel_upper_double_buffered_non_diagonal_genericILi32ELi8ELi2ELi0E24rocblas_internal_val_ptrIdEPKdPdEvbiT3_lT4_lllS6_lllT5_lllii.numbered_sgpr, 73
	.set _ZL62rocblas_symv_kernel_upper_double_buffered_non_diagonal_genericILi32ELi8ELi2ELi0E24rocblas_internal_val_ptrIdEPKdPdEvbiT3_lT4_lllS6_lllT5_lllii.num_named_barrier, 0
	.set _ZL62rocblas_symv_kernel_upper_double_buffered_non_diagonal_genericILi32ELi8ELi2ELi0E24rocblas_internal_val_ptrIdEPKdPdEvbiT3_lT4_lllS6_lllT5_lllii.private_seg_size, 0
	.set _ZL62rocblas_symv_kernel_upper_double_buffered_non_diagonal_genericILi32ELi8ELi2ELi0E24rocblas_internal_val_ptrIdEPKdPdEvbiT3_lT4_lllS6_lllT5_lllii.uses_vcc, 1
	.set _ZL62rocblas_symv_kernel_upper_double_buffered_non_diagonal_genericILi32ELi8ELi2ELi0E24rocblas_internal_val_ptrIdEPKdPdEvbiT3_lT4_lllS6_lllT5_lllii.uses_flat_scratch, 0
	.set _ZL62rocblas_symv_kernel_upper_double_buffered_non_diagonal_genericILi32ELi8ELi2ELi0E24rocblas_internal_val_ptrIdEPKdPdEvbiT3_lT4_lllS6_lllT5_lllii.has_dyn_sized_stack, 0
	.set _ZL62rocblas_symv_kernel_upper_double_buffered_non_diagonal_genericILi32ELi8ELi2ELi0E24rocblas_internal_val_ptrIdEPKdPdEvbiT3_lT4_lllS6_lllT5_lllii.has_recursion, 0
	.set _ZL62rocblas_symv_kernel_upper_double_buffered_non_diagonal_genericILi32ELi8ELi2ELi0E24rocblas_internal_val_ptrIdEPKdPdEvbiT3_lT4_lllS6_lllT5_lllii.has_indirect_call, 0
	.section	.AMDGPU.csdata,"",@progbits
; Kernel info:
; codeLenInByte = 3284
; TotalNumSgprs: 75
; NumVgprs: 86
; ScratchSize: 0
; MemoryBound: 1
; FloatMode: 240
; IeeeMode: 1
; LDSByteSize: 10496 bytes/workgroup (compile time only)
; SGPRBlocks: 0
; VGPRBlocks: 5
; NumSGPRsForWavesPerEU: 75
; NumVGPRsForWavesPerEU: 86
; NamedBarCnt: 0
; Occupancy: 10
; WaveLimiterHint : 1
; COMPUTE_PGM_RSRC2:SCRATCH_EN: 0
; COMPUTE_PGM_RSRC2:USER_SGPR: 4
; COMPUTE_PGM_RSRC2:TRAP_HANDLER: 0
; COMPUTE_PGM_RSRC2:TGID_X_EN: 1
; COMPUTE_PGM_RSRC2:TGID_Y_EN: 1
; COMPUTE_PGM_RSRC2:TGID_Z_EN: 1
; COMPUTE_PGM_RSRC2:TIDIG_COMP_CNT: 2
	.section	.text._ZL62rocblas_symv_kernel_upper_double_buffered_non_diagonal_genericILi32ELi8ELi2ELi1E24rocblas_internal_val_ptrIdEPKdPdEvbiT3_lT4_lllS6_lllT5_lllii,"axG",@progbits,_ZL62rocblas_symv_kernel_upper_double_buffered_non_diagonal_genericILi32ELi8ELi2ELi1E24rocblas_internal_val_ptrIdEPKdPdEvbiT3_lT4_lllS6_lllT5_lllii,comdat
	.globl	_ZL62rocblas_symv_kernel_upper_double_buffered_non_diagonal_genericILi32ELi8ELi2ELi1E24rocblas_internal_val_ptrIdEPKdPdEvbiT3_lT4_lllS6_lllT5_lllii ; -- Begin function _ZL62rocblas_symv_kernel_upper_double_buffered_non_diagonal_genericILi32ELi8ELi2ELi1E24rocblas_internal_val_ptrIdEPKdPdEvbiT3_lT4_lllS6_lllT5_lllii
	.p2align	8
	.type	_ZL62rocblas_symv_kernel_upper_double_buffered_non_diagonal_genericILi32ELi8ELi2ELi1E24rocblas_internal_val_ptrIdEPKdPdEvbiT3_lT4_lllS6_lllT5_lllii,@function
_ZL62rocblas_symv_kernel_upper_double_buffered_non_diagonal_genericILi32ELi8ELi2ELi1E24rocblas_internal_val_ptrIdEPKdPdEvbiT3_lT4_lllS6_lllT5_lllii: ; @_ZL62rocblas_symv_kernel_upper_double_buffered_non_diagonal_genericILi32ELi8ELi2ELi1E24rocblas_internal_val_ptrIdEPKdPdEvbiT3_lT4_lllS6_lllT5_lllii
; %bb.0:
	s_load_b64 s[20:21], s[0:1], 0x4
	s_load_b512 s[4:19], s[2:3], 0x8
	v_bfe_u32 v1, v0, 10, 10
	s_load_b64 s[28:29], s[2:3], 0x78
	v_and_b32_e32 v2, 0x3ff, v0
	s_wait_xcnt 0x0
	s_lshr_b32 s1, ttmp7, 16
	v_bfe_u32 v0, v0, 20, 10
	s_wait_kmcnt 0x0
	v_mul_u32_u24_e32 v3, s21, v1
	s_lshr_b32 s0, s20, 16
	v_dual_mov_b32 v4, s4 :: v_dual_mov_b32 v5, s5
	s_mul_i32 s0, s0, s21
	s_bfe_u32 s5, ttmp6, 0x40008
	v_mad_u32 v3, s0, v2, v3
	s_bfe_u32 s0, ttmp6, 0x40014
	s_delay_alu instid0(SALU_CYCLE_1) | instskip(NEXT) | instid1(SALU_CYCLE_1)
	s_add_co_i32 s0, s0, 1
	s_mul_i32 s4, s1, s0
	s_getreg_b32 s0, hwreg(HW_REG_IB_STS2, 6, 4)
	s_add_co_i32 s5, s5, s4
	s_cmp_eq_u32 s0, 0
	s_cselect_b32 s4, s1, s5
	s_delay_alu instid0(VALU_DEP_1)
	v_add_lshl_u32 v0, v3, v0, 3
	s_cmp_ge_u32 s4, s29
	s_mov_b32 s5, 0
	ds_store_b64 v0, v[4:5] offset:8448
	s_cbranch_scc1 .LBB93_77
; %bb.1:
	s_clause 0x4
	s_load_b32 s1, s[2:3], 0x0
	s_load_b128 s[20:23], s[2:3], 0x60
	s_load_b64 s[36:37], s[2:3], 0x58
	s_load_b128 s[24:27], s[2:3], 0x48
	s_load_b64 s[30:31], s[2:3], 0x70
	s_add_nc_u64 s[34:35], s[2:3], 0x80
	v_lshl_add_u32 v8, v1, 5, v2
	v_add_nc_u32_e32 v62, 0x2100, v0
	v_dual_mov_b32 v0, 0 :: v_dual_bitop2_b32 v4, 15, v2 bitop3:0x40
	v_lshl_add_u32 v10, v2, 7, 0x1000
	s_delay_alu instid0(VALU_DEP_4) | instskip(SKIP_1) | instid1(VALU_DEP_4)
	v_lshrrev_b32_e32 v9, 4, v8
	v_and_b32_e32 v8, 0xfff0, v8
	v_dual_mov_b32 v5, v0 :: v_dual_lshlrev_b32 v14, 3, v4
	s_delay_alu instid0(VALU_DEP_3) | instskip(SKIP_1) | instid1(VALU_DEP_4)
	v_dual_mov_b32 v3, v0 :: v_dual_lshlrev_b32 v6, 1, v9
	v_dual_lshlrev_b32 v63, 3, v2 :: v_dual_lshlrev_b32 v64, 8, v9
	v_add_nc_u32_e32 v68, 0x2000, v8
	s_delay_alu instid0(VALU_DEP_4)
	v_dual_mov_b32 v15, v0 :: v_dual_bitop2_b32 v69, v10, v14 bitop3:0x54
	s_wait_kmcnt 0x0
	s_bitcmp1_b32 s1, 0
	v_mad_nc_u64_u32 v[16:17], s12, v6, v[4:5]
	s_cselect_b32 s1, -1, 0
	s_lshl_b64 s[2:3], s[20:21], 3
	s_bfe_u32 s21, ttmp6, 0x4000c
	s_bfe_u32 s39, ttmp6, 0x40010
	s_and_b32 s38, ttmp7, 0xffff
	s_add_co_i32 s21, s21, 1
	s_add_co_i32 s39, s39, 1
	s_and_b32 s20, ttmp6, 15
	s_bfe_u32 s40, ttmp6, 0x40004
	s_xor_b32 s33, s1, -1
	s_mul_i32 s1, ttmp9, s21
	s_mul_i32 s21, s38, s39
	s_lshl_b64 s[18:19], s[18:19], 3
	s_lshl_b64 s[46:47], s[10:11], 3
	s_add_co_i32 s1, s20, s1
	s_add_co_i32 s40, s40, s21
	s_cmp_eq_u32 s0, 0
	s_add_nc_u64 s[20:21], s[36:37], s[2:3]
	s_cselect_b32 s36, ttmp9, s1
	s_cselect_b32 s66, s38, s40
	s_lshl_b32 s44, s36, 5
	s_lshl_b32 s67, s66, 5
	s_ashr_i32 s45, s44, 31
	s_add_nc_u64 s[0:1], s[8:9], s[46:47]
	s_mul_u64 s[2:3], s[12:13], s[44:45]
	v_mul_u64_e32 v[18:19], s[24:25], v[2:3]
	s_lshl_b64 s[48:49], s[2:3], 3
	s_cmp_lg_u32 s36, 0
	s_add_nc_u64 s[38:39], s[0:1], s[48:49]
	s_cselect_b32 s68, -1, 0
	s_lshr_b32 s0, s28, 31
	v_mad_u32 v17, s13, v6, v17
	s_add_co_i32 s0, s28, s0
	v_dual_mov_b32 v7, v0 :: v_dual_bitop2_b32 v6, 16, v4 bitop3:0x54
	s_ashr_i32 s3, s0, 1
	v_cmp_eq_u32_e64 s0, 0, v1
	v_or_b32_e32 v1, 0x1000, v14
	v_or_b32_e32 v66, v14, v64
	v_mul_u64_e32 v[20:21], s[24:25], v[4:5]
	v_mul_u64_e32 v[24:25], s[22:23], v[2:3]
	s_delay_alu instid0(VALU_DEP_4) | instskip(SKIP_1) | instid1(VALU_DEP_2)
	v_dual_add_nc_u32 v3, 2, v2 :: v_dual_add_nc_u32 v67, v1, v64
	v_dual_add_nc_u32 v1, 1, v2 :: v_dual_add_nc_u32 v4, 3, v2
	v_dual_add_nc_u32 v5, 4, v2 :: v_dual_bitop2_b32 v3, 15, v3 bitop3:0x40
	v_cmp_le_i32_e64 s2, s3, v9
	s_delay_alu instid0(VALU_DEP_3) | instskip(SKIP_1) | instid1(VALU_DEP_4)
	v_and_b32_e32 v1, 15, v1
	v_cmp_eq_u32_e64 s3, s3, v9
	v_and_b32_e32 v5, 15, v5
	v_lshl_or_b32 v71, v3, 3, v10
	v_add_nc_u32_e32 v3, 6, v2
	v_lshl_or_b32 v70, v1, 3, v10
	v_dual_add_nc_u32 v4, 5, v2 :: v_dual_bitop2_b32 v1, 15, v4 bitop3:0x40
	s_delay_alu instid0(VALU_DEP_3) | instskip(SKIP_1) | instid1(VALU_DEP_3)
	v_dual_mov_b32 v9, v0 :: v_dual_bitop2_b32 v3, 15, v3 bitop3:0x40
	v_mul_u64_e32 v[22:23], s[24:25], v[6:7]
	v_lshl_or_b32 v72, v1, 3, v10
	s_delay_alu instid0(VALU_DEP_4) | instskip(SKIP_3) | instid1(VALU_DEP_4)
	v_dual_add_nc_u32 v4, 7, v2 :: v_dual_bitop2_b32 v1, 15, v4 bitop3:0x40
	v_lshl_or_b32 v73, v5, 3, v10
	v_add_nc_u32_e32 v11, 12, v2
	v_cmp_gt_i32_e64 s1, s28, v2
	v_lshl_or_b32 v74, v1, 3, v10
	v_dual_add_nc_u32 v1, 9, v2 :: v_dual_bitop2_b32 v6, 15, v4 bitop3:0x40
	v_lshl_add_u64 v[4:5], s[44:45], 3, v[8:9]
	v_lshl_or_b32 v75, v3, 3, v10
	v_bitop3_b32 v3, v2, 8, 15 bitop3:0x6c
	s_delay_alu instid0(VALU_DEP_4) | instskip(NEXT) | instid1(VALU_DEP_4)
	v_dual_mov_b32 v31, v0 :: v_dual_bitop2_b32 v1, 15, v1 bitop3:0x40
	v_or_b32_e32 v7, 8, v4
	v_mul_lo_u32 v9, s12, v5
	s_delay_alu instid0(VALU_DEP_4) | instskip(NEXT) | instid1(VALU_DEP_4)
	v_lshl_or_b32 v77, v3, 3, v10
	v_lshl_or_b32 v78, v1, 3, v10
	v_add_nc_u32_e32 v1, 11, v2
	v_lshl_or_b32 v76, v6, 3, v10
	v_add_nc_u32_e32 v6, 10, v2
	v_mul_lo_u32 v8, s13, v7
	v_mul_lo_u32 v12, s13, v4
	v_mad_nc_u64_u32 v[4:5], s12, v4, s[46:47]
	v_and_b32_e32 v1, 15, v1
	v_and_b32_e32 v3, 15, v6
	v_mad_nc_u64_u32 v[6:7], s12, v7, s[46:47]
	v_mov_b64_e32 v[34:35], 0
	v_or_b32_e32 v65, 0x2000, v63
	v_or_b32_e32 v30, 0x80, v14
	v_lshl_or_b32 v79, v3, 3, v10
	v_add_nc_u32_e32 v3, 13, v2
	v_lshl_or_b32 v80, v1, 3, v10
	v_dual_add_nc_u32 v11, 14, v2 :: v_dual_bitop2_b32 v1, 15, v11 bitop3:0x40
	v_add_nc_u32_e32 v2, -1, v2
	v_add3_u32 v5, v12, v5, v9
	v_add3_u32 v7, v8, v7, v9
	v_and_b32_e32 v8, 15, v3
	v_dual_mov_b32 v33, v0 :: v_dual_bitop2_b32 v11, 15, v11 bitop3:0x40
	v_and_b32_e32 v9, 15, v2
	s_delay_alu instid0(VALU_DEP_4)
	v_add_nc_u64_e32 v[2:3], v[6:7], v[14:15]
	v_add_nc_u64_e32 v[4:5], v[4:5], v[14:15]
	v_lshl_or_b32 v81, v1, 3, v10
	v_lshl_or_b32 v82, v8, 3, v10
	;; [unrolled: 1-line block ×4, first 2 shown]
	v_or_b32_e32 v32, 0x100, v14
	v_add_nc_u64_e32 v[26:27], s[8:9], v[2:3]
	v_add_nc_u64_e32 v[28:29], s[8:9], v[4:5]
	s_mul_u64 s[50:51], s[24:25], s[44:45]
	s_mul_u64 s[52:53], s[22:23], s[44:45]
	s_add_nc_u64 s[46:47], s[48:49], s[46:47]
	s_add_nc_u64 s[10:11], s[16:17], s[18:19]
	s_lshl_b64 s[40:41], s[24:25], 8
	s_lshl_b64 s[42:43], s[22:23], 8
	s_mov_b32 s37, s5
	s_lshl_b64 s[44:45], s[14:15], 3
	s_add_nc_u64 s[8:9], s[8:9], s[46:47]
	s_lshl_b64 s[46:47], s[26:27], 3
	s_lshl_b64 s[48:49], s[24:25], 3
	;; [unrolled: 1-line block ×4, first 2 shown]
	s_branch .LBB93_3
.LBB93_2:                               ;   in Loop: Header=BB93_3 Depth=1
	s_wait_xcnt 0x0
	s_or_b32 exec_lo, exec_lo, s28
	s_add_co_i32 s4, s4, 0x10000
	s_delay_alu instid0(SALU_CYCLE_1)
	s_cmp_lt_u32 s4, s29
	s_cbranch_scc0 .LBB93_77
.LBB93_3:                               ; =>This Loop Header: Depth=1
                                        ;     Child Loop BB93_35 Depth 2
	s_and_b32 vcc_lo, exec_lo, s33
	s_mov_b32 s28, -1
                                        ; implicit-def: $vgpr36_vgpr37
	s_cbranch_vccz .LBB93_5
; %bb.4:                                ;   in Loop: Header=BB93_3 Depth=1
	ds_load_b64 v[2:3], v62
	s_mul_u64 s[54:55], s[6:7], s[4:5]
	s_mov_b32 s28, 0
	s_wait_dscnt 0x0
	v_lshl_add_u64 v[2:3], s[54:55], 3, v[2:3]
	flat_load_b64 v[36:37], v[2:3]
.LBB93_5:                               ;   in Loop: Header=BB93_3 Depth=1
	s_and_not1_b32 vcc_lo, exec_lo, s28
	s_cbranch_vccnz .LBB93_7
; %bb.6:                                ;   in Loop: Header=BB93_3 Depth=1
	s_wait_loadcnt_dscnt 0x0
	ds_load_b64 v[36:37], v62
.LBB93_7:                               ;   in Loop: Header=BB93_3 Depth=1
	s_mov_b32 s28, exec_lo
	s_wait_loadcnt_dscnt 0x0
	s_wait_xcnt 0x0
	v_cmpx_neq_f64_e32 0, v[36:37]
	s_cbranch_execz .LBB93_2
; %bb.8:                                ;   in Loop: Header=BB93_3 Depth=1
	s_and_not1_b32 vcc_lo, exec_lo, s68
	s_cbranch_vccnz .LBB93_2
; %bb.9:                                ;   in Loop: Header=BB93_3 Depth=1
	s_load_b32 s54, s[34:35], 0x4
	s_mov_b32 s57, s5
	s_wait_kmcnt 0x0
	s_cvt_f32_u32 s55, s54
	s_sub_co_i32 s56, 0, s54
	s_delay_alu instid0(SALU_CYCLE_2) | instskip(SKIP_1) | instid1(TRANS32_DEP_1)
	v_rcp_iflag_f32_e32 v1, s55
	v_nop
	v_readfirstlane_b32 s55, v1
	s_mul_f32 s55, s55, 0x4f7ffffe
	s_delay_alu instid0(SALU_CYCLE_3) | instskip(NEXT) | instid1(SALU_CYCLE_3)
	s_cvt_u32_f32 s55, s55
	s_mul_i32 s56, s56, s55
	s_delay_alu instid0(SALU_CYCLE_1) | instskip(NEXT) | instid1(SALU_CYCLE_1)
	s_mul_hi_u32 s56, s55, s56
	s_add_co_i32 s56, s55, s56
	s_delay_alu instid0(SALU_CYCLE_1) | instskip(NEXT) | instid1(SALU_CYCLE_1)
	s_mul_u64 s[56:57], s[36:37], s[56:57]
	s_mul_i32 s55, s57, s54
	s_add_co_i32 s56, s57, 1
	s_sub_co_i32 s55, s36, s55
	s_delay_alu instid0(SALU_CYCLE_1)
	s_sub_co_i32 s58, s55, s54
	s_cmp_ge_u32 s55, s54
	s_cselect_b32 s56, s56, s57
	s_cselect_b32 s55, s58, s55
	s_add_co_i32 s57, s56, 1
	s_cmp_ge_u32 s55, s54
	s_cselect_b32 s56, s57, s56
	s_add_co_i32 s55, s54, -1
	s_mov_b32 s70, s56
	s_cmp_lg_u32 s66, s55
	s_cbranch_scc1 .LBB93_11
; %bb.10:                               ;   in Loop: Header=BB93_3 Depth=1
	s_mul_i32 s54, s56, s54
	s_delay_alu instid0(SALU_CYCLE_1) | instskip(NEXT) | instid1(SALU_CYCLE_1)
	s_sub_co_i32 s54, s36, s54
	s_add_co_i32 s70, s54, s56
.LBB93_11:                              ;   in Loop: Header=BB93_3 Depth=1
	s_delay_alu instid0(SALU_CYCLE_1)
	s_cmp_eq_u32 s70, 0
	s_cbranch_scc1 .LBB93_2
; %bb.12:                               ;   in Loop: Header=BB93_3 Depth=1
	s_load_b32 s69, s[34:35], 0x0
	s_mul_u64 s[54:55], s[26:27], s[4:5]
	s_mov_b32 s57, -1
	s_lshl_b64 s[54:55], s[54:55], 3
	s_delay_alu instid0(SALU_CYCLE_1) | instskip(NEXT) | instid1(SALU_CYCLE_1)
	s_add_nc_u64 s[60:61], s[10:11], s[54:55]
	s_add_nc_u64 s[54:55], s[60:61], s[50:51]
	s_wait_kmcnt 0x0
	s_add_co_i32 s69, s69, -1
	s_delay_alu instid0(SALU_CYCLE_1) | instskip(SKIP_1) | instid1(SALU_CYCLE_1)
	s_cmp_lg_u32 s36, s69
	s_cselect_b32 s64, -1, 0
	s_and_b32 vcc_lo, exec_lo, s64
	s_cbranch_vccz .LBB93_16
; %bb.13:                               ;   in Loop: Header=BB93_3 Depth=1
	s_and_saveexec_b32 s57, s0
	s_cbranch_execz .LBB93_15
; %bb.14:                               ;   in Loop: Header=BB93_3 Depth=1
	v_lshl_add_u64 v[2:3], v[18:19], 3, s[54:55]
	global_load_b64 v[2:3], v[2:3], off
	s_wait_loadcnt 0x0
	ds_store_b64 v65, v[2:3]
.LBB93_15:                              ;   in Loop: Header=BB93_3 Depth=1
	s_wait_xcnt 0x0
	s_or_b32 exec_lo, exec_lo, s57
	s_mov_b32 s57, 0
.LBB93_16:                              ;   in Loop: Header=BB93_3 Depth=1
	s_delay_alu instid0(SALU_CYCLE_1)
	s_and_not1_b32 vcc_lo, exec_lo, s57
	s_cbranch_vccnz .LBB93_22
; %bb.17:                               ;   in Loop: Header=BB93_3 Depth=1
	s_and_saveexec_b32 s57, s0
	s_cbranch_execz .LBB93_21
; %bb.18:                               ;   in Loop: Header=BB93_3 Depth=1
	v_mov_b64_e32 v[2:3], 0
	s_and_saveexec_b32 s58, s1
	s_cbranch_execz .LBB93_20
; %bb.19:                               ;   in Loop: Header=BB93_3 Depth=1
	v_lshl_add_u64 v[2:3], v[18:19], 3, s[54:55]
	global_load_b64 v[2:3], v[2:3], off
.LBB93_20:                              ;   in Loop: Header=BB93_3 Depth=1
	s_wait_xcnt 0x0
	s_or_b32 exec_lo, exec_lo, s58
	s_wait_loadcnt 0x0
	ds_store_b64 v65, v[2:3]
.LBB93_21:                              ;   in Loop: Header=BB93_3 Depth=1
	s_or_b32 exec_lo, exec_lo, s57
	ds_store_2addr_b64 v66, v[34:35], v[34:35] offset1:16
	ds_store_2addr_b64 v67, v[34:35], v[34:35] offset1:16
.LBB93_22:                              ;   in Loop: Header=BB93_3 Depth=1
	s_mul_u64 s[54:55], s[14:15], s[4:5]
	s_mul_i32 s62, s67, s56
	s_lshl_b64 s[54:55], s[54:55], 3
	s_ashr_i32 s63, s62, 31
	v_cndmask_b32_e64 v84, 0, 1, s64
	s_add_nc_u64 s[54:55], s[38:39], s[54:55]
	s_lshl_b64 s[56:57], s[62:63], 3
	s_and_not1_b32 vcc_lo, exec_lo, s64
	s_add_nc_u64 s[58:59], s[54:55], s[56:57]
	s_mov_b32 s54, -1
	s_wait_dscnt 0x0
	s_barrier_signal -1
	s_barrier_wait -1
                                        ; implicit-def: $vgpr2_vgpr3_vgpr4_vgpr5
	s_cbranch_vccnz .LBB93_24
; %bb.23:                               ;   in Loop: Header=BB93_3 Depth=1
	v_lshl_add_u64 v[2:3], v[16:17], 3, s[58:59]
	s_mov_b32 s54, 0
	s_delay_alu instid0(VALU_DEP_1)
	v_lshl_add_u64 v[4:5], s[12:13], 3, v[2:3]
	s_clause 0x1
	global_load_b64 v[2:3], v[2:3], off
	global_load_b64 v[4:5], v[4:5], off
.LBB93_24:                              ;   in Loop: Header=BB93_3 Depth=1
	s_and_not1_b32 vcc_lo, exec_lo, s54
	s_cbranch_vccnz .LBB93_32
; %bb.25:                               ;   in Loop: Header=BB93_3 Depth=1
                                        ; implicit-def: $vgpr2_vgpr3_vgpr4_vgpr5
	s_wait_xcnt 0x0
	s_and_saveexec_b32 s54, s2
	s_delay_alu instid0(SALU_CYCLE_1)
	s_xor_b32 s54, exec_lo, s54
	s_cbranch_execz .LBB93_29
; %bb.26:                               ;   in Loop: Header=BB93_3 Depth=1
	s_wait_loadcnt 0x1
	v_dual_mov_b32 v1, v0 :: v_dual_mov_b32 v2, v0
	v_mov_b32_e32 v3, v0
	s_wait_loadcnt 0x0
	s_delay_alu instid0(VALU_DEP_1) | instskip(NEXT) | instid1(VALU_DEP_3)
	v_mov_b64_e32 v[4:5], v[2:3]
	v_mov_b64_e32 v[2:3], v[0:1]
	s_and_saveexec_b32 s55, s3
	s_cbranch_execz .LBB93_28
; %bb.27:                               ;   in Loop: Header=BB93_3 Depth=1
	v_lshl_add_u64 v[2:3], v[16:17], 3, s[58:59]
	v_dual_mov_b32 v4, v0 :: v_dual_mov_b32 v5, v0
	global_load_b64 v[2:3], v[2:3], off
.LBB93_28:                              ;   in Loop: Header=BB93_3 Depth=1
	s_wait_xcnt 0x0
	s_or_b32 exec_lo, exec_lo, s55
.LBB93_29:                              ;   in Loop: Header=BB93_3 Depth=1
	s_and_not1_saveexec_b32 s54, s54
	s_cbranch_execz .LBB93_31
; %bb.30:                               ;   in Loop: Header=BB93_3 Depth=1
	s_wait_loadcnt 0x0
	v_lshl_add_u64 v[2:3], v[16:17], 3, s[58:59]
	s_delay_alu instid0(VALU_DEP_1)
	v_lshl_add_u64 v[4:5], s[12:13], 3, v[2:3]
	s_clause 0x1
	global_load_b64 v[2:3], v[2:3], off
	global_load_b64 v[4:5], v[4:5], off
.LBB93_31:                              ;   in Loop: Header=BB93_3 Depth=1
	s_wait_xcnt 0x0
	s_or_b32 exec_lo, exec_lo, s54
.LBB93_32:                              ;   in Loop: Header=BB93_3 Depth=1
	s_mul_u64 s[54:55], s[30:31], s[4:5]
	s_delay_alu instid0(SALU_CYCLE_1)
	s_lshl_b64 s[54:55], s[54:55], 3
	s_cmp_lt_i32 s70, 1
	s_add_nc_u64 s[54:55], s[20:21], s[54:55]
	s_cbranch_scc1 .LBB93_59
; %bb.33:                               ;   in Loop: Header=BB93_3 Depth=1
	s_mul_u64 s[64:65], s[24:25], s[62:63]
	v_mov_b64_e32 v[46:47], 0
	s_lshl_b64 s[64:65], s[64:65], 3
	s_delay_alu instid0(SALU_CYCLE_1)
	s_add_nc_u64 s[64:65], s[60:61], s[64:65]
	s_mul_u64 s[60:61], s[22:23], s[62:63]
	v_lshl_add_u64 v[6:7], v[20:21], 3, s[64:65]
	s_lshl_b64 s[60:61], s[60:61], 3
	s_cmp_eq_u32 s70, 1
	s_add_nc_u64 s[60:61], s[54:55], s[60:61]
	global_load_b64 v[44:45], v[6:7], off
	s_cbranch_scc1 .LBB93_60
; %bb.34:                               ;   in Loop: Header=BB93_3 Depth=1
	s_wait_xcnt 0x0
	v_add_nc_u64_e32 v[6:7], s[56:57], v[30:31]
	v_add_nc_u64_e32 v[8:9], s[56:57], v[32:33]
	s_mul_u64 s[64:65], s[46:47], s[4:5]
	v_mov_b64_e32 v[38:39], 0
	s_add_nc_u64 s[58:59], s[16:17], s[64:65]
	v_mov_b64_e32 v[40:41], 0
	v_mov_b64_e32 v[42:43], s[60:61]
	v_mad_nc_u64_u32 v[48:49], s24, v6, s[58:59]
	v_mad_nc_u64_u32 v[50:51], s24, v8, s[58:59]
	s_mul_u64 s[58:59], s[44:45], s[4:5]
	s_mul_u64 s[62:63], s[48:49], s[62:63]
	v_add_nc_u64_e32 v[54:55], s[58:59], v[26:27]
	v_add_nc_u64_e32 v[56:57], s[58:59], v[28:29]
	s_add_nc_u64 s[60:61], s[62:63], s[64:65]
	s_add_nc_u64 s[58:59], s[8:9], s[58:59]
	s_add_co_i32 s62, s70, -1
	s_add_nc_u64 s[60:61], s[16:17], s[60:61]
	s_delay_alu instid0(VALU_DEP_4) | instskip(NEXT) | instid1(VALU_DEP_4)
	v_mad_u32 v1, s25, v6, v49
	v_mad_u32 v6, s25, v8, v51
	s_delay_alu instid0(VALU_DEP_2) | instskip(NEXT) | instid1(VALU_DEP_2)
	v_mad_u32 v49, s24, v7, v1
	v_mad_u32 v51, s24, v9, v6
	v_mov_b64_e32 v[8:9], 0
	v_mov_b64_e32 v[6:7], 0
.LBB93_35:                              ;   Parent Loop BB93_3 Depth=1
                                        ; =>  This Inner Loop Header: Depth=2
	s_delay_alu instid0(VALU_DEP_4)
	v_add_nc_u64_e32 v[10:11], s[18:19], v[48:49]
	v_cmp_ne_u32_e32 vcc_lo, 1, v84
	s_mov_b32 s63, -1
                                        ; implicit-def: $vgpr46_vgpr47
                                        ; implicit-def: $vgpr52_vgpr53
	global_load_b64 v[60:61], v[10:11], off
	s_cbranch_vccnz .LBB93_37
; %bb.36:                               ;   in Loop: Header=BB93_35 Depth=2
	s_wait_xcnt 0x0
	v_add_nc_u64_e32 v[10:11], s[56:57], v[56:57]
	v_add_nc_u64_e32 v[12:13], s[56:57], v[54:55]
	s_mov_b32 s63, 0
	global_load_b64 v[52:53], v[10:11], off offset:128
	global_load_b64 v[46:47], v[12:13], off offset:128
.LBB93_37:                              ;   in Loop: Header=BB93_35 Depth=2
	s_and_not1_b32 vcc_lo, exec_lo, s63
	s_cbranch_vccnz .LBB93_45
; %bb.38:                               ;   in Loop: Header=BB93_35 Depth=2
	s_wait_xcnt 0x0
	s_and_saveexec_b32 s63, s2
	s_delay_alu instid0(SALU_CYCLE_1)
	s_xor_b32 s63, exec_lo, s63
	s_cbranch_execz .LBB93_42
; %bb.39:                               ;   in Loop: Header=BB93_35 Depth=2
	s_and_saveexec_b32 s64, s3
	s_cbranch_execz .LBB93_41
; %bb.40:                               ;   in Loop: Header=BB93_35 Depth=2
	v_add_nc_u64_e32 v[8:9], s[56:57], v[56:57]
	global_load_b64 v[8:9], v[8:9], off offset:128
.LBB93_41:                              ;   in Loop: Header=BB93_35 Depth=2
	s_wait_xcnt 0x0
	s_or_b32 exec_lo, exec_lo, s64
.LBB93_42:                              ;   in Loop: Header=BB93_35 Depth=2
	s_and_not1_saveexec_b32 s63, s63
	s_cbranch_execz .LBB93_44
; %bb.43:                               ;   in Loop: Header=BB93_35 Depth=2
	v_add_nc_u64_e32 v[6:7], s[56:57], v[56:57]
	v_add_nc_u64_e32 v[10:11], s[56:57], v[54:55]
	s_wait_loadcnt 0x0
	global_load_b64 v[8:9], v[6:7], off offset:128
	global_load_b64 v[6:7], v[10:11], off offset:128
.LBB93_44:                              ;   in Loop: Header=BB93_35 Depth=2
	s_wait_xcnt 0x0
	s_or_b32 exec_lo, exec_lo, s63
	s_wait_loadcnt 0x0
	v_mov_b64_e32 v[52:53], v[8:9]
	v_mov_b64_e32 v[46:47], v[6:7]
.LBB93_45:                              ;   in Loop: Header=BB93_35 Depth=2
	s_wait_xcnt 0x0
	ds_load_b128 v[10:13], v68
	v_cmp_ne_u32_e32 vcc_lo, 1, v84
	s_mov_b32 s63, -1
                                        ; implicit-def: $vgpr6_vgpr7_vgpr8_vgpr9
	s_cbranch_vccnz .LBB93_47
; %bb.46:                               ;   in Loop: Header=BB93_35 Depth=2
	v_add_nc_u64_e32 v[6:7], s[56:57], v[56:57]
	v_add_nc_u64_e32 v[8:9], s[56:57], v[54:55]
	s_mov_b32 s63, 0
	global_load_b64 v[6:7], v[6:7], off offset:256
	global_load_b64 v[8:9], v[8:9], off offset:256
.LBB93_47:                              ;   in Loop: Header=BB93_35 Depth=2
	s_and_not1_b32 vcc_lo, exec_lo, s63
	s_cbranch_vccnz .LBB93_55
; %bb.48:                               ;   in Loop: Header=BB93_35 Depth=2
                                        ; implicit-def: $vgpr6_vgpr7_vgpr8_vgpr9
	s_wait_xcnt 0x0
	s_and_saveexec_b32 s63, s2
	s_delay_alu instid0(SALU_CYCLE_1)
	s_xor_b32 s63, exec_lo, s63
	s_cbranch_execz .LBB93_52
; %bb.49:                               ;   in Loop: Header=BB93_35 Depth=2
	s_wait_loadcnt 0x0
	v_mov_b64_e32 v[8:9], v[4:5]
	v_mov_b64_e32 v[6:7], v[2:3]
	s_and_saveexec_b32 s64, s3
	s_cbranch_execz .LBB93_51
; %bb.50:                               ;   in Loop: Header=BB93_35 Depth=2
	v_add_nc_u64_e32 v[6:7], s[56:57], v[56:57]
	global_load_b64 v[58:59], v[6:7], off offset:256
	s_wait_xcnt 0x0
	v_mov_b64_e32 v[8:9], v[4:5]
	v_mov_b64_e32 v[6:7], v[2:3]
	s_wait_loadcnt 0x0
	v_dual_mov_b32 v6, v58 :: v_dual_mov_b32 v7, v59
.LBB93_51:                              ;   in Loop: Header=BB93_35 Depth=2
	s_or_b32 exec_lo, exec_lo, s64
.LBB93_52:                              ;   in Loop: Header=BB93_35 Depth=2
	s_and_not1_saveexec_b32 s63, s63
	s_cbranch_execz .LBB93_54
; %bb.53:                               ;   in Loop: Header=BB93_35 Depth=2
	s_wait_loadcnt 0x1
	v_add_nc_u64_e32 v[6:7], s[56:57], v[56:57]
	s_wait_loadcnt 0x0
	v_add_nc_u64_e32 v[8:9], s[56:57], v[54:55]
	global_load_b64 v[6:7], v[6:7], off offset:256
	global_load_b64 v[8:9], v[8:9], off offset:256
.LBB93_54:                              ;   in Loop: Header=BB93_35 Depth=2
	s_wait_xcnt 0x0
	s_or_b32 exec_lo, exec_lo, s63
.LBB93_55:                              ;   in Loop: Header=BB93_35 Depth=2
	v_add_nc_u64_e32 v[58:59], s[18:19], v[50:51]
	s_wait_loadcnt_dscnt 0x200
	v_fma_f64 v[86:87], v[2:3], v[10:11], 0
	s_wait_loadcnt 0x1
	v_fma_f64 v[10:11], v[52:53], v[10:11], 0
	v_add_nc_u32_e32 v1, v14, v64
	global_load_b64 v[58:59], v[58:59], off
	s_wait_loadcnt 0x0
	s_barrier_signal -1
	s_barrier_wait -1
	v_fmac_f64_e32 v[86:87], v[4:5], v[12:13]
	v_fmac_f64_e32 v[10:11], v[46:47], v[12:13]
	ds_store_2addr_b64 v1, v[86:87], v[10:11] offset1:16
	s_wait_dscnt 0x0
	s_barrier_signal -1
	s_barrier_wait -1
	s_wait_xcnt 0x0
	s_and_saveexec_b32 s63, s0
	s_cbranch_execz .LBB93_57
; %bb.56:                               ;   in Loop: Header=BB93_35 Depth=2
	ds_load_2addr_b64 v[10:13], v63 offset1:32
	v_add_nc_u32_e32 v1, 0x800, v63
	s_wait_dscnt 0x0
	v_add_f64_e32 v[10:11], 0, v[10:11]
	s_delay_alu instid0(VALU_DEP_1) | instskip(SKIP_3) | instid1(VALU_DEP_1)
	v_add_f64_e32 v[86:87], v[10:11], v[12:13]
	ds_load_2addr_b64 v[10:13], v63 offset0:64 offset1:96
	s_wait_dscnt 0x0
	v_add_f64_e32 v[10:11], v[86:87], v[10:11]
	v_add_f64_e32 v[86:87], v[10:11], v[12:13]
	ds_load_2addr_b64 v[10:13], v63 offset0:128 offset1:160
	s_wait_dscnt 0x0
	v_add_f64_e32 v[10:11], v[86:87], v[10:11]
	s_delay_alu instid0(VALU_DEP_1) | instskip(SKIP_3) | instid1(VALU_DEP_1)
	v_add_f64_e32 v[86:87], v[10:11], v[12:13]
	ds_load_2addr_b64 v[10:13], v63 offset0:192 offset1:224
	s_wait_dscnt 0x0
	v_add_f64_e32 v[10:11], v[86:87], v[10:11]
	v_add_f64_e32 v[86:87], v[10:11], v[12:13]
	ds_load_2addr_b64 v[10:13], v1 offset1:32
	s_wait_dscnt 0x0
	v_add_f64_e32 v[10:11], v[86:87], v[10:11]
	s_delay_alu instid0(VALU_DEP_1) | instskip(SKIP_3) | instid1(VALU_DEP_1)
	v_add_f64_e32 v[86:87], v[10:11], v[12:13]
	ds_load_2addr_b64 v[10:13], v1 offset0:64 offset1:96
	s_wait_dscnt 0x0
	v_add_f64_e32 v[10:11], v[86:87], v[10:11]
	v_add_f64_e32 v[86:87], v[10:11], v[12:13]
	ds_load_2addr_b64 v[10:13], v1 offset0:128 offset1:160
	s_wait_dscnt 0x0
	v_add_f64_e32 v[10:11], v[86:87], v[10:11]
	s_delay_alu instid0(VALU_DEP_1) | instskip(SKIP_3) | instid1(VALU_DEP_1)
	v_add_f64_e32 v[86:87], v[10:11], v[12:13]
	ds_load_2addr_b64 v[10:13], v1 offset0:192 offset1:224
	s_wait_dscnt 0x0
	v_add_f64_e32 v[10:11], v[86:87], v[10:11]
	v_add_f64_e32 v[10:11], v[10:11], v[12:13]
	v_lshl_add_u64 v[12:13], v[24:25], 3, v[42:43]
	v_add_nc_u64_e32 v[42:43], s[42:43], v[42:43]
	s_delay_alu instid0(VALU_DEP_3)
	v_mul_f64_e32 v[10:11], v[36:37], v[10:11]
	global_atomic_add_f64 v[12:13], v[10:11], off scope:SCOPE_DEV
.LBB93_57:                              ;   in Loop: Header=BB93_35 Depth=2
	s_wait_xcnt 0x0
	s_or_b32 exec_lo, exec_lo, s63
	v_fmac_f64_e32 v[38:39], v[44:45], v[2:3]
	v_fmac_f64_e32 v[40:41], v[44:45], v[4:5]
	v_add_nc_u64_e32 v[54:55], 0x100, v[54:55]
	v_add_nc_u64_e32 v[56:57], 0x100, v[56:57]
	;; [unrolled: 1-line block ×4, first 2 shown]
	s_add_co_i32 s62, s62, -1
	s_add_nc_u64 s[58:59], s[58:59], 0x100
	s_cmp_eq_u32 s62, 0
	s_add_nc_u64 s[60:61], s[60:61], s[40:41]
	v_fmac_f64_e32 v[38:39], v[60:61], v[52:53]
	v_fmac_f64_e32 v[40:41], v[60:61], v[46:47]
	s_cbranch_scc1 .LBB93_61
; %bb.58:                               ;   in Loop: Header=BB93_35 Depth=2
	v_mov_b64_e32 v[2:3], v[6:7]
	v_mov_b64_e32 v[44:45], v[58:59]
	;; [unrolled: 1-line block ×5, first 2 shown]
	s_branch .LBB93_35
.LBB93_59:                              ;   in Loop: Header=BB93_3 Depth=1
	v_mov_b64_e32 v[40:41], 0
	v_mov_b64_e32 v[38:39], 0
	s_branch .LBB93_75
.LBB93_60:                              ;   in Loop: Header=BB93_3 Depth=1
	s_wait_loadcnt 0x1
	s_wait_xcnt 0x0
	v_mov_b64_e32 v[8:9], v[4:5]
	v_mov_b64_e32 v[42:43], s[60:61]
	;; [unrolled: 1-line block ×6, first 2 shown]
	s_wait_loadcnt 0x0
	v_mov_b64_e32 v[58:59], v[44:45]
	s_branch .LBB93_62
.LBB93_61:                              ;   in Loop: Header=BB93_3 Depth=1
	s_add_nc_u64 s[64:65], s[60:61], s[18:19]
	s_add_nc_u64 s[58:59], s[58:59], s[56:57]
.LBB93_62:                              ;   in Loop: Header=BB93_3 Depth=1
	v_lshl_add_u64 v[2:3], v[22:23], 3, s[64:65]
	v_cmp_ne_u32_e32 vcc_lo, 1, v84
	s_mov_b32 s56, -1
                                        ; implicit-def: $vgpr4_vgpr5
                                        ; implicit-def: $vgpr10_vgpr11
	global_load_b64 v[2:3], v[2:3], off
	s_cbranch_vccnz .LBB93_64
; %bb.63:                               ;   in Loop: Header=BB93_3 Depth=1
	v_lshl_add_u64 v[4:5], v[16:17], 3, s[58:59]
	s_mov_b32 s56, 0
	s_delay_alu instid0(VALU_DEP_1)
	v_lshl_add_u64 v[12:13], s[12:13], 3, v[4:5]
	s_clause 0x1
	global_load_b64 v[10:11], v[4:5], off offset:128
	global_load_b64 v[4:5], v[12:13], off offset:128
.LBB93_64:                              ;   in Loop: Header=BB93_3 Depth=1
	s_and_not1_b32 vcc_lo, exec_lo, s56
	s_cbranch_vccnz .LBB93_72
; %bb.65:                               ;   in Loop: Header=BB93_3 Depth=1
	s_wait_xcnt 0x0
	s_and_saveexec_b32 s56, s2
	s_delay_alu instid0(SALU_CYCLE_1)
	s_xor_b32 s56, exec_lo, s56
	s_cbranch_execz .LBB93_69
; %bb.66:                               ;   in Loop: Header=BB93_3 Depth=1
	s_and_saveexec_b32 s57, s3
	s_cbranch_execz .LBB93_68
; %bb.67:                               ;   in Loop: Header=BB93_3 Depth=1
	s_wait_loadcnt 0x0
	v_lshl_add_u64 v[4:5], v[16:17], 3, s[58:59]
	global_load_b64 v[52:53], v[4:5], off offset:128
.LBB93_68:                              ;   in Loop: Header=BB93_3 Depth=1
	s_wait_xcnt 0x0
	s_or_b32 exec_lo, exec_lo, s57
.LBB93_69:                              ;   in Loop: Header=BB93_3 Depth=1
	s_and_not1_saveexec_b32 s56, s56
	s_cbranch_execz .LBB93_71
; %bb.70:                               ;   in Loop: Header=BB93_3 Depth=1
	s_wait_loadcnt 0x0
	v_lshl_add_u64 v[4:5], v[16:17], 3, s[58:59]
	s_delay_alu instid0(VALU_DEP_1)
	v_lshl_add_u64 v[10:11], s[12:13], 3, v[4:5]
	s_clause 0x1
	global_load_b64 v[52:53], v[4:5], off offset:128
	global_load_b64 v[46:47], v[10:11], off offset:128
.LBB93_71:                              ;   in Loop: Header=BB93_3 Depth=1
	s_wait_xcnt 0x0
	s_or_b32 exec_lo, exec_lo, s56
	s_wait_loadcnt 0x0
	v_mov_b64_e32 v[10:11], v[52:53]
	v_mov_b64_e32 v[4:5], v[46:47]
.LBB93_72:                              ;   in Loop: Header=BB93_3 Depth=1
	ds_load_b128 v[44:47], v68
	v_add_nc_u32_e32 v1, v14, v64
	s_wait_storecnt 0x0
	s_wait_loadcnt_dscnt 0x0
	s_barrier_signal -1
	s_barrier_wait -1
	s_wait_xcnt 0x0
	v_fma_f64 v[12:13], v[6:7], v[44:45], 0
	v_fma_f64 v[44:45], v[10:11], v[44:45], 0
	s_delay_alu instid0(VALU_DEP_2) | instskip(NEXT) | instid1(VALU_DEP_2)
	v_fmac_f64_e32 v[12:13], v[8:9], v[46:47]
	v_fmac_f64_e32 v[44:45], v[4:5], v[46:47]
	ds_store_2addr_b64 v1, v[12:13], v[44:45] offset1:16
	s_wait_dscnt 0x0
	s_barrier_signal -1
	s_barrier_wait -1
	s_and_saveexec_b32 s56, s0
	s_cbranch_execz .LBB93_74
; %bb.73:                               ;   in Loop: Header=BB93_3 Depth=1
	ds_load_2addr_b64 v[44:47], v63 offset1:32
	v_add_nc_u32_e32 v1, 0x800, v63
	v_lshl_add_u64 v[42:43], v[24:25], 3, v[42:43]
	s_wait_dscnt 0x0
	v_add_f64_e32 v[12:13], 0, v[44:45]
	s_delay_alu instid0(VALU_DEP_1) | instskip(SKIP_3) | instid1(VALU_DEP_1)
	v_add_f64_e32 v[12:13], v[12:13], v[46:47]
	ds_load_2addr_b64 v[44:47], v63 offset0:64 offset1:96
	s_wait_dscnt 0x0
	v_add_f64_e32 v[12:13], v[12:13], v[44:45]
	v_add_f64_e32 v[12:13], v[12:13], v[46:47]
	ds_load_2addr_b64 v[44:47], v63 offset0:128 offset1:160
	s_wait_dscnt 0x0
	v_add_f64_e32 v[12:13], v[12:13], v[44:45]
	s_delay_alu instid0(VALU_DEP_1) | instskip(SKIP_3) | instid1(VALU_DEP_1)
	v_add_f64_e32 v[12:13], v[12:13], v[46:47]
	ds_load_2addr_b64 v[44:47], v63 offset0:192 offset1:224
	s_wait_dscnt 0x0
	v_add_f64_e32 v[12:13], v[12:13], v[44:45]
	v_add_f64_e32 v[12:13], v[12:13], v[46:47]
	ds_load_2addr_b64 v[44:47], v1 offset1:32
	s_wait_dscnt 0x0
	v_add_f64_e32 v[12:13], v[12:13], v[44:45]
	s_delay_alu instid0(VALU_DEP_1) | instskip(SKIP_3) | instid1(VALU_DEP_1)
	v_add_f64_e32 v[12:13], v[12:13], v[46:47]
	ds_load_2addr_b64 v[44:47], v1 offset0:64 offset1:96
	s_wait_dscnt 0x0
	v_add_f64_e32 v[12:13], v[12:13], v[44:45]
	v_add_f64_e32 v[12:13], v[12:13], v[46:47]
	ds_load_2addr_b64 v[44:47], v1 offset0:128 offset1:160
	s_wait_dscnt 0x0
	v_add_f64_e32 v[12:13], v[12:13], v[44:45]
	s_delay_alu instid0(VALU_DEP_1) | instskip(SKIP_3) | instid1(VALU_DEP_1)
	v_add_f64_e32 v[12:13], v[12:13], v[46:47]
	ds_load_2addr_b64 v[44:47], v1 offset0:192 offset1:224
	s_wait_dscnt 0x0
	v_add_f64_e32 v[12:13], v[12:13], v[44:45]
	v_add_f64_e32 v[12:13], v[12:13], v[46:47]
	s_delay_alu instid0(VALU_DEP_1)
	v_mul_f64_e32 v[12:13], v[36:37], v[12:13]
	global_atomic_add_f64 v[42:43], v[12:13], off scope:SCOPE_DEV
.LBB93_74:                              ;   in Loop: Header=BB93_3 Depth=1
	s_wait_xcnt 0x0
	s_or_b32 exec_lo, exec_lo, s56
	v_fmac_f64_e32 v[38:39], v[58:59], v[6:7]
	v_fmac_f64_e32 v[40:41], v[58:59], v[8:9]
	s_delay_alu instid0(VALU_DEP_2) | instskip(NEXT) | instid1(VALU_DEP_2)
	v_fmac_f64_e32 v[38:39], v[2:3], v[10:11]
	v_fmac_f64_e32 v[40:41], v[2:3], v[4:5]
.LBB93_75:                              ;   in Loop: Header=BB93_3 Depth=1
	s_cmp_lt_u32 s36, s69
	ds_store_2addr_b64 v67, v[38:39], v[40:41] offset1:16
	s_cselect_b32 s56, -1, 0
	s_wait_storecnt 0x0
	s_wait_loadcnt_dscnt 0x0
	s_or_b32 s56, s1, s56
	s_barrier_signal -1
	s_and_b32 s56, s0, s56
	s_barrier_wait -1
	s_wait_xcnt 0x0
	s_and_b32 exec_lo, exec_lo, s56
	s_cbranch_execz .LBB93_2
; %bb.76:                               ;   in Loop: Header=BB93_3 Depth=1
	ds_load_b64 v[2:3], v69
	ds_load_b64 v[4:5], v70
	;; [unrolled: 1-line block ×4, first 2 shown]
	s_add_nc_u64 s[54:55], s[54:55], s[52:53]
	s_wait_dscnt 0x3
	v_add_f64_e32 v[2:3], 0, v[2:3]
	s_wait_dscnt 0x2
	s_delay_alu instid0(VALU_DEP_1) | instskip(SKIP_1) | instid1(VALU_DEP_1)
	v_add_f64_e32 v[2:3], v[2:3], v[4:5]
	s_wait_dscnt 0x1
	v_add_f64_e32 v[2:3], v[2:3], v[6:7]
	s_wait_dscnt 0x0
	s_delay_alu instid0(VALU_DEP_1)
	v_add_f64_e32 v[2:3], v[2:3], v[8:9]
	ds_load_b64 v[4:5], v73
	ds_load_b64 v[6:7], v74
	ds_load_b64 v[8:9], v75
	ds_load_b64 v[10:11], v76
	s_wait_dscnt 0x3
	v_add_f64_e32 v[2:3], v[2:3], v[4:5]
	s_wait_dscnt 0x2
	s_delay_alu instid0(VALU_DEP_1) | instskip(SKIP_1) | instid1(VALU_DEP_1)
	v_add_f64_e32 v[2:3], v[2:3], v[6:7]
	s_wait_dscnt 0x1
	v_add_f64_e32 v[2:3], v[2:3], v[8:9]
	s_wait_dscnt 0x0
	s_delay_alu instid0(VALU_DEP_1)
	v_add_f64_e32 v[2:3], v[2:3], v[10:11]
	ds_load_b64 v[4:5], v77
	ds_load_b64 v[6:7], v78
	ds_load_b64 v[8:9], v79
	ds_load_b64 v[10:11], v80
	;; [unrolled: 14-line block ×3, first 2 shown]
	s_wait_dscnt 0x3
	v_add_f64_e32 v[2:3], v[2:3], v[4:5]
	v_lshl_add_u64 v[4:5], v[24:25], 3, s[54:55]
	s_wait_dscnt 0x2
	s_delay_alu instid0(VALU_DEP_2) | instskip(SKIP_1) | instid1(VALU_DEP_1)
	v_add_f64_e32 v[2:3], v[2:3], v[6:7]
	s_wait_dscnt 0x1
	v_add_f64_e32 v[2:3], v[2:3], v[8:9]
	s_wait_dscnt 0x0
	s_delay_alu instid0(VALU_DEP_1) | instskip(NEXT) | instid1(VALU_DEP_1)
	v_add_f64_e32 v[2:3], v[2:3], v[10:11]
	v_mul_f64_e32 v[2:3], v[36:37], v[2:3]
	global_atomic_add_f64 v[4:5], v[2:3], off scope:SCOPE_DEV
	s_branch .LBB93_2
.LBB93_77:
	s_sendmsg sendmsg(MSG_DEALLOC_VGPRS)
	s_endpgm
	.section	.rodata,"a",@progbits
	.p2align	6, 0x0
	.amdhsa_kernel _ZL62rocblas_symv_kernel_upper_double_buffered_non_diagonal_genericILi32ELi8ELi2ELi1E24rocblas_internal_val_ptrIdEPKdPdEvbiT3_lT4_lllS6_lllT5_lllii
		.amdhsa_group_segment_fixed_size 10496
		.amdhsa_private_segment_fixed_size 0
		.amdhsa_kernarg_size 384
		.amdhsa_user_sgpr_count 4
		.amdhsa_user_sgpr_dispatch_ptr 1
		.amdhsa_user_sgpr_queue_ptr 0
		.amdhsa_user_sgpr_kernarg_segment_ptr 1
		.amdhsa_user_sgpr_dispatch_id 0
		.amdhsa_user_sgpr_kernarg_preload_length 0
		.amdhsa_user_sgpr_kernarg_preload_offset 0
		.amdhsa_user_sgpr_private_segment_size 0
		.amdhsa_wavefront_size32 1
		.amdhsa_uses_dynamic_stack 0
		.amdhsa_enable_private_segment 0
		.amdhsa_system_sgpr_workgroup_id_x 1
		.amdhsa_system_sgpr_workgroup_id_y 1
		.amdhsa_system_sgpr_workgroup_id_z 1
		.amdhsa_system_sgpr_workgroup_info 0
		.amdhsa_system_vgpr_workitem_id 2
		.amdhsa_next_free_vgpr 88
		.amdhsa_next_free_sgpr 71
		.amdhsa_named_barrier_count 0
		.amdhsa_reserve_vcc 1
		.amdhsa_float_round_mode_32 0
		.amdhsa_float_round_mode_16_64 0
		.amdhsa_float_denorm_mode_32 3
		.amdhsa_float_denorm_mode_16_64 3
		.amdhsa_fp16_overflow 0
		.amdhsa_memory_ordered 1
		.amdhsa_forward_progress 1
		.amdhsa_inst_pref_size 31
		.amdhsa_round_robin_scheduling 0
		.amdhsa_exception_fp_ieee_invalid_op 0
		.amdhsa_exception_fp_denorm_src 0
		.amdhsa_exception_fp_ieee_div_zero 0
		.amdhsa_exception_fp_ieee_overflow 0
		.amdhsa_exception_fp_ieee_underflow 0
		.amdhsa_exception_fp_ieee_inexact 0
		.amdhsa_exception_int_div_zero 0
	.end_amdhsa_kernel
	.section	.text._ZL62rocblas_symv_kernel_upper_double_buffered_non_diagonal_genericILi32ELi8ELi2ELi1E24rocblas_internal_val_ptrIdEPKdPdEvbiT3_lT4_lllS6_lllT5_lllii,"axG",@progbits,_ZL62rocblas_symv_kernel_upper_double_buffered_non_diagonal_genericILi32ELi8ELi2ELi1E24rocblas_internal_val_ptrIdEPKdPdEvbiT3_lT4_lllS6_lllT5_lllii,comdat
.Lfunc_end93:
	.size	_ZL62rocblas_symv_kernel_upper_double_buffered_non_diagonal_genericILi32ELi8ELi2ELi1E24rocblas_internal_val_ptrIdEPKdPdEvbiT3_lT4_lllS6_lllT5_lllii, .Lfunc_end93-_ZL62rocblas_symv_kernel_upper_double_buffered_non_diagonal_genericILi32ELi8ELi2ELi1E24rocblas_internal_val_ptrIdEPKdPdEvbiT3_lT4_lllS6_lllT5_lllii
                                        ; -- End function
	.set _ZL62rocblas_symv_kernel_upper_double_buffered_non_diagonal_genericILi32ELi8ELi2ELi1E24rocblas_internal_val_ptrIdEPKdPdEvbiT3_lT4_lllS6_lllT5_lllii.num_vgpr, 88
	.set _ZL62rocblas_symv_kernel_upper_double_buffered_non_diagonal_genericILi32ELi8ELi2ELi1E24rocblas_internal_val_ptrIdEPKdPdEvbiT3_lT4_lllS6_lllT5_lllii.num_agpr, 0
	.set _ZL62rocblas_symv_kernel_upper_double_buffered_non_diagonal_genericILi32ELi8ELi2ELi1E24rocblas_internal_val_ptrIdEPKdPdEvbiT3_lT4_lllS6_lllT5_lllii.numbered_sgpr, 71
	.set _ZL62rocblas_symv_kernel_upper_double_buffered_non_diagonal_genericILi32ELi8ELi2ELi1E24rocblas_internal_val_ptrIdEPKdPdEvbiT3_lT4_lllS6_lllT5_lllii.num_named_barrier, 0
	.set _ZL62rocblas_symv_kernel_upper_double_buffered_non_diagonal_genericILi32ELi8ELi2ELi1E24rocblas_internal_val_ptrIdEPKdPdEvbiT3_lT4_lllS6_lllT5_lllii.private_seg_size, 0
	.set _ZL62rocblas_symv_kernel_upper_double_buffered_non_diagonal_genericILi32ELi8ELi2ELi1E24rocblas_internal_val_ptrIdEPKdPdEvbiT3_lT4_lllS6_lllT5_lllii.uses_vcc, 1
	.set _ZL62rocblas_symv_kernel_upper_double_buffered_non_diagonal_genericILi32ELi8ELi2ELi1E24rocblas_internal_val_ptrIdEPKdPdEvbiT3_lT4_lllS6_lllT5_lllii.uses_flat_scratch, 0
	.set _ZL62rocblas_symv_kernel_upper_double_buffered_non_diagonal_genericILi32ELi8ELi2ELi1E24rocblas_internal_val_ptrIdEPKdPdEvbiT3_lT4_lllS6_lllT5_lllii.has_dyn_sized_stack, 0
	.set _ZL62rocblas_symv_kernel_upper_double_buffered_non_diagonal_genericILi32ELi8ELi2ELi1E24rocblas_internal_val_ptrIdEPKdPdEvbiT3_lT4_lllS6_lllT5_lllii.has_recursion, 0
	.set _ZL62rocblas_symv_kernel_upper_double_buffered_non_diagonal_genericILi32ELi8ELi2ELi1E24rocblas_internal_val_ptrIdEPKdPdEvbiT3_lT4_lllS6_lllT5_lllii.has_indirect_call, 0
	.section	.AMDGPU.csdata,"",@progbits
; Kernel info:
; codeLenInByte = 3872
; TotalNumSgprs: 73
; NumVgprs: 88
; ScratchSize: 0
; MemoryBound: 1
; FloatMode: 240
; IeeeMode: 1
; LDSByteSize: 10496 bytes/workgroup (compile time only)
; SGPRBlocks: 0
; VGPRBlocks: 5
; NumSGPRsForWavesPerEU: 73
; NumVGPRsForWavesPerEU: 88
; NamedBarCnt: 0
; Occupancy: 10
; WaveLimiterHint : 1
; COMPUTE_PGM_RSRC2:SCRATCH_EN: 0
; COMPUTE_PGM_RSRC2:USER_SGPR: 4
; COMPUTE_PGM_RSRC2:TRAP_HANDLER: 0
; COMPUTE_PGM_RSRC2:TGID_X_EN: 1
; COMPUTE_PGM_RSRC2:TGID_Y_EN: 1
; COMPUTE_PGM_RSRC2:TGID_Z_EN: 1
; COMPUTE_PGM_RSRC2:TIDIG_COMP_CNT: 2
	.section	.text._ZL26rocblas_hemvn_kernel_upperILb0ELi64ELi4ELi33ELi32ELi16ElPKdS1_PdEviT6_lT7_lT5_lS4_lS5_lS3_lT8_i,"axG",@progbits,_ZL26rocblas_hemvn_kernel_upperILb0ELi64ELi4ELi33ELi32ELi16ElPKdS1_PdEviT6_lT7_lT5_lS4_lS5_lS3_lT8_i,comdat
	.globl	_ZL26rocblas_hemvn_kernel_upperILb0ELi64ELi4ELi33ELi32ELi16ElPKdS1_PdEviT6_lT7_lT5_lS4_lS5_lS3_lT8_i ; -- Begin function _ZL26rocblas_hemvn_kernel_upperILb0ELi64ELi4ELi33ELi32ELi16ElPKdS1_PdEviT6_lT7_lT5_lS4_lS5_lS3_lT8_i
	.p2align	8
	.type	_ZL26rocblas_hemvn_kernel_upperILb0ELi64ELi4ELi33ELi32ELi16ElPKdS1_PdEviT6_lT7_lT5_lS4_lS5_lS3_lT8_i,@function
_ZL26rocblas_hemvn_kernel_upperILb0ELi64ELi4ELi33ELi32ELi16ElPKdS1_PdEviT6_lT7_lT5_lS4_lS5_lS3_lT8_i: ; @_ZL26rocblas_hemvn_kernel_upperILb0ELi64ELi4ELi33ELi32ELi16ElPKdS1_PdEviT6_lT7_lT5_lS4_lS5_lS3_lT8_i
; %bb.0:
	s_clause 0x1
	s_load_b64 s[4:5], s[0:1], 0x84
	s_load_b32 s33, s[0:1], 0x70
	s_bfe_u32 s2, ttmp6, 0x40014
	s_lshr_b32 s3, ttmp7, 16
	s_add_co_i32 s2, s2, 1
	s_bfe_u32 s6, ttmp6, 0x40008
	s_mul_i32 s7, s3, s2
	s_getreg_b32 s2, hwreg(HW_REG_IB_STS2, 6, 4)
	s_add_co_i32 s6, s6, s7
	s_mov_b32 s29, 0
	s_wait_kmcnt 0x0
	s_lshr_b32 s7, s4, 16
	s_and_b32 s4, s4, 0xffff
	s_and_b32 s5, s5, 0xffff
	s_mul_i32 s4, s7, s4
	s_cmp_eq_u32 s2, 0
	s_mul_i32 s4, s4, s5
	s_cselect_b32 s28, s3, s6
	s_cmp_lg_u32 s4, 0x100
	s_cselect_b32 s3, -1, 0
	s_cmp_ge_u32 s28, s33
	s_cselect_b32 s4, -1, 0
	s_delay_alu instid0(SALU_CYCLE_1) | instskip(NEXT) | instid1(SALU_CYCLE_1)
	s_or_b32 s3, s3, s4
	s_and_b32 vcc_lo, exec_lo, s3
	s_cbranch_vccnz .LBB94_129
; %bb.1:
	s_load_b32 s4, s[0:1], 0x0
	s_add_nc_u64 s[8:9], s[0:1], 0x78
	s_clause 0x2
	s_load_b512 s[36:51], s[0:1], 0x8
	s_load_b64 s[6:7], s[0:1], 0x68
	s_load_b256 s[20:27], s[0:1], 0x48
	s_wait_xcnt 0x0
	s_bfe_u32 s0, ttmp6, 0x4000c
	v_and_b32_e32 v170, 0x3ff, v0
	s_add_co_i32 s0, s0, 1
	v_bfe_u32 v1, v0, 10, 10
	s_and_b32 s1, ttmp6, 15
	s_mul_i32 s3, ttmp9, s0
	v_dual_mov_b32 v59, 0 :: v_dual_bitop2_b32 v56, 31, v0 bitop3:0x40
	s_add_co_i32 s1, s1, s3
	v_lshl_add_u32 v36, v1, 6, v170
	s_load_b32 s30, s[8:9], 0x0
	s_delay_alu instid0(VALU_DEP_2) | instskip(SKIP_1) | instid1(VALU_DEP_3)
	v_dual_mov_b32 v57, v59 :: v_dual_lshlrev_b32 v60, 3, v170
	v_lshlrev_b32_e32 v38, 3, v56
	v_lshrrev_b32_e32 v37, 5, v36
	s_mov_b32 s31, s29
	v_and_b32_e32 v44, 0x7fe0, v36
	s_wait_kmcnt 0x0
	s_ashr_i32 s5, s4, 31
	s_cmp_eq_u32 s2, 0
	v_mad_nc_u64_u32 v[2:3], s44, v37, v[56:57]
	s_cselect_b32 s34, ttmp9, s1
	s_lshr_b32 s1, s5, 26
	s_lshl_b32 s18, s34, 6
	s_add_co_i32 s1, s4, s1
	v_dual_add_nc_u32 v62, s18, v170 :: v_dual_add_nc_u32 v40, 8, v37
	s_and_not1_b32 s1, s1, 63
	s_lshl_b64 s[2:3], s[50:51], 3
	s_lshl_b64 s[8:9], s[42:43], 3
	s_delay_alu instid0(VALU_DEP_1) | instskip(NEXT) | instid1(VALU_DEP_3)
	v_dual_ashrrev_i32 v63, 31, v62 :: v_dual_lshlrev_b32 v58, 5, v1
	v_mad_u32 v3, s45, v37, v3
	s_add_co_i32 s10, s30, -1
	s_mul_u64 s[52:53], s[30:31], s[4:5]
	s_delay_alu instid0(VALU_DEP_2)
	v_mul_u64_e32 v[4:5], s[20:21], v[62:63]
	s_sub_co_i32 s31, s4, s1
	s_cmp_eq_u32 s34, s10
	s_add_nc_u64 s[8:9], s[40:41], s[8:9]
	s_cselect_b32 s42, s31, 0
	v_dual_add_nc_u32 v41, 16, v37 :: v_dual_lshlrev_b32 v42, 2, v37
	s_cmp_lg_u32 s42, 0
	s_delay_alu instid0(VALU_DEP_3)
	v_lshlrev_b64_e32 v[2:3], 3, v[2:3]
	s_cselect_b32 s68, -1, 0
	s_cmp_eq_u32 s42, 0
	v_dual_add_nc_u32 v43, 24, v37 :: v_dual_bitop2_b32 v8, 2, v42 bitop3:0x54
	s_cselect_b32 s14, -1, 0
	s_ashr_i32 s19, s18, 31
	s_ashr_i32 s35, s34, 31
	s_lshl_b64 s[12:13], s[18:19], 3
	v_lshl_or_b32 v171, v56, 8, v38
	s_add_nc_u64 s[8:9], s[8:9], s[12:13]
	v_or_b32_e32 v9, 3, v42
	v_add_nc_u64_e32 v[6:7], s[8:9], v[2:3]
	s_mul_u64 s[4:5], s[4:5], s[34:35]
	s_add_nc_u64 s[10:11], s[48:49], s[2:3]
	s_lshl_b64 s[4:5], s[4:5], 3
	s_mul_u64 s[8:9], s[44:45], s[18:19]
	s_add_nc_u64 s[48:49], s[6:7], s[4:5]
	v_cmp_gt_u32_e64 s5, v8, v56
	v_lshl_add_u64 v[64:65], s[8:9], 3, v[6:7]
	v_add_nc_u64_e32 v[6:7], 0x110, v[58:59]
	v_add_nc_u64_e32 v[10:11], 0x108, v[58:59]
	;; [unrolled: 1-line block ×4, first 2 shown]
	v_lshl_add_u64 v[66:67], v[4:5], 3, s[10:11]
	v_add_nc_u64_e32 v[4:5], 0x100, v[58:59]
	v_add_nc_u64_e32 v[16:17], 0x190, v[58:59]
	;; [unrolled: 1-line block ×11, first 2 shown]
	v_add_nc_u32_e32 v172, v171, v44
	v_cmp_gt_u32_e64 s6, v9, v56
	v_add_nc_u64_e32 v[8:9], 0x118, v[58:59]
	v_mul_u64_e32 v[4:5], s[44:45], v[4:5]
	v_mul_u64_e32 v[6:7], s[44:45], v[6:7]
	;; [unrolled: 1-line block ×16, first 2 shown]
	v_cmp_gt_i32_e32 vcc_lo, s42, v170
	s_sub_co_i32 s16, s42, 32
	v_cmp_gt_i32_e64 s4, s42, v41
	v_cmp_gt_i32_e64 s7, s42, v43
	v_cmp_gt_u32_e64 s8, v42, v56
	s_or_b32 s35, s14, vcc_lo
	v_cmp_ge_u32_e64 s10, v42, v56
	v_or_b32_e32 v42, 1, v42
	v_cmp_gt_i32_e64 s13, s16, v41
	v_cmp_gt_i32_e64 s14, s16, v43
	v_lshrrev_b32_e32 v41, 4, v36
	v_and_b32_e32 v43, 15, v0
	v_and_b32_e32 v0, 48, v0
	v_or_b32_e32 v45, 32, v56
	v_mul_u32_u24_e32 v39, 0x108, v37
	v_cmp_gt_i32_e64 s3, s42, v40
	v_sub_nc_u64_e32 v[68:69], v[4:5], v[2:3]
	v_sub_nc_u64_e32 v[70:71], v[6:7], v[2:3]
	;; [unrolled: 1-line block ×16, first 2 shown]
	v_lshlrev_b32_e32 v2, 5, v41
	v_dual_lshlrev_b32 v4, 3, v37 :: v_dual_lshlrev_b32 v0, 3, v0
	v_cmp_gt_i32_e64 s11, s16, v40
	v_mul_u32_u24_e32 v40, 33, v56
	s_delay_alu instid0(VALU_DEP_4) | instskip(SKIP_4) | instid1(VALU_DEP_4)
	v_mad_u32_u24 v173, 0x218, v43, v2
	v_mul_u32_u24_e32 v2, 0x108, v42
	v_mad_u32_u24 v174, 0x218, v43, v0
	v_mul_u32_u24_e32 v0, 0x420, v37
	v_or_b32_e32 v3, 0x78, v60
	v_dual_add_nc_u32 v179, v38, v39 :: v_dual_add_nc_u32 v181, v38, v2
	s_delay_alu instid0(VALU_DEP_3)
	v_dual_lshlrev_b32 v182, 2, v1 :: v_dual_add_nc_u32 v180, v38, v0
	v_mul_i32_i24_e32 v0, 0xffffffe8, v41
	v_cmp_eq_u32_e64 s0, 0, v1
	v_sub_nc_u64_e32 v[100:101], 0, v[56:57]
	s_add_co_i32 s60, s34, 1
	v_cmp_gt_i32_e64 s1, s42, v56
	v_cmp_gt_i32_e64 s2, s42, v37
	s_ashr_i32 s43, s42, 31
	s_lshl_b64 s[40:41], s[44:45], 6
	s_lshl_b64 s[50:51], s[44:45], 7
	v_cmp_gt_i32_e64 s9, s42, v45
	v_cmp_gt_u32_e64 s12, 32, v36
	v_cmp_gt_u32_e64 s15, 64, v36
	v_mad_u32_u24 v175, 0x218, v43, v3
	v_dual_mov_b32 v61, v59 :: v_dual_add_nc_u32 v176, 0x2380, v44
	v_lshl_add_u32 v177, v40, 3, v4
	s_lshl_b64 s[56:57], s[44:45], 5
	v_cmp_gt_i32_e64 s16, s16, v37
	v_cmp_eq_u32_e64 s17, 1, v37
	v_mul_i32_i24_e32 v178, 0xffffffe8, v37
	v_mad_u32_u24 v183, 0x860, v1, v60
	v_mad_u32_u24 v184, 0x218, v1, v60
	v_dual_add_nc_u32 v185, v171, v4 :: v_dual_bitop2_b32 v191, 1, v182 bitop3:0x54
	v_add_nc_u32_e32 v186, 0x2380, v4
	v_dual_add_nc_u32 v187, v173, v0 :: v_dual_bitop2_b32 v192, 2, v182 bitop3:0x54
	v_add_nc_u32_e32 v188, 0x2380, v60
	v_add_nc_u32_e32 v189, 0x2180, v60
	;; [unrolled: 1-line block ×3, first 2 shown]
	v_dual_add_nc_u32 v194, 16, v182 :: v_dual_bitop2_b32 v193, 3, v182 bitop3:0x54
	v_dual_add_nc_u32 v195, 17, v182 :: v_dual_add_nc_u32 v196, 18, v182
	v_dual_add_nc_u32 v197, 19, v182 :: v_dual_add_nc_u32 v198, 32, v182
	;; [unrolled: 1-line block ×5, first 2 shown]
	v_add_nc_u32_e32 v204, 51, v182
	s_mul_u64 s[58:59], s[20:21], s[18:19]
	s_cmp_lt_u32 s60, s30
	s_mul_u64 s[54:55], s[44:45], 0xc0
	s_sub_nc_u64 s[58:59], 0, s[58:59]
	s_cselect_b32 s69, -1, 0
	s_add_co_i32 s70, s30, -2
	s_and_b32 s71, s0, s35
	s_mov_b64 s[60:61], 0xffffffffffffff00
	s_mov_b64 s[62:63], 0xfffffffffffffef8
	s_sub_nc_u64 s[64:65], 0, s[42:43]
	s_add_co_i32 s72, s18, 64
	s_lshl_b64 s[44:45], s[44:45], 9
	s_branch .LBB94_4
.LBB94_2:                               ;   in Loop: Header=BB94_4 Depth=1
	s_wait_xcnt 0x0
	s_or_b32 exec_lo, exec_lo, s66
.LBB94_3:                               ;   in Loop: Header=BB94_4 Depth=1
	s_add_co_i32 s28, s28, 0x10000
	s_delay_alu instid0(SALU_CYCLE_1)
	s_cmp_lt_u32 s28, s33
	s_cbranch_scc0 .LBB94_129
.LBB94_4:                               ; =>This Loop Header: Depth=1
                                        ;     Child Loop BB94_69 Depth 2
	s_mul_u64 s[18:19], s[38:39], s[28:29]
	s_wait_xcnt 0x0
	s_mul_u64 s[66:67], s[26:27], s[28:29]
	s_lshl_b64 s[18:19], s[18:19], 3
	s_lshl_b64 s[66:67], s[66:67], 3
	s_add_nc_u64 s[18:19], s[36:37], s[18:19]
	s_add_nc_u64 s[66:67], s[24:25], s[66:67]
	s_clause 0x1
	global_load_b64 v[0:1], v59, s[18:19]
	global_load_b64 v[2:3], v59, s[66:67]
	s_wait_loadcnt 0x1
	s_wait_xcnt 0x1
	v_cmp_eq_f64_e64 s18, 0, v[0:1]
	s_wait_loadcnt 0x0
	v_cmp_eq_f64_e32 vcc_lo, 1.0, v[2:3]
	s_and_b32 s19, s18, vcc_lo
	s_delay_alu instid0(SALU_CYCLE_1)
	s_and_b32 vcc_lo, exec_lo, s19
	s_cbranch_vccnz .LBB94_3
; %bb.5:                                ;   in Loop: Header=BB94_4 Depth=1
	s_and_b32 vcc_lo, exec_lo, s18
	s_cbranch_vccnz .LBB94_3
; %bb.6:                                ;   in Loop: Header=BB94_4 Depth=1
	s_mul_u64 s[18:19], s[22:23], s[28:29]
	s_delay_alu instid0(SALU_CYCLE_1)
	v_lshl_add_u64 v[12:13], s[18:19], 3, v[66:67]
	s_wait_xcnt 0x0
	s_and_saveexec_b32 s18, s0
	s_cbranch_execz .LBB94_10
; %bb.7:                                ;   in Loop: Header=BB94_4 Depth=1
	v_mov_b64_e32 v[0:1], 0
	s_and_saveexec_b32 s19, s35
	s_cbranch_execz .LBB94_9
; %bb.8:                                ;   in Loop: Header=BB94_4 Depth=1
	global_load_b64 v[0:1], v[12:13], off
.LBB94_9:                               ;   in Loop: Header=BB94_4 Depth=1
	s_wait_xcnt 0x0
	s_or_b32 exec_lo, exec_lo, s19
	s_wait_loadcnt 0x0
	ds_store_b64 v188, v[0:1]
.LBB94_10:                              ;   in Loop: Header=BB94_4 Depth=1
	s_or_b32 exec_lo, exec_lo, s18
	s_mul_u64 s[18:19], s[46:47], s[28:29]
	s_and_b32 vcc_lo, exec_lo, s68
	v_lshl_add_u64 v[2:3], s[18:19], 3, v[64:65]
	s_mov_b32 s18, -1
                                        ; implicit-def: $vgpr0_vgpr1
	s_cbranch_vccz .LBB94_20
; %bb.11:                               ;   in Loop: Header=BB94_4 Depth=1
	s_delay_alu instid0(VALU_DEP_1) | instskip(SKIP_2) | instid1(VALU_DEP_3)
	v_lshl_add_u64 v[0:1], v[100:101], 3, v[2:3]
	v_mov_b64_e32 v[6:7], 0
	v_mov_b64_e32 v[4:5], 0
	v_lshl_add_u64 v[0:1], s[42:43], 3, v[0:1]
	s_delay_alu instid0(VALU_DEP_1) | instskip(NEXT) | instid1(VALU_DEP_1)
	v_add_nc_u64_e32 v[0:1], -8, v[0:1]
	v_dual_cndmask_b32 v1, v1, v3, s1 :: v_dual_cndmask_b32 v0, v0, v2, s1
	s_and_saveexec_b32 s18, s2
	s_cbranch_execz .LBB94_13
; %bb.12:                               ;   in Loop: Header=BB94_4 Depth=1
	global_load_b64 v[4:5], v[0:1], off
.LBB94_13:                              ;   in Loop: Header=BB94_4 Depth=1
	s_wait_xcnt 0x0
	s_or_b32 exec_lo, exec_lo, s18
	s_wait_loadcnt 0x0
	ds_store_b64 v179, v[4:5]
	s_and_saveexec_b32 s18, s3
	s_cbranch_execz .LBB94_15
; %bb.14:                               ;   in Loop: Header=BB94_4 Depth=1
	v_add_nc_u64_e32 v[4:5], s[40:41], v[0:1]
	global_load_b64 v[6:7], v[4:5], off
.LBB94_15:                              ;   in Loop: Header=BB94_4 Depth=1
	s_wait_xcnt 0x0
	s_or_b32 exec_lo, exec_lo, s18
	v_mov_b64_e32 v[4:5], 0
	v_mov_b64_e32 v[8:9], 0
	s_wait_loadcnt 0x0
	ds_store_b64 v179, v[6:7] offset:2112
	s_and_saveexec_b32 s18, s4
	s_cbranch_execz .LBB94_17
; %bb.16:                               ;   in Loop: Header=BB94_4 Depth=1
	v_add_nc_u64_e32 v[6:7], s[50:51], v[0:1]
	global_load_b64 v[8:9], v[6:7], off
.LBB94_17:                              ;   in Loop: Header=BB94_4 Depth=1
	s_wait_xcnt 0x0
	s_or_b32 exec_lo, exec_lo, s18
	s_wait_loadcnt 0x0
	ds_store_b64 v179, v[8:9] offset:4224
	s_and_saveexec_b32 s18, s7
	s_cbranch_execz .LBB94_19
; %bb.18:                               ;   in Loop: Header=BB94_4 Depth=1
	v_add_nc_u64_e32 v[4:5], s[54:55], v[0:1]
	global_load_b64 v[4:5], v[4:5], off
.LBB94_19:                              ;   in Loop: Header=BB94_4 Depth=1
	s_wait_xcnt 0x0
	s_or_b32 exec_lo, exec_lo, s18
	v_lshlrev_b32_e32 v58, 3, v56
	s_mov_b32 s18, 0
	s_wait_loadcnt 0x0
	ds_store_b64 v179, v[4:5] offset:6336
	v_add_nc_u64_e32 v[0:1], v[0:1], v[58:59]
	s_delay_alu instid0(VALU_DEP_1) | instskip(NEXT) | instid1(VALU_DEP_1)
	v_lshl_add_u64 v[0:1], s[64:65], 3, v[0:1]
	v_add_nc_u64_e32 v[0:1], 8, v[0:1]
	s_delay_alu instid0(VALU_DEP_1)
	v_dual_cndmask_b32 v1, v1, v3, s1 :: v_dual_cndmask_b32 v0, v0, v2, s1
.LBB94_20:                              ;   in Loop: Header=BB94_4 Depth=1
	s_and_b32 vcc_lo, exec_lo, s18
	s_cbranch_vccz .LBB94_22
; %bb.21:                               ;   in Loop: Header=BB94_4 Depth=1
	v_add_nc_u64_e32 v[0:1], s[40:41], v[2:3]
	s_delay_alu instid0(VALU_DEP_1) | instskip(NEXT) | instid1(VALU_DEP_1)
	v_add_nc_u64_e32 v[4:5], s[40:41], v[0:1]
	v_add_nc_u64_e32 v[6:7], s[40:41], v[4:5]
	s_clause 0x3
	global_load_b64 v[8:9], v[2:3], off
	global_load_b64 v[10:11], v[0:1], off
	;; [unrolled: 1-line block ×4, first 2 shown]
	s_wait_xcnt 0x2
	v_mov_b64_e32 v[0:1], v[2:3]
	s_wait_loadcnt 0x3
	ds_store_b64 v179, v[8:9]
	s_wait_loadcnt 0x2
	ds_store_b64 v179, v[10:11] offset:2112
	s_wait_loadcnt 0x1
	ds_store_b64 v179, v[4:5] offset:4224
	;; [unrolled: 2-line block ×3, first 2 shown]
.LBB94_22:                              ;   in Loop: Header=BB94_4 Depth=1
	s_wait_dscnt 0x0
	s_barrier_signal -1
	s_barrier_wait -1
	s_wait_xcnt 0x0
	s_and_saveexec_b32 s18, s8
	s_cbranch_execnz .LBB94_123
; %bb.23:                               ;   in Loop: Header=BB94_4 Depth=1
	s_or_b32 exec_lo, exec_lo, s18
	s_and_saveexec_b32 s18, s10
	s_cbranch_execnz .LBB94_124
.LBB94_24:                              ;   in Loop: Header=BB94_4 Depth=1
	s_or_b32 exec_lo, exec_lo, s18
	s_and_saveexec_b32 s18, s5
	s_cbranch_execnz .LBB94_125
.LBB94_25:                              ;   in Loop: Header=BB94_4 Depth=1
	s_or_b32 exec_lo, exec_lo, s18
	s_and_saveexec_b32 s18, s6
	s_cbranch_execz .LBB94_27
.LBB94_26:                              ;   in Loop: Header=BB94_4 Depth=1
	ds_load_b64 v[2:3], v181 offset:528
	s_wait_dscnt 0x0
	ds_store_b64 v172, v[2:3] offset:24
.LBB94_27:                              ;   in Loop: Header=BB94_4 Depth=1
	s_or_b32 exec_lo, exec_lo, s18
	s_wait_dscnt 0x0
	s_barrier_signal -1
	s_barrier_wait -1
	ds_load_b64 v[10:11], v180
	ds_load_b128 v[2:5], v176
	ds_load_b128 v[6:9], v176 offset:16
	ds_load_b64 v[18:19], v181 offset:528
	ds_load_2addr_b64 v[14:17], v181 offset1:33
	v_mov_b64_e32 v[102:103], 0
	s_wait_dscnt 0x0
	s_barrier_signal -1
	s_barrier_wait -1
	v_fma_f64 v[2:3], v[10:11], v[2:3], 0
	s_delay_alu instid0(VALU_DEP_1) | instskip(NEXT) | instid1(VALU_DEP_1)
	v_fmac_f64_e32 v[2:3], v[14:15], v[4:5]
	v_fmac_f64_e32 v[2:3], v[16:17], v[6:7]
	s_delay_alu instid0(VALU_DEP_1)
	v_fmac_f64_e32 v[2:3], v[18:19], v[8:9]
	ds_store_b64 v177, v[2:3]
	s_wait_dscnt 0x0
	s_barrier_signal -1
	s_barrier_wait -1
	s_and_saveexec_b32 s18, s12
	s_cbranch_execz .LBB94_29
; %bb.28:                               ;   in Loop: Header=BB94_4 Depth=1
	ds_load_2addr_b64 v[2:5], v171 offset1:1
	ds_load_2addr_b64 v[6:9], v171 offset0:2 offset1:3
	s_wait_dscnt 0x1
	v_add_f64_e32 v[2:3], v[2:3], v[4:5]
	s_wait_dscnt 0x0
	s_delay_alu instid0(VALU_DEP_1) | instskip(NEXT) | instid1(VALU_DEP_1)
	v_add_f64_e32 v[2:3], v[2:3], v[6:7]
	v_add_f64_e32 v[10:11], v[2:3], v[8:9]
	ds_load_2addr_b64 v[2:5], v171 offset0:4 offset1:5
	ds_load_2addr_b64 v[6:9], v171 offset0:6 offset1:7
	s_wait_dscnt 0x1
	v_add_f64_e32 v[2:3], v[10:11], v[2:3]
	s_delay_alu instid0(VALU_DEP_1) | instskip(SKIP_1) | instid1(VALU_DEP_1)
	v_add_f64_e32 v[2:3], v[2:3], v[4:5]
	s_wait_dscnt 0x0
	v_add_f64_e32 v[2:3], v[2:3], v[6:7]
	s_delay_alu instid0(VALU_DEP_1)
	v_add_f64_e32 v[102:103], v[2:3], v[8:9]
.LBB94_29:                              ;   in Loop: Header=BB94_4 Depth=1
	s_or_b32 exec_lo, exec_lo, s18
	v_lshl_add_u64 v[4:5], s[56:57], 3, v[0:1]
	s_and_b32 vcc_lo, exec_lo, s68
	s_mov_b32 s18, -1
	s_barrier_signal -1
	s_delay_alu instid0(VALU_DEP_1)
	v_add_nc_u64_e32 v[2:3], 0x100, v[4:5]
	s_barrier_wait -1
                                        ; implicit-def: $vgpr0_vgpr1
	s_cbranch_vccz .LBB94_39
; %bb.30:                               ;   in Loop: Header=BB94_4 Depth=1
	v_lshl_add_u64 v[0:1], v[100:101], 3, v[4:5]
	v_mov_b64_e32 v[8:9], 0
	v_mov_b64_e32 v[6:7], 0
	s_delay_alu instid0(VALU_DEP_3) | instskip(NEXT) | instid1(VALU_DEP_1)
	v_lshl_add_u64 v[0:1], s[42:43], 3, v[0:1]
	v_add_nc_u64_e32 v[0:1], -8, v[0:1]
	s_delay_alu instid0(VALU_DEP_1)
	v_dual_cndmask_b32 v1, v1, v3, s9 :: v_dual_cndmask_b32 v0, v0, v2, s9
	s_and_saveexec_b32 s18, s16
	s_cbranch_execz .LBB94_32
; %bb.31:                               ;   in Loop: Header=BB94_4 Depth=1
	global_load_b64 v[6:7], v[0:1], off
.LBB94_32:                              ;   in Loop: Header=BB94_4 Depth=1
	s_wait_xcnt 0x0
	s_or_b32 exec_lo, exec_lo, s18
	s_wait_loadcnt 0x0
	ds_store_b64 v179, v[6:7]
	s_and_saveexec_b32 s18, s11
	s_cbranch_execz .LBB94_34
; %bb.33:                               ;   in Loop: Header=BB94_4 Depth=1
	v_add_nc_u64_e32 v[6:7], s[40:41], v[0:1]
	global_load_b64 v[8:9], v[6:7], off
.LBB94_34:                              ;   in Loop: Header=BB94_4 Depth=1
	s_wait_xcnt 0x0
	s_or_b32 exec_lo, exec_lo, s18
	v_mov_b64_e32 v[6:7], 0
	v_mov_b64_e32 v[10:11], 0
	s_wait_loadcnt 0x0
	ds_store_b64 v179, v[8:9] offset:2112
	s_and_saveexec_b32 s18, s13
	s_cbranch_execz .LBB94_36
; %bb.35:                               ;   in Loop: Header=BB94_4 Depth=1
	v_add_nc_u64_e32 v[8:9], s[50:51], v[0:1]
	global_load_b64 v[10:11], v[8:9], off
.LBB94_36:                              ;   in Loop: Header=BB94_4 Depth=1
	s_wait_xcnt 0x0
	s_or_b32 exec_lo, exec_lo, s18
	s_wait_loadcnt 0x0
	ds_store_b64 v179, v[10:11] offset:4224
	s_and_saveexec_b32 s18, s14
	s_cbranch_execz .LBB94_38
; %bb.37:                               ;   in Loop: Header=BB94_4 Depth=1
	v_add_nc_u64_e32 v[6:7], s[54:55], v[0:1]
	global_load_b64 v[6:7], v[6:7], off
.LBB94_38:                              ;   in Loop: Header=BB94_4 Depth=1
	s_wait_xcnt 0x0
	s_or_b32 exec_lo, exec_lo, s18
	v_lshlrev_b32_e32 v58, 3, v56
	s_mov_b32 s18, 0
	s_wait_loadcnt 0x0
	ds_store_b64 v179, v[6:7] offset:6336
	v_add_nc_u64_e32 v[0:1], v[0:1], v[58:59]
	s_delay_alu instid0(VALU_DEP_1) | instskip(NEXT) | instid1(VALU_DEP_1)
	v_lshl_add_u64 v[0:1], s[64:65], 3, v[0:1]
	v_add_nc_u64_e32 v[0:1], 0x108, v[0:1]
	s_delay_alu instid0(VALU_DEP_1)
	v_dual_cndmask_b32 v1, v1, v3, s9 :: v_dual_cndmask_b32 v0, v0, v2, s9
.LBB94_39:                              ;   in Loop: Header=BB94_4 Depth=1
	s_and_b32 vcc_lo, exec_lo, s18
	s_cbranch_vccz .LBB94_41
; %bb.40:                               ;   in Loop: Header=BB94_4 Depth=1
	v_add_nc_u64_e32 v[0:1], s[40:41], v[4:5]
	s_delay_alu instid0(VALU_DEP_1) | instskip(NEXT) | instid1(VALU_DEP_1)
	v_add_nc_u64_e32 v[6:7], s[40:41], v[0:1]
	v_add_nc_u64_e32 v[8:9], s[40:41], v[6:7]
	s_clause 0x3
	global_load_b64 v[4:5], v[4:5], off offset:256
	global_load_b64 v[10:11], v[0:1], off offset:256
	;; [unrolled: 1-line block ×4, first 2 shown]
	s_wait_xcnt 0x2
	v_mov_b64_e32 v[0:1], v[2:3]
	s_wait_loadcnt 0x3
	ds_store_b64 v179, v[4:5]
	s_wait_loadcnt 0x2
	ds_store_b64 v179, v[10:11] offset:2112
	s_wait_loadcnt 0x1
	ds_store_b64 v179, v[6:7] offset:4224
	;; [unrolled: 2-line block ×3, first 2 shown]
.LBB94_41:                              ;   in Loop: Header=BB94_4 Depth=1
	s_wait_dscnt 0x0
	s_barrier_signal -1
	s_barrier_wait -1
	s_wait_xcnt 0x0
	s_and_saveexec_b32 s18, s8
	s_cbranch_execnz .LBB94_126
; %bb.42:                               ;   in Loop: Header=BB94_4 Depth=1
	s_or_b32 exec_lo, exec_lo, s18
	s_and_saveexec_b32 s18, s10
	s_cbranch_execnz .LBB94_127
.LBB94_43:                              ;   in Loop: Header=BB94_4 Depth=1
	s_or_b32 exec_lo, exec_lo, s18
	s_and_saveexec_b32 s18, s5
	s_cbranch_execnz .LBB94_128
.LBB94_44:                              ;   in Loop: Header=BB94_4 Depth=1
	s_or_b32 exec_lo, exec_lo, s18
	s_and_saveexec_b32 s18, s6
	s_cbranch_execz .LBB94_46
.LBB94_45:                              ;   in Loop: Header=BB94_4 Depth=1
	ds_load_b64 v[2:3], v181 offset:528
	s_wait_dscnt 0x0
	ds_store_b64 v172, v[2:3] offset:24
.LBB94_46:                              ;   in Loop: Header=BB94_4 Depth=1
	s_or_b32 exec_lo, exec_lo, s18
	s_wait_dscnt 0x0
	s_barrier_signal -1
	s_barrier_wait -1
	ds_load_b64 v[10:11], v180
	ds_load_b128 v[2:5], v176 offset:256
	ds_load_b128 v[6:9], v176 offset:272
	ds_load_b64 v[18:19], v181 offset:528
	ds_load_2addr_b64 v[14:17], v181 offset1:33
	s_wait_dscnt 0x0
	s_barrier_signal -1
	s_barrier_wait -1
	v_fma_f64 v[2:3], v[10:11], v[2:3], 0
	s_delay_alu instid0(VALU_DEP_1) | instskip(NEXT) | instid1(VALU_DEP_1)
	v_fmac_f64_e32 v[2:3], v[14:15], v[4:5]
	v_fmac_f64_e32 v[2:3], v[16:17], v[6:7]
	s_delay_alu instid0(VALU_DEP_1)
	v_fmac_f64_e32 v[2:3], v[18:19], v[8:9]
	ds_store_b64 v177, v[2:3]
	s_wait_dscnt 0x0
	s_barrier_signal -1
	s_barrier_wait -1
	s_and_saveexec_b32 s18, s17
	s_cbranch_execz .LBB94_48
; %bb.47:                               ;   in Loop: Header=BB94_4 Depth=1
	ds_load_2addr_b64 v[2:5], v171 offset1:1
	ds_load_2addr_b64 v[6:9], v171 offset0:2 offset1:3
	s_wait_dscnt 0x1
	v_add_f64_e32 v[2:3], v[2:3], v[4:5]
	s_wait_dscnt 0x0
	s_delay_alu instid0(VALU_DEP_1) | instskip(NEXT) | instid1(VALU_DEP_1)
	v_add_f64_e32 v[2:3], v[2:3], v[6:7]
	v_add_f64_e32 v[10:11], v[2:3], v[8:9]
	ds_load_2addr_b64 v[2:5], v171 offset0:4 offset1:5
	ds_load_2addr_b64 v[6:9], v171 offset0:6 offset1:7
	s_wait_dscnt 0x1
	v_add_f64_e32 v[2:3], v[10:11], v[2:3]
	s_delay_alu instid0(VALU_DEP_1) | instskip(SKIP_1) | instid1(VALU_DEP_1)
	v_add_f64_e32 v[2:3], v[2:3], v[4:5]
	s_wait_dscnt 0x0
	v_add_f64_e32 v[2:3], v[2:3], v[6:7]
	s_delay_alu instid0(VALU_DEP_1)
	v_add_f64_e32 v[102:103], v[2:3], v[8:9]
.LBB94_48:                              ;   in Loop: Header=BB94_4 Depth=1
	s_or_b32 exec_lo, exec_lo, s18
	v_add_nc_u64_e32 v[2:3], s[60:61], v[0:1]
	s_and_b32 vcc_lo, exec_lo, s68
	s_mov_b32 s18, -1
	s_barrier_signal -1
	s_barrier_wait -1
                                        ; implicit-def: $vgpr14_vgpr15
	s_cbranch_vccz .LBB94_58
; %bb.49:                               ;   in Loop: Header=BB94_4 Depth=1
	v_lshl_add_u64 v[4:5], v[100:101], 3, v[0:1]
	v_mov_b64_e32 v[8:9], 0
	v_mov_b64_e32 v[6:7], 0
	s_delay_alu instid0(VALU_DEP_3) | instskip(NEXT) | instid1(VALU_DEP_1)
	v_lshl_add_u64 v[4:5], s[42:43], 3, v[4:5]
	v_add_nc_u64_e32 v[4:5], s[62:63], v[4:5]
	s_delay_alu instid0(VALU_DEP_1)
	v_dual_cndmask_b32 v5, v5, v3, s1 :: v_dual_cndmask_b32 v4, v4, v2, s1
	s_and_saveexec_b32 s18, s16
	s_cbranch_execz .LBB94_51
; %bb.50:                               ;   in Loop: Header=BB94_4 Depth=1
	global_load_b64 v[6:7], v[4:5], off
.LBB94_51:                              ;   in Loop: Header=BB94_4 Depth=1
	s_wait_xcnt 0x0
	s_or_b32 exec_lo, exec_lo, s18
	s_wait_loadcnt 0x0
	ds_store_b64 v179, v[6:7]
	s_and_saveexec_b32 s18, s11
	s_cbranch_execz .LBB94_53
; %bb.52:                               ;   in Loop: Header=BB94_4 Depth=1
	v_add_nc_u64_e32 v[6:7], s[40:41], v[4:5]
	global_load_b64 v[8:9], v[6:7], off
.LBB94_53:                              ;   in Loop: Header=BB94_4 Depth=1
	s_wait_xcnt 0x0
	s_or_b32 exec_lo, exec_lo, s18
	v_mov_b64_e32 v[6:7], 0
	v_mov_b64_e32 v[10:11], 0
	s_wait_loadcnt 0x0
	ds_store_b64 v179, v[8:9] offset:2112
	s_and_saveexec_b32 s18, s13
	s_cbranch_execz .LBB94_55
; %bb.54:                               ;   in Loop: Header=BB94_4 Depth=1
	v_add_nc_u64_e32 v[8:9], s[50:51], v[4:5]
	global_load_b64 v[10:11], v[8:9], off
.LBB94_55:                              ;   in Loop: Header=BB94_4 Depth=1
	s_wait_xcnt 0x0
	s_or_b32 exec_lo, exec_lo, s18
	s_wait_loadcnt 0x0
	ds_store_b64 v179, v[10:11] offset:4224
	s_and_saveexec_b32 s18, s14
	s_cbranch_execz .LBB94_57
; %bb.56:                               ;   in Loop: Header=BB94_4 Depth=1
	v_add_nc_u64_e32 v[6:7], s[54:55], v[4:5]
	global_load_b64 v[6:7], v[6:7], off
.LBB94_57:                              ;   in Loop: Header=BB94_4 Depth=1
	s_wait_xcnt 0x0
	s_or_b32 exec_lo, exec_lo, s18
	v_lshlrev_b32_e32 v58, 3, v56
	s_mov_b32 s18, 0
	s_wait_loadcnt 0x0
	ds_store_b64 v179, v[6:7] offset:6336
	v_add_nc_u64_e32 v[4:5], v[4:5], v[58:59]
	s_delay_alu instid0(VALU_DEP_1) | instskip(NEXT) | instid1(VALU_DEP_1)
	v_lshl_add_u64 v[4:5], s[64:65], 3, v[4:5]
	v_add_nc_u64_e32 v[4:5], 8, v[4:5]
	s_delay_alu instid0(VALU_DEP_1)
	v_dual_cndmask_b32 v15, v5, v3, s1 :: v_dual_cndmask_b32 v14, v4, v2, s1
.LBB94_58:                              ;   in Loop: Header=BB94_4 Depth=1
	s_and_b32 vcc_lo, exec_lo, s18
	s_cbranch_vccz .LBB94_60
; %bb.59:                               ;   in Loop: Header=BB94_4 Depth=1
	v_add_nc_u64_e32 v[4:5], s[40:41], v[0:1]
	v_mov_b64_e32 v[14:15], v[2:3]
	s_delay_alu instid0(VALU_DEP_2) | instskip(NEXT) | instid1(VALU_DEP_1)
	v_add_nc_u64_e32 v[6:7], s[40:41], v[4:5]
	v_add_nc_u64_e32 v[8:9], s[40:41], v[6:7]
	s_clause 0x3
	global_load_b64 v[0:1], v[0:1], off offset:-256
	global_load_b64 v[4:5], v[4:5], off offset:-256
	;; [unrolled: 1-line block ×4, first 2 shown]
	s_wait_loadcnt 0x3
	ds_store_b64 v179, v[0:1]
	s_wait_loadcnt 0x2
	ds_store_b64 v179, v[4:5] offset:2112
	s_wait_loadcnt 0x1
	ds_store_b64 v179, v[6:7] offset:4224
	;; [unrolled: 2-line block ×3, first 2 shown]
.LBB94_60:                              ;   in Loop: Header=BB94_4 Depth=1
	s_wait_xcnt 0x3
	v_add_nc_u32_e32 v0, v172, v178
	v_add_nc_u32_e32 v2, v176, v178
	s_wait_dscnt 0x0
	s_barrier_signal -1
	s_barrier_wait -1
	ds_load_b64 v[0:1], v0
	ds_load_b64 v[2:3], v2
	s_wait_xcnt 0x0
	ds_load_b64 v[8:9], v186 offset:192
	s_wait_dscnt 0x1
	v_fma_f64 v[20:21], v[0:1], v[2:3], 0
	ds_load_2addr_b64 v[0:3], v185 offset0:8 offset1:16
	ds_load_2addr_b64 v[4:7], v186 offset0:8 offset1:16
	s_wait_dscnt 0x0
	v_fmac_f64_e32 v[20:21], v[0:1], v[4:5]
	ds_load_b64 v[0:1], v185 offset:192
	v_fmac_f64_e32 v[20:21], v[2:3], v[6:7]
	s_wait_dscnt 0x0
	s_delay_alu instid0(VALU_DEP_1)
	v_fmac_f64_e32 v[20:21], v[0:1], v[8:9]
	ds_load_b128 v[8:11], v176 offset:256
	ds_load_b128 v[0:3], v176 offset:272
	ds_load_2addr_b64 v[4:7], v181 offset1:33
	ds_load_b64 v[18:19], v180
	ds_load_b64 v[16:17], v181 offset:528
	s_wait_dscnt 0x0
	s_barrier_signal -1
	s_barrier_wait -1
	ds_store_b64 v177, v[20:21]
	s_wait_dscnt 0x0
	s_barrier_signal -1
	s_barrier_wait -1
	s_and_saveexec_b32 s18, s17
	s_cbranch_execz .LBB94_62
; %bb.61:                               ;   in Loop: Header=BB94_4 Depth=1
	ds_load_2addr_b64 v[20:23], v171 offset1:1
	ds_load_2addr_b64 v[24:27], v171 offset0:2 offset1:3
	s_wait_dscnt 0x1
	v_add_f64_e32 v[20:21], v[102:103], v[20:21]
	s_delay_alu instid0(VALU_DEP_1) | instskip(SKIP_1) | instid1(VALU_DEP_1)
	v_add_f64_e32 v[20:21], v[20:21], v[22:23]
	s_wait_dscnt 0x0
	v_add_f64_e32 v[20:21], v[20:21], v[24:25]
	s_delay_alu instid0(VALU_DEP_1) | instskip(SKIP_4) | instid1(VALU_DEP_1)
	v_add_f64_e32 v[28:29], v[20:21], v[26:27]
	ds_load_2addr_b64 v[20:23], v171 offset0:4 offset1:5
	ds_load_2addr_b64 v[24:27], v171 offset0:6 offset1:7
	s_wait_dscnt 0x1
	v_add_f64_e32 v[20:21], v[28:29], v[20:21]
	v_add_f64_e32 v[20:21], v[20:21], v[22:23]
	s_wait_dscnt 0x0
	s_delay_alu instid0(VALU_DEP_1) | instskip(NEXT) | instid1(VALU_DEP_1)
	v_add_f64_e32 v[20:21], v[20:21], v[24:25]
	v_add_f64_e32 v[102:103], v[20:21], v[26:27]
.LBB94_62:                              ;   in Loop: Header=BB94_4 Depth=1
	s_or_b32 exec_lo, exec_lo, s18
	v_fma_f64 v[8:9], v[18:19], v[8:9], 0
	s_barrier_signal -1
	s_barrier_wait -1
	s_delay_alu instid0(VALU_DEP_1) | instskip(NEXT) | instid1(VALU_DEP_1)
	v_fmac_f64_e32 v[8:9], v[4:5], v[10:11]
	v_fmac_f64_e32 v[8:9], v[6:7], v[0:1]
	s_delay_alu instid0(VALU_DEP_1)
	v_fmac_f64_e32 v[8:9], v[16:17], v[2:3]
	ds_store_b64 v177, v[8:9]
	s_wait_dscnt 0x0
	s_barrier_signal -1
	s_barrier_wait -1
	s_and_saveexec_b32 s18, s12
	s_cbranch_execz .LBB94_64
; %bb.63:                               ;   in Loop: Header=BB94_4 Depth=1
	ds_load_2addr_b64 v[0:3], v171 offset1:1
	ds_load_2addr_b64 v[4:7], v171 offset0:2 offset1:3
	s_wait_dscnt 0x1
	v_add_f64_e32 v[0:1], v[102:103], v[0:1]
	s_delay_alu instid0(VALU_DEP_1) | instskip(SKIP_1) | instid1(VALU_DEP_1)
	v_add_f64_e32 v[0:1], v[0:1], v[2:3]
	s_wait_dscnt 0x0
	v_add_f64_e32 v[0:1], v[0:1], v[4:5]
	s_delay_alu instid0(VALU_DEP_1) | instskip(SKIP_4) | instid1(VALU_DEP_1)
	v_add_f64_e32 v[8:9], v[0:1], v[6:7]
	ds_load_2addr_b64 v[0:3], v171 offset0:4 offset1:5
	ds_load_2addr_b64 v[4:7], v171 offset0:6 offset1:7
	s_wait_dscnt 0x1
	v_add_f64_e32 v[0:1], v[8:9], v[0:1]
	v_add_f64_e32 v[0:1], v[0:1], v[2:3]
	s_wait_dscnt 0x0
	s_delay_alu instid0(VALU_DEP_1) | instskip(NEXT) | instid1(VALU_DEP_1)
	v_add_f64_e32 v[0:1], v[0:1], v[4:5]
	v_add_f64_e32 v[102:103], v[0:1], v[6:7]
.LBB94_64:                              ;   in Loop: Header=BB94_4 Depth=1
	s_or_b32 exec_lo, exec_lo, s18
	s_mul_u64 s[18:19], s[52:53], s[28:29]
	s_and_not1_b32 vcc_lo, exec_lo, s69
	s_lshl_b64 s[18:19], s[18:19], 3
	s_delay_alu instid0(SALU_CYCLE_1)
	s_add_nc_u64 s[18:19], s[48:49], s[18:19]
	s_barrier_signal -1
	s_barrier_wait -1
	s_cbranch_vccnz .LBB94_121
; %bb.65:                               ;   in Loop: Header=BB94_4 Depth=1
	v_add_nc_u64_e32 v[104:105], v[14:15], v[68:69]
	v_add_nc_u64_e32 v[106:107], v[14:15], v[70:71]
	;; [unrolled: 1-line block ×16, first 2 shown]
	v_lshl_add_u64 v[136:137], s[58:59], 3, v[12:13]
	s_mov_b32 s66, s72
	s_mov_b32 s73, s34
	s_delay_alu instid0(SALU_CYCLE_1)
	s_cmp_eq_u32 s70, s73
	s_cselect_b32 s74, s31, 0
	s_and_saveexec_b32 s75, s0
	s_cbranch_execz .LBB94_69
.LBB94_66:                              ;   in Loop: Header=BB94_4 Depth=1
	v_cmp_gt_i32_e32 vcc_lo, s74, v170
	v_mov_b64_e32 v[0:1], 0
	s_cmp_eq_u32 s74, 0
	s_cselect_b32 s67, -1, 0
	s_delay_alu instid0(SALU_CYCLE_1) | instskip(NEXT) | instid1(SALU_CYCLE_1)
	s_or_b32 s67, s67, vcc_lo
	s_and_saveexec_b32 s76, s67
	s_cbranch_execz .LBB94_68
; %bb.67:                               ;   in Loop: Header=BB94_4 Depth=1
	s_ashr_i32 s67, s66, 31
	s_delay_alu instid0(SALU_CYCLE_1) | instskip(NEXT) | instid1(SALU_CYCLE_1)
	s_mul_u64 s[78:79], s[20:21], s[66:67]
	v_lshl_add_u64 v[0:1], s[78:79], 3, v[136:137]
	global_load_b64 v[0:1], v[0:1], off
.LBB94_68:                              ;   in Loop: Header=BB94_4 Depth=1
	s_wait_xcnt 0x0
	s_or_b32 exec_lo, exec_lo, s76
	s_wait_loadcnt 0x0
	ds_store_b64 v189, v[0:1]
.LBB94_69:                              ;   Parent Loop BB94_4 Depth=1
                                        ; =>  This Inner Loop Header: Depth=2
	s_or_b32 exec_lo, exec_lo, s75
	s_cmp_eq_u32 s74, 0
	v_add_nc_u64_e32 v[0:1], v[104:105], v[60:61]
	s_cselect_b32 s67, -1, 0
	s_cmp_lg_u32 s74, 0
	s_mov_b32 s76, -1
	s_cselect_b32 s75, -1, 0
	s_wait_dscnt 0x0
	s_and_b32 vcc_lo, exec_lo, s75
	s_barrier_signal -1
	s_barrier_wait -1
                                        ; implicit-def: $vgpr142_vgpr143
                                        ; implicit-def: $vgpr144_vgpr145
                                        ; implicit-def: $vgpr138_vgpr139
                                        ; implicit-def: $vgpr140_vgpr141
	s_cbranch_vccz .LBB94_79
; %bb.70:                               ;   in Loop: Header=BB94_69 Depth=2
	v_mov_b64_e32 v[138:139], 0
	v_mov_b64_e32 v[140:141], 0
	s_mov_b32 s76, exec_lo
	v_cmpx_gt_i32_e64 s74, v182
	s_cbranch_execz .LBB94_72
; %bb.71:                               ;   in Loop: Header=BB94_69 Depth=2
	global_load_b64 v[140:141], v[0:1], off
.LBB94_72:                              ;   in Loop: Header=BB94_69 Depth=2
	s_wait_xcnt 0x0
	s_or_b32 exec_lo, exec_lo, s76
	s_delay_alu instid0(SALU_CYCLE_1)
	s_mov_b32 s76, exec_lo
	v_cmpx_gt_i32_e64 s74, v191
	s_cbranch_execz .LBB94_74
; %bb.73:                               ;   in Loop: Header=BB94_69 Depth=2
	v_add_nc_u64_e32 v[2:3], v[110:111], v[60:61]
	global_load_b64 v[138:139], v[2:3], off
.LBB94_74:                              ;   in Loop: Header=BB94_69 Depth=2
	s_wait_xcnt 0x0
	s_or_b32 exec_lo, exec_lo, s76
	v_mov_b64_e32 v[142:143], 0
	v_mov_b64_e32 v[144:145], 0
	s_mov_b32 s76, exec_lo
	v_cmpx_gt_i32_e64 s74, v192
	s_cbranch_execz .LBB94_76
; %bb.75:                               ;   in Loop: Header=BB94_69 Depth=2
	v_add_nc_u64_e32 v[2:3], v[106:107], v[60:61]
	global_load_b64 v[144:145], v[2:3], off
.LBB94_76:                              ;   in Loop: Header=BB94_69 Depth=2
	s_wait_xcnt 0x0
	s_or_b32 exec_lo, exec_lo, s76
	s_delay_alu instid0(SALU_CYCLE_1)
	s_mov_b32 s76, exec_lo
	v_cmpx_gt_i32_e64 s74, v193
	s_cbranch_execz .LBB94_78
; %bb.77:                               ;   in Loop: Header=BB94_69 Depth=2
	v_add_nc_u64_e32 v[2:3], v[108:109], v[60:61]
	global_load_b64 v[142:143], v[2:3], off
.LBB94_78:                              ;   in Loop: Header=BB94_69 Depth=2
	s_wait_xcnt 0x0
	s_or_b32 exec_lo, exec_lo, s76
	s_mov_b32 s76, 0
.LBB94_79:                              ;   in Loop: Header=BB94_69 Depth=2
	s_delay_alu instid0(SALU_CYCLE_1)
	s_and_b32 vcc_lo, exec_lo, s76
	s_cbranch_vccz .LBB94_81
; %bb.80:                               ;   in Loop: Header=BB94_69 Depth=2
	v_add_nc_u64_e32 v[2:3], v[110:111], v[60:61]
	v_add_nc_u64_e32 v[4:5], v[106:107], v[60:61]
	;; [unrolled: 1-line block ×3, first 2 shown]
	s_wait_loadcnt 0x0
	global_load_b64 v[140:141], v[0:1], off
	global_load_b64 v[138:139], v[2:3], off
	;; [unrolled: 1-line block ×4, first 2 shown]
.LBB94_81:                              ;   in Loop: Header=BB94_69 Depth=2
	s_wait_xcnt 0x1
	ds_load_b64 v[4:5], v188
	ds_load_b128 v[0:3], v190
	v_cndmask_b32_e64 v44, 0, 1, s75
	s_and_not1_b32 vcc_lo, exec_lo, s75
	s_mov_b32 s75, -1
                                        ; implicit-def: $vgpr150_vgpr151
                                        ; implicit-def: $vgpr152_vgpr153
                                        ; implicit-def: $vgpr146_vgpr147
                                        ; implicit-def: $vgpr148_vgpr149
	s_wait_loadcnt_dscnt 0x1
	v_mul_f64_e32 v[8:9], v[140:141], v[4:5]
	v_mul_f64_e32 v[10:11], v[138:139], v[4:5]
	;; [unrolled: 1-line block ×4, first 2 shown]
	s_wait_xcnt 0x0
	ds_load_b128 v[4:7], v190 offset:16
	ds_store_2addr_b64 v183, v[8:9], v[10:11] offset1:67
	ds_store_2addr_b64 v183, v[12:13], v[14:15] offset0:134 offset1:201
	s_wait_dscnt 0x0
	s_barrier_signal -1
	s_barrier_wait -1
	ds_load_2addr_b64 v[20:23], v173 offset1:1
	ds_load_2addr_b64 v[8:11], v173 offset0:2 offset1:3
	v_add_nc_u64_e32 v[12:13], v[112:113], v[60:61]
	s_wait_dscnt 0x0
	s_barrier_signal -1
	s_barrier_wait -1
	s_cbranch_vccnz .LBB94_91
; %bb.82:                               ;   in Loop: Header=BB94_69 Depth=2
	v_mov_b64_e32 v[146:147], 0
	v_mov_b64_e32 v[148:149], 0
	s_mov_b32 s75, exec_lo
	v_cmpx_gt_i32_e64 s74, v194
	s_cbranch_execz .LBB94_84
; %bb.83:                               ;   in Loop: Header=BB94_69 Depth=2
	global_load_b64 v[148:149], v[12:13], off
.LBB94_84:                              ;   in Loop: Header=BB94_69 Depth=2
	s_wait_xcnt 0x0
	s_or_b32 exec_lo, exec_lo, s75
	s_delay_alu instid0(SALU_CYCLE_1)
	s_mov_b32 s75, exec_lo
	v_cmpx_gt_i32_e64 s74, v195
	s_cbranch_execz .LBB94_86
; %bb.85:                               ;   in Loop: Header=BB94_69 Depth=2
	v_add_nc_u64_e32 v[14:15], v[114:115], v[60:61]
	global_load_b64 v[146:147], v[14:15], off
.LBB94_86:                              ;   in Loop: Header=BB94_69 Depth=2
	s_wait_xcnt 0x0
	s_or_b32 exec_lo, exec_lo, s75
	v_mov_b64_e32 v[150:151], 0
	v_mov_b64_e32 v[152:153], 0
	s_mov_b32 s75, exec_lo
	v_cmpx_gt_i32_e64 s74, v196
	s_cbranch_execz .LBB94_88
; %bb.87:                               ;   in Loop: Header=BB94_69 Depth=2
	v_add_nc_u64_e32 v[14:15], v[116:117], v[60:61]
	global_load_b64 v[152:153], v[14:15], off
.LBB94_88:                              ;   in Loop: Header=BB94_69 Depth=2
	s_wait_xcnt 0x0
	s_or_b32 exec_lo, exec_lo, s75
	s_delay_alu instid0(SALU_CYCLE_1)
	s_mov_b32 s75, exec_lo
	v_cmpx_gt_i32_e64 s74, v197
	s_cbranch_execz .LBB94_90
; %bb.89:                               ;   in Loop: Header=BB94_69 Depth=2
	v_add_nc_u64_e32 v[14:15], v[118:119], v[60:61]
	global_load_b64 v[150:151], v[14:15], off
.LBB94_90:                              ;   in Loop: Header=BB94_69 Depth=2
	s_wait_xcnt 0x0
	s_or_b32 exec_lo, exec_lo, s75
	s_mov_b32 s75, 0
.LBB94_91:                              ;   in Loop: Header=BB94_69 Depth=2
	s_delay_alu instid0(SALU_CYCLE_1)
	s_and_b32 vcc_lo, exec_lo, s75
	s_cbranch_vccz .LBB94_93
; %bb.92:                               ;   in Loop: Header=BB94_69 Depth=2
	v_add_nc_u64_e32 v[14:15], v[114:115], v[60:61]
	v_add_nc_u64_e32 v[16:17], v[116:117], v[60:61]
	;; [unrolled: 1-line block ×3, first 2 shown]
	s_wait_loadcnt 0x0
	global_load_b64 v[148:149], v[12:13], off
	global_load_b64 v[146:147], v[14:15], off
	;; [unrolled: 1-line block ×4, first 2 shown]
.LBB94_93:                              ;   in Loop: Header=BB94_69 Depth=2
	s_wait_xcnt 0x1
	ds_load_b64 v[16:17], v188
	ds_load_b128 v[12:15], v190 offset:128
	v_cmp_ne_u32_e32 vcc_lo, 1, v44
	s_mov_b32 s75, -1
                                        ; implicit-def: $vgpr158_vgpr159
                                        ; implicit-def: $vgpr160_vgpr161
                                        ; implicit-def: $vgpr154_vgpr155
                                        ; implicit-def: $vgpr156_vgpr157
	s_and_b32 vcc_lo, exec_lo, vcc_lo
	s_wait_loadcnt_dscnt 0x1
	v_mul_f64_e32 v[24:25], v[148:149], v[16:17]
	v_mul_f64_e32 v[26:27], v[146:147], v[16:17]
	;; [unrolled: 1-line block ×4, first 2 shown]
	s_wait_xcnt 0x0
	ds_load_b128 v[16:19], v190 offset:144
	ds_store_2addr_b64 v183, v[24:25], v[26:27] offset1:67
	ds_store_2addr_b64 v183, v[28:29], v[30:31] offset0:134 offset1:201
	s_wait_dscnt 0x0
	s_barrier_signal -1
	s_barrier_wait -1
	ds_load_2addr_b64 v[36:39], v173 offset1:1
	ds_load_2addr_b64 v[32:35], v173 offset0:2 offset1:3
	v_add_nc_u64_e32 v[24:25], v[120:121], v[60:61]
	s_wait_dscnt 0x0
	s_barrier_signal -1
	s_barrier_wait -1
	s_cbranch_vccnz .LBB94_103
; %bb.94:                               ;   in Loop: Header=BB94_69 Depth=2
	v_mov_b64_e32 v[154:155], 0
	v_mov_b64_e32 v[156:157], 0
	s_mov_b32 s75, exec_lo
	v_cmpx_gt_i32_e64 s74, v198
	s_cbranch_execz .LBB94_96
; %bb.95:                               ;   in Loop: Header=BB94_69 Depth=2
	global_load_b64 v[156:157], v[24:25], off
.LBB94_96:                              ;   in Loop: Header=BB94_69 Depth=2
	s_wait_xcnt 0x0
	s_or_b32 exec_lo, exec_lo, s75
	s_delay_alu instid0(SALU_CYCLE_1)
	s_mov_b32 s75, exec_lo
	v_cmpx_gt_i32_e64 s74, v199
	s_cbranch_execz .LBB94_98
; %bb.97:                               ;   in Loop: Header=BB94_69 Depth=2
	v_add_nc_u64_e32 v[26:27], v[122:123], v[60:61]
	global_load_b64 v[154:155], v[26:27], off
.LBB94_98:                              ;   in Loop: Header=BB94_69 Depth=2
	s_wait_xcnt 0x0
	s_or_b32 exec_lo, exec_lo, s75
	v_mov_b64_e32 v[158:159], 0
	v_mov_b64_e32 v[160:161], 0
	s_mov_b32 s75, exec_lo
	v_cmpx_gt_i32_e64 s74, v200
	s_cbranch_execz .LBB94_100
; %bb.99:                               ;   in Loop: Header=BB94_69 Depth=2
	v_add_nc_u64_e32 v[26:27], v[124:125], v[60:61]
	global_load_b64 v[160:161], v[26:27], off
.LBB94_100:                             ;   in Loop: Header=BB94_69 Depth=2
	s_wait_xcnt 0x0
	s_or_b32 exec_lo, exec_lo, s75
	s_delay_alu instid0(SALU_CYCLE_1)
	s_mov_b32 s75, exec_lo
	v_cmpx_gt_i32_e64 s74, v201
	s_cbranch_execz .LBB94_102
; %bb.101:                              ;   in Loop: Header=BB94_69 Depth=2
	v_add_nc_u64_e32 v[26:27], v[126:127], v[60:61]
	global_load_b64 v[158:159], v[26:27], off
.LBB94_102:                             ;   in Loop: Header=BB94_69 Depth=2
	s_wait_xcnt 0x0
	s_or_b32 exec_lo, exec_lo, s75
	s_mov_b32 s75, 0
.LBB94_103:                             ;   in Loop: Header=BB94_69 Depth=2
	s_delay_alu instid0(SALU_CYCLE_1)
	s_and_b32 vcc_lo, exec_lo, s75
	s_cbranch_vccz .LBB94_105
; %bb.104:                              ;   in Loop: Header=BB94_69 Depth=2
	v_add_nc_u64_e32 v[26:27], v[122:123], v[60:61]
	v_add_nc_u64_e32 v[28:29], v[124:125], v[60:61]
	;; [unrolled: 1-line block ×3, first 2 shown]
	s_wait_loadcnt 0x0
	global_load_b64 v[156:157], v[24:25], off
	global_load_b64 v[154:155], v[26:27], off
	;; [unrolled: 1-line block ×4, first 2 shown]
.LBB94_105:                             ;   in Loop: Header=BB94_69 Depth=2
	s_wait_xcnt 0x3
	ds_load_b64 v[24:25], v188
	v_cmp_ne_u32_e32 vcc_lo, 1, v44
	v_add_nc_u64_e32 v[44:45], v[128:129], v[60:61]
	s_mov_b32 s75, -1
                                        ; implicit-def: $vgpr166_vgpr167
                                        ; implicit-def: $vgpr168_vgpr169
                                        ; implicit-def: $vgpr162_vgpr163
                                        ; implicit-def: $vgpr164_vgpr165
	s_and_b32 vcc_lo, exec_lo, vcc_lo
	s_wait_loadcnt_dscnt 0x0
	v_mul_f64_e32 v[40:41], v[156:157], v[24:25]
	v_mul_f64_e32 v[42:43], v[154:155], v[24:25]
	;; [unrolled: 1-line block ×4, first 2 shown]
	s_wait_xcnt 0x0
	ds_load_b128 v[28:31], v190 offset:256
	ds_load_b128 v[24:27], v190 offset:272
	ds_store_2addr_b64 v183, v[40:41], v[42:43] offset1:67
	ds_store_2addr_b64 v183, v[46:47], v[48:49] offset0:134 offset1:201
	s_wait_dscnt 0x0
	s_barrier_signal -1
	s_barrier_wait -1
	ds_load_2addr_b64 v[48:51], v173 offset1:1
	ds_load_2addr_b64 v[40:43], v173 offset0:2 offset1:3
	s_wait_dscnt 0x0
	s_barrier_signal -1
	s_barrier_wait -1
	s_cbranch_vccnz .LBB94_115
; %bb.106:                              ;   in Loop: Header=BB94_69 Depth=2
	v_mov_b64_e32 v[162:163], 0
	v_mov_b64_e32 v[164:165], 0
	s_mov_b32 s75, exec_lo
	v_cmpx_gt_i32_e64 s74, v202
	s_cbranch_execz .LBB94_108
; %bb.107:                              ;   in Loop: Header=BB94_69 Depth=2
	global_load_b64 v[164:165], v[44:45], off
.LBB94_108:                             ;   in Loop: Header=BB94_69 Depth=2
	s_wait_xcnt 0x0
	s_or_b32 exec_lo, exec_lo, s75
	s_delay_alu instid0(SALU_CYCLE_1)
	s_mov_b32 s75, exec_lo
	v_cmpx_gt_i32_e64 s74, v203
	s_cbranch_execz .LBB94_110
; %bb.109:                              ;   in Loop: Header=BB94_69 Depth=2
	v_add_nc_u64_e32 v[46:47], v[130:131], v[60:61]
	global_load_b64 v[162:163], v[46:47], off
.LBB94_110:                             ;   in Loop: Header=BB94_69 Depth=2
	s_wait_xcnt 0x0
	s_or_b32 exec_lo, exec_lo, s75
	v_mov_b64_e32 v[166:167], 0
	v_mov_b64_e32 v[168:169], 0
	s_mov_b32 s75, exec_lo
	v_cmpx_gt_i32_e64 s74, v57
	s_cbranch_execz .LBB94_112
; %bb.111:                              ;   in Loop: Header=BB94_69 Depth=2
	v_add_nc_u64_e32 v[46:47], v[132:133], v[60:61]
	global_load_b64 v[168:169], v[46:47], off
.LBB94_112:                             ;   in Loop: Header=BB94_69 Depth=2
	s_wait_xcnt 0x0
	s_or_b32 exec_lo, exec_lo, s75
	s_delay_alu instid0(SALU_CYCLE_1)
	s_mov_b32 s75, exec_lo
	v_cmpx_gt_i32_e64 s74, v204
	s_cbranch_execz .LBB94_114
; %bb.113:                              ;   in Loop: Header=BB94_69 Depth=2
	v_add_nc_u64_e32 v[46:47], v[134:135], v[60:61]
	global_load_b64 v[166:167], v[46:47], off
.LBB94_114:                             ;   in Loop: Header=BB94_69 Depth=2
	s_wait_xcnt 0x0
	s_or_b32 exec_lo, exec_lo, s75
	s_mov_b32 s75, 0
.LBB94_115:                             ;   in Loop: Header=BB94_69 Depth=2
	s_delay_alu instid0(SALU_CYCLE_1)
	s_and_b32 vcc_lo, exec_lo, s75
	s_cbranch_vccz .LBB94_117
; %bb.116:                              ;   in Loop: Header=BB94_69 Depth=2
	v_add_nc_u64_e32 v[46:47], v[130:131], v[60:61]
	v_add_nc_u64_e32 v[52:53], v[132:133], v[60:61]
	;; [unrolled: 1-line block ×3, first 2 shown]
	s_wait_loadcnt 0x0
	global_load_b64 v[164:165], v[44:45], off
	global_load_b64 v[162:163], v[46:47], off
	;; [unrolled: 1-line block ×4, first 2 shown]
.LBB94_117:                             ;   in Loop: Header=BB94_69 Depth=2
	s_wait_xcnt 0x1
	ds_load_b64 v[52:53], v188
	ds_load_b128 v[44:47], v190 offset:384
	v_add_f64_e32 v[36:37], 0, v[36:37]
	v_add_f64_e32 v[20:21], 0, v[20:21]
	;; [unrolled: 1-line block ×3, first 2 shown]
	v_cmp_gt_i32_e32 vcc_lo, s74, v170
	s_or_b32 s67, s67, vcc_lo
	s_delay_alu instid0(SALU_CYCLE_1)
	s_and_b32 s74, s15, s67
	s_wait_loadcnt_dscnt 0x1
	v_mul_f64_e32 v[206:207], v[164:165], v[52:53]
	v_mul_f64_e32 v[208:209], v[162:163], v[52:53]
	;; [unrolled: 1-line block ×4, first 2 shown]
	s_wait_xcnt 0x0
	ds_load_b128 v[52:55], v190 offset:400
	ds_store_2addr_b64 v183, v[206:207], v[208:209] offset1:67
	ds_store_2addr_b64 v183, v[210:211], v[212:213] offset0:134 offset1:201
	s_wait_dscnt 0x0
	s_barrier_signal -1
	s_barrier_wait -1
	ds_load_2addr_b64 v[206:209], v173 offset1:1
	ds_load_2addr_b64 v[210:213], v173 offset0:2 offset1:3
	v_add_f64_e32 v[36:37], v[36:37], v[38:39]
	v_add_f64_e32 v[20:21], v[20:21], v[22:23]
	;; [unrolled: 1-line block ×3, first 2 shown]
	s_wait_dscnt 0x0
	s_barrier_signal -1
	s_barrier_wait -1
	v_add_f64_e32 v[206:207], 0, v[206:207]
	s_delay_alu instid0(VALU_DEP_4) | instskip(NEXT) | instid1(VALU_DEP_4)
	v_add_f64_e32 v[32:33], v[36:37], v[32:33]
	v_add_f64_e32 v[8:9], v[20:21], v[8:9]
	s_delay_alu instid0(VALU_DEP_4) | instskip(NEXT) | instid1(VALU_DEP_4)
	v_add_f64_e32 v[38:39], v[48:49], v[40:41]
	v_add_f64_e32 v[22:23], v[206:207], v[208:209]
	s_delay_alu instid0(VALU_DEP_4) | instskip(NEXT) | instid1(VALU_DEP_4)
	v_add_f64_e32 v[32:33], v[32:33], v[34:35]
	v_add_f64_e32 v[8:9], v[8:9], v[10:11]
	s_delay_alu instid0(VALU_DEP_3) | instskip(SKIP_1) | instid1(VALU_DEP_2)
	v_add_f64_e32 v[20:21], v[22:23], v[210:211]
	v_add_f64_e32 v[22:23], v[38:39], v[42:43]
	;; [unrolled: 1-line block ×3, first 2 shown]
	ds_store_2addr_b64 v187, v[8:9], v[32:33] offset1:16
	ds_store_2addr_b64 v187, v[22:23], v[10:11] offset0:32 offset1:48
	s_wait_dscnt 0x0
	s_barrier_signal -1
	s_barrier_wait -1
	s_and_saveexec_b32 s67, s74
	s_cbranch_execz .LBB94_119
; %bb.118:                              ;   in Loop: Header=BB94_69 Depth=2
	ds_load_2addr_b64 v[8:11], v174 offset1:1
	ds_load_2addr_b64 v[20:23], v174 offset0:2 offset1:3
	s_wait_dscnt 0x1
	v_add_f64_e32 v[8:9], v[8:9], v[10:11]
	s_wait_dscnt 0x0
	s_delay_alu instid0(VALU_DEP_1) | instskip(NEXT) | instid1(VALU_DEP_1)
	v_add_f64_e32 v[8:9], v[8:9], v[20:21]
	v_add_f64_e32 v[32:33], v[8:9], v[22:23]
	ds_load_2addr_b64 v[8:11], v174 offset0:4 offset1:5
	ds_load_2addr_b64 v[20:23], v174 offset0:6 offset1:7
	s_wait_dscnt 0x1
	v_add_f64_e32 v[8:9], v[32:33], v[8:9]
	s_delay_alu instid0(VALU_DEP_1) | instskip(SKIP_1) | instid1(VALU_DEP_1)
	v_add_f64_e32 v[8:9], v[8:9], v[10:11]
	s_wait_dscnt 0x0
	v_add_f64_e32 v[8:9], v[8:9], v[20:21]
	s_delay_alu instid0(VALU_DEP_1) | instskip(SKIP_4) | instid1(VALU_DEP_1)
	v_add_f64_e32 v[32:33], v[8:9], v[22:23]
	ds_load_2addr_b64 v[8:11], v174 offset0:8 offset1:9
	ds_load_2addr_b64 v[20:23], v174 offset0:10 offset1:11
	s_wait_dscnt 0x1
	v_add_f64_e32 v[8:9], v[32:33], v[8:9]
	v_add_f64_e32 v[8:9], v[8:9], v[10:11]
	s_wait_dscnt 0x0
	s_delay_alu instid0(VALU_DEP_1) | instskip(NEXT) | instid1(VALU_DEP_1)
	v_add_f64_e32 v[8:9], v[8:9], v[20:21]
	v_add_f64_e32 v[20:21], v[8:9], v[22:23]
	ds_load_2addr_b64 v[8:11], v174 offset0:12 offset1:13
	ds_load_b64 v[22:23], v174 offset:112
	s_wait_dscnt 0x1
	v_add_f64_e32 v[8:9], v[20:21], v[8:9]
	s_delay_alu instid0(VALU_DEP_1) | instskip(SKIP_4) | instid1(VALU_DEP_1)
	v_add_f64_e32 v[8:9], v[8:9], v[10:11]
	ds_load_b64 v[10:11], v175
	s_wait_dscnt 0x1
	v_add_f64_e32 v[8:9], v[8:9], v[22:23]
	s_wait_dscnt 0x0
	v_add_f64_e32 v[8:9], v[8:9], v[10:11]
	v_add_nc_u32_e32 v10, s66, v170
	global_store_b64 v10, v[8:9], s[18:19] scale_offset
.LBB94_119:                             ;   in Loop: Header=BB94_69 Depth=2
	s_wait_xcnt 0x0
	s_or_b32 exec_lo, exec_lo, s67
	v_fmac_f64_e32 v[102:103], v[140:141], v[0:1]
	v_add_nc_u64_e32 v[104:105], s[44:45], v[104:105]
	v_add_nc_u64_e32 v[106:107], s[44:45], v[106:107]
	;; [unrolled: 1-line block ×16, first 2 shown]
	s_add_co_i32 s67, s73, 1
	s_add_co_i32 s73, s73, 2
	;; [unrolled: 1-line block ×3, first 2 shown]
	s_cmp_ge_u32 s73, s30
	s_wait_storecnt 0x0
	s_barrier_signal -1
	s_barrier_wait -1
	v_fmac_f64_e32 v[102:103], v[138:139], v[2:3]
	s_delay_alu instid0(VALU_DEP_1) | instskip(NEXT) | instid1(VALU_DEP_1)
	v_fmac_f64_e32 v[102:103], v[144:145], v[4:5]
	v_fmac_f64_e32 v[102:103], v[142:143], v[6:7]
	s_delay_alu instid0(VALU_DEP_1) | instskip(NEXT) | instid1(VALU_DEP_1)
	v_fmac_f64_e32 v[102:103], v[148:149], v[12:13]
	;; [unrolled: 3-line block ×7, first 2 shown]
	v_fmac_f64_e32 v[102:103], v[166:167], v[54:55]
	s_cbranch_scc1 .LBB94_121
; %bb.120:                              ;   in Loop: Header=BB94_69 Depth=2
	s_mov_b32 s73, s67
	s_delay_alu instid0(SALU_CYCLE_1)
	s_cmp_eq_u32 s70, s73
	s_cselect_b32 s74, s31, 0
	s_and_saveexec_b32 s75, s0
	s_cbranch_execnz .LBB94_66
	s_branch .LBB94_69
.LBB94_121:                             ;   in Loop: Header=BB94_4 Depth=1
	ds_store_b64 v184, v[102:103]
	s_wait_dscnt 0x0
	s_barrier_signal -1
	s_barrier_wait -1
	s_and_saveexec_b32 s66, s71
	s_cbranch_execz .LBB94_2
; %bb.122:                              ;   in Loop: Header=BB94_4 Depth=1
	ds_load_2addr_b64 v[0:3], v60 offset1:67
	s_wait_dscnt 0x0
	v_add_f64_e32 v[4:5], v[0:1], v[2:3]
	ds_load_2addr_b64 v[0:3], v60 offset0:134 offset1:201
	s_wait_dscnt 0x0
	v_add_f64_e32 v[0:1], v[4:5], v[0:1]
	s_delay_alu instid0(VALU_DEP_1)
	v_add_f64_e32 v[0:1], v[0:1], v[2:3]
	v_lshl_add_u64 v[2:3], v[62:63], 3, s[18:19]
	global_store_b64 v[2:3], v[0:1], off
	s_branch .LBB94_2
.LBB94_123:                             ;   in Loop: Header=BB94_4 Depth=1
	ds_load_b64 v[2:3], v180
	s_wait_dscnt 0x0
	ds_store_b64 v172, v[2:3]
	s_or_b32 exec_lo, exec_lo, s18
	s_and_saveexec_b32 s18, s10
	s_cbranch_execz .LBB94_24
.LBB94_124:                             ;   in Loop: Header=BB94_4 Depth=1
	ds_load_b64 v[2:3], v181
	s_wait_dscnt 0x0
	ds_store_b64 v172, v[2:3] offset:8
	s_or_b32 exec_lo, exec_lo, s18
	s_and_saveexec_b32 s18, s5
	s_cbranch_execz .LBB94_25
.LBB94_125:                             ;   in Loop: Header=BB94_4 Depth=1
	ds_load_b64 v[2:3], v181 offset:264
	s_wait_dscnt 0x0
	ds_store_b64 v172, v[2:3] offset:16
	s_or_b32 exec_lo, exec_lo, s18
	s_and_saveexec_b32 s18, s6
	s_cbranch_execnz .LBB94_26
	s_branch .LBB94_27
.LBB94_126:                             ;   in Loop: Header=BB94_4 Depth=1
	ds_load_b64 v[2:3], v180
	s_wait_dscnt 0x0
	ds_store_b64 v172, v[2:3]
	s_or_b32 exec_lo, exec_lo, s18
	s_and_saveexec_b32 s18, s10
	s_cbranch_execz .LBB94_43
.LBB94_127:                             ;   in Loop: Header=BB94_4 Depth=1
	ds_load_b64 v[2:3], v181
	s_wait_dscnt 0x0
	ds_store_b64 v172, v[2:3] offset:8
	s_or_b32 exec_lo, exec_lo, s18
	s_and_saveexec_b32 s18, s5
	s_cbranch_execz .LBB94_44
.LBB94_128:                             ;   in Loop: Header=BB94_4 Depth=1
	ds_load_b64 v[2:3], v181 offset:264
	s_wait_dscnt 0x0
	ds_store_b64 v172, v[2:3] offset:16
	s_or_b32 exec_lo, exec_lo, s18
	s_and_saveexec_b32 s18, s6
	s_cbranch_execnz .LBB94_45
	s_branch .LBB94_46
.LBB94_129:
	s_sendmsg sendmsg(MSG_DEALLOC_VGPRS)
	s_endpgm
	.section	.rodata,"a",@progbits
	.p2align	6, 0x0
	.amdhsa_kernel _ZL26rocblas_hemvn_kernel_upperILb0ELi64ELi4ELi33ELi32ELi16ElPKdS1_PdEviT6_lT7_lT5_lS4_lS5_lS3_lT8_i
		.amdhsa_group_segment_fixed_size 9600
		.amdhsa_private_segment_fixed_size 0
		.amdhsa_kernarg_size 376
		.amdhsa_user_sgpr_count 2
		.amdhsa_user_sgpr_dispatch_ptr 0
		.amdhsa_user_sgpr_queue_ptr 0
		.amdhsa_user_sgpr_kernarg_segment_ptr 1
		.amdhsa_user_sgpr_dispatch_id 0
		.amdhsa_user_sgpr_kernarg_preload_length 0
		.amdhsa_user_sgpr_kernarg_preload_offset 0
		.amdhsa_user_sgpr_private_segment_size 0
		.amdhsa_wavefront_size32 1
		.amdhsa_uses_dynamic_stack 0
		.amdhsa_enable_private_segment 0
		.amdhsa_system_sgpr_workgroup_id_x 1
		.amdhsa_system_sgpr_workgroup_id_y 0
		.amdhsa_system_sgpr_workgroup_id_z 1
		.amdhsa_system_sgpr_workgroup_info 0
		.amdhsa_system_vgpr_workitem_id 1
		.amdhsa_next_free_vgpr 214
		.amdhsa_next_free_sgpr 80
		.amdhsa_named_barrier_count 0
		.amdhsa_reserve_vcc 1
		.amdhsa_float_round_mode_32 0
		.amdhsa_float_round_mode_16_64 0
		.amdhsa_float_denorm_mode_32 3
		.amdhsa_float_denorm_mode_16_64 3
		.amdhsa_fp16_overflow 0
		.amdhsa_memory_ordered 1
		.amdhsa_forward_progress 1
		.amdhsa_inst_pref_size 52
		.amdhsa_round_robin_scheduling 0
		.amdhsa_exception_fp_ieee_invalid_op 0
		.amdhsa_exception_fp_denorm_src 0
		.amdhsa_exception_fp_ieee_div_zero 0
		.amdhsa_exception_fp_ieee_overflow 0
		.amdhsa_exception_fp_ieee_underflow 0
		.amdhsa_exception_fp_ieee_inexact 0
		.amdhsa_exception_int_div_zero 0
	.end_amdhsa_kernel
	.section	.text._ZL26rocblas_hemvn_kernel_upperILb0ELi64ELi4ELi33ELi32ELi16ElPKdS1_PdEviT6_lT7_lT5_lS4_lS5_lS3_lT8_i,"axG",@progbits,_ZL26rocblas_hemvn_kernel_upperILb0ELi64ELi4ELi33ELi32ELi16ElPKdS1_PdEviT6_lT7_lT5_lS4_lS5_lS3_lT8_i,comdat
.Lfunc_end94:
	.size	_ZL26rocblas_hemvn_kernel_upperILb0ELi64ELi4ELi33ELi32ELi16ElPKdS1_PdEviT6_lT7_lT5_lS4_lS5_lS3_lT8_i, .Lfunc_end94-_ZL26rocblas_hemvn_kernel_upperILb0ELi64ELi4ELi33ELi32ELi16ElPKdS1_PdEviT6_lT7_lT5_lS4_lS5_lS3_lT8_i
                                        ; -- End function
	.set _ZL26rocblas_hemvn_kernel_upperILb0ELi64ELi4ELi33ELi32ELi16ElPKdS1_PdEviT6_lT7_lT5_lS4_lS5_lS3_lT8_i.num_vgpr, 214
	.set _ZL26rocblas_hemvn_kernel_upperILb0ELi64ELi4ELi33ELi32ELi16ElPKdS1_PdEviT6_lT7_lT5_lS4_lS5_lS3_lT8_i.num_agpr, 0
	.set _ZL26rocblas_hemvn_kernel_upperILb0ELi64ELi4ELi33ELi32ELi16ElPKdS1_PdEviT6_lT7_lT5_lS4_lS5_lS3_lT8_i.numbered_sgpr, 80
	.set _ZL26rocblas_hemvn_kernel_upperILb0ELi64ELi4ELi33ELi32ELi16ElPKdS1_PdEviT6_lT7_lT5_lS4_lS5_lS3_lT8_i.num_named_barrier, 0
	.set _ZL26rocblas_hemvn_kernel_upperILb0ELi64ELi4ELi33ELi32ELi16ElPKdS1_PdEviT6_lT7_lT5_lS4_lS5_lS3_lT8_i.private_seg_size, 0
	.set _ZL26rocblas_hemvn_kernel_upperILb0ELi64ELi4ELi33ELi32ELi16ElPKdS1_PdEviT6_lT7_lT5_lS4_lS5_lS3_lT8_i.uses_vcc, 1
	.set _ZL26rocblas_hemvn_kernel_upperILb0ELi64ELi4ELi33ELi32ELi16ElPKdS1_PdEviT6_lT7_lT5_lS4_lS5_lS3_lT8_i.uses_flat_scratch, 0
	.set _ZL26rocblas_hemvn_kernel_upperILb0ELi64ELi4ELi33ELi32ELi16ElPKdS1_PdEviT6_lT7_lT5_lS4_lS5_lS3_lT8_i.has_dyn_sized_stack, 0
	.set _ZL26rocblas_hemvn_kernel_upperILb0ELi64ELi4ELi33ELi32ELi16ElPKdS1_PdEviT6_lT7_lT5_lS4_lS5_lS3_lT8_i.has_recursion, 0
	.set _ZL26rocblas_hemvn_kernel_upperILb0ELi64ELi4ELi33ELi32ELi16ElPKdS1_PdEviT6_lT7_lT5_lS4_lS5_lS3_lT8_i.has_indirect_call, 0
	.section	.AMDGPU.csdata,"",@progbits
; Kernel info:
; codeLenInByte = 6564
; TotalNumSgprs: 82
; NumVgprs: 214
; ScratchSize: 0
; MemoryBound: 0
; FloatMode: 240
; IeeeMode: 1
; LDSByteSize: 9600 bytes/workgroup (compile time only)
; SGPRBlocks: 0
; VGPRBlocks: 13
; NumSGPRsForWavesPerEU: 82
; NumVGPRsForWavesPerEU: 214
; NamedBarCnt: 0
; Occupancy: 4
; WaveLimiterHint : 0
; COMPUTE_PGM_RSRC2:SCRATCH_EN: 0
; COMPUTE_PGM_RSRC2:USER_SGPR: 2
; COMPUTE_PGM_RSRC2:TRAP_HANDLER: 0
; COMPUTE_PGM_RSRC2:TGID_X_EN: 1
; COMPUTE_PGM_RSRC2:TGID_Y_EN: 0
; COMPUTE_PGM_RSRC2:TGID_Z_EN: 1
; COMPUTE_PGM_RSRC2:TIDIG_COMP_CNT: 1
	.section	.text._ZL36rocblas_hemvn_kernel_upper_block_sumILi64ElPKdPddEviT1_lS3_lT2_lT0_lPT3_i,"axG",@progbits,_ZL36rocblas_hemvn_kernel_upper_block_sumILi64ElPKdPddEviT1_lS3_lT2_lT0_lPT3_i,comdat
	.globl	_ZL36rocblas_hemvn_kernel_upper_block_sumILi64ElPKdPddEviT1_lS3_lT2_lT0_lPT3_i ; -- Begin function _ZL36rocblas_hemvn_kernel_upper_block_sumILi64ElPKdPddEviT1_lS3_lT2_lT0_lPT3_i
	.p2align	8
	.type	_ZL36rocblas_hemvn_kernel_upper_block_sumILi64ElPKdPddEviT1_lS3_lT2_lT0_lPT3_i,@function
_ZL36rocblas_hemvn_kernel_upper_block_sumILi64ElPKdPddEviT1_lS3_lT2_lT0_lPT3_i: ; @_ZL36rocblas_hemvn_kernel_upper_block_sumILi64ElPKdPddEviT1_lS3_lT2_lT0_lPT3_i
; %bb.0:
	s_load_b32 s3, s[0:1], 0x50
	s_bfe_u32 s2, ttmp6, 0x40014
	s_lshr_b32 s4, ttmp7, 16
	s_add_co_i32 s2, s2, 1
	s_bfe_u32 s6, ttmp6, 0x40008
	s_mul_i32 s5, s4, s2
	s_getreg_b32 s2, hwreg(HW_REG_IB_STS2, 6, 4)
	s_add_co_i32 s6, s6, s5
	s_cmp_eq_u32 s2, 0
	s_mov_b32 s21, 0
	s_cselect_b32 s20, s4, s6
	s_wait_kmcnt 0x0
	s_cmp_ge_u32 s20, s3
	s_cbranch_scc1 .LBB95_24
; %bb.1:
	s_load_b256 s[4:11], s[0:1], 0x30
	s_bfe_u32 s12, ttmp6, 0x4000c
	s_and_b32 s13, ttmp6, 15
	s_add_co_i32 s12, s12, 1
	s_delay_alu instid0(SALU_CYCLE_1) | instskip(NEXT) | instid1(SALU_CYCLE_1)
	s_mul_i32 s12, ttmp9, s12
	s_add_co_i32 s13, s13, s12
	s_wait_kmcnt 0x0
	s_lshl_b64 s[4:5], s[4:5], 3
	s_cmp_eq_u32 s2, 0
	s_cselect_b32 s27, ttmp9, s13
	s_delay_alu instid0(SALU_CYCLE_1) | instskip(NEXT) | instid1(VALU_DEP_1)
	v_lshl_or_b32 v2, s27, 6, v0
	v_ashrrev_i32_e32 v3, 31, v2
	s_delay_alu instid0(VALU_DEP_1)
	v_mul_u64_e32 v[0:1], s[6:7], v[2:3]
	s_clause 0x2
	s_load_b64 s[6:7], s[0:1], 0x28
	s_load_b32 s22, s[0:1], 0x0
	s_load_b256 s[12:19], s[0:1], 0x8
	s_wait_xcnt 0x0
	s_add_nc_u64 s[0:1], s[0:1], 0x58
	s_wait_kmcnt 0x0
	s_add_nc_u64 s[4:5], s[6:7], s[4:5]
	v_cmp_gt_i32_e64 s2, s22, v2
	s_ashr_i32 s23, s22, 31
	v_lshl_add_u64 v[2:3], v[2:3], 3, s[10:11]
	s_cmp_gt_i32 s27, -1
	s_cselect_b32 s26, -1, 0
	s_add_co_i32 s27, s27, 1
	s_lshl_b64 s[6:7], s[22:23], 3
	s_branch .LBB95_4
.LBB95_2:                               ;   in Loop: Header=BB95_4 Depth=1
	s_wait_xcnt 0x0
	s_or_b32 exec_lo, exec_lo, s22
.LBB95_3:                               ;   in Loop: Header=BB95_4 Depth=1
	s_add_co_i32 s20, s20, 0x10000
	s_delay_alu instid0(SALU_CYCLE_1)
	s_cmp_lt_u32 s20, s3
	s_cbranch_scc0 .LBB95_24
.LBB95_4:                               ; =>This Loop Header: Depth=1
                                        ;     Child Loop BB95_15 Depth 2
	s_mul_u64 s[10:11], s[14:15], s[20:21]
	s_mul_u64 s[22:23], s[18:19], s[20:21]
	s_lshl_b64 s[10:11], s[10:11], 3
	s_lshl_b64 s[22:23], s[22:23], 3
	s_add_nc_u64 s[10:11], s[12:13], s[10:11]
	s_add_nc_u64 s[28:29], s[16:17], s[22:23]
	s_load_b64 s[22:23], s[10:11], 0x0
	s_load_b64 s[24:25], s[28:29], 0x0
	s_wait_kmcnt 0x0
	s_wait_xcnt 0x0
	v_cmp_eq_f64_e64 s10, s[22:23], 0
	v_cmp_eq_f64_e64 s11, s[24:25], 1.0
	s_and_b32 s10, s10, s11
	s_delay_alu instid0(SALU_CYCLE_1)
	s_and_b32 vcc_lo, exec_lo, s10
	s_cbranch_vccnz .LBB95_3
; %bb.5:                                ;   in Loop: Header=BB95_4 Depth=1
	v_cmp_neq_f64_e64 s28, s[22:23], 0
	s_mul_u64 s[10:11], s[8:9], s[20:21]
	s_delay_alu instid0(SALU_CYCLE_1) | instskip(NEXT) | instid1(SALU_CYCLE_1)
	s_lshl_b64 s[10:11], s[10:11], 3
	s_add_nc_u64 s[10:11], s[4:5], s[10:11]
	s_and_b32 vcc_lo, exec_lo, s28
	s_cbranch_vccnz .LBB95_10
; %bb.6:                                ;   in Loop: Header=BB95_4 Depth=1
	s_mov_b32 s29, 0
	s_mov_b32 s28, 0
                                        ; implicit-def: $vgpr4_vgpr5
	s_and_saveexec_b32 s30, s2
	s_cbranch_execz .LBB95_11
; %bb.7:                                ;   in Loop: Header=BB95_4 Depth=1
	v_cmp_eq_f64_e64 s28, s[24:25], 0
	v_mov_b64_e32 v[4:5], 0
	s_and_b32 vcc_lo, exec_lo, s28
	s_cbranch_vccnz .LBB95_9
; %bb.8:                                ;   in Loop: Header=BB95_4 Depth=1
	v_lshl_add_u64 v[4:5], v[0:1], 3, s[10:11]
	global_load_b64 v[4:5], v[4:5], off
	s_wait_loadcnt 0x0
	s_wait_xcnt 0x0
	v_mul_f64_e32 v[4:5], s[24:25], v[4:5]
.LBB95_9:                               ;   in Loop: Header=BB95_4 Depth=1
	s_mov_b32 s28, exec_lo
	s_or_b32 exec_lo, exec_lo, s30
	s_delay_alu instid0(SALU_CYCLE_1)
	s_and_b32 vcc_lo, exec_lo, s29
	s_cbranch_vccnz .LBB95_12
	s_branch .LBB95_21
.LBB95_10:                              ;   in Loop: Header=BB95_4 Depth=1
	s_mov_b32 s28, 0
                                        ; implicit-def: $vgpr4_vgpr5
	s_cbranch_execnz .LBB95_12
	s_branch .LBB95_21
.LBB95_11:                              ;   in Loop: Header=BB95_4 Depth=1
	s_or_b32 exec_lo, exec_lo, s30
	s_delay_alu instid0(SALU_CYCLE_1)
	s_and_b32 vcc_lo, exec_lo, s29
	s_cbranch_vccz .LBB95_21
.LBB95_12:                              ;   in Loop: Header=BB95_4 Depth=1
                                        ; implicit-def: $vgpr4_vgpr5
	s_and_saveexec_b32 s29, s2
	s_cbranch_execz .LBB95_20
; %bb.13:                               ;   in Loop: Header=BB95_4 Depth=1
	v_mov_b64_e32 v[6:7], 0
	s_and_not1_b32 vcc_lo, exec_lo, s26
	s_cbranch_vccnz .LBB95_16
; %bb.14:                               ;   in Loop: Header=BB95_4 Depth=1
	s_load_b32 s30, s[0:1], 0x0
	s_mov_b32 s31, s21
	v_mov_b64_e32 v[6:7], 0
	s_wait_kmcnt 0x0
	s_mul_u64 s[30:31], s[6:7], s[30:31]
	s_delay_alu instid0(SALU_CYCLE_1) | instskip(SKIP_1) | instid1(VALU_DEP_1)
	v_mad_nc_u64_u32 v[4:5], s30, s20, v[2:3]
	s_mov_b32 s30, s27
	v_mad_u32 v5, s31, s20, v5
.LBB95_15:                              ;   Parent Loop BB95_4 Depth=1
                                        ; =>  This Inner Loop Header: Depth=2
	global_load_b64 v[8:9], v[4:5], off
	s_wait_xcnt 0x0
	v_add_nc_u64_e32 v[4:5], s[6:7], v[4:5]
	s_add_co_i32 s30, s30, -1
	s_delay_alu instid0(SALU_CYCLE_1)
	s_cmp_eq_u32 s30, 0
	s_wait_loadcnt 0x0
	v_add_f64_e32 v[6:7], v[6:7], v[8:9]
	s_cbranch_scc0 .LBB95_15
.LBB95_16:                              ;   in Loop: Header=BB95_4 Depth=1
	v_cmp_eq_f64_e64 s30, s[24:25], 0
	s_and_b32 vcc_lo, exec_lo, s30
	s_cbranch_vccz .LBB95_23
; %bb.17:                               ;   in Loop: Header=BB95_4 Depth=1
	v_mul_f64_e32 v[4:5], s[22:23], v[6:7]
	s_cbranch_execnz .LBB95_19
.LBB95_18:                              ;   in Loop: Header=BB95_4 Depth=1
	v_lshl_add_u64 v[4:5], v[0:1], 3, s[10:11]
	global_load_b64 v[4:5], v[4:5], off
	s_wait_loadcnt 0x0
	s_wait_xcnt 0x0
	v_mul_f64_e32 v[4:5], s[24:25], v[4:5]
	s_delay_alu instid0(VALU_DEP_1)
	v_fmac_f64_e32 v[4:5], s[22:23], v[6:7]
.LBB95_19:                              ;   in Loop: Header=BB95_4 Depth=1
	s_or_b32 s28, s28, exec_lo
.LBB95_20:                              ;   in Loop: Header=BB95_4 Depth=1
	s_or_b32 exec_lo, exec_lo, s29
.LBB95_21:                              ;   in Loop: Header=BB95_4 Depth=1
	s_and_saveexec_b32 s22, s28
	s_cbranch_execz .LBB95_2
; %bb.22:                               ;   in Loop: Header=BB95_4 Depth=1
	v_lshl_add_u64 v[6:7], v[0:1], 3, s[10:11]
	global_store_b64 v[6:7], v[4:5], off
	s_branch .LBB95_2
.LBB95_23:                              ;   in Loop: Header=BB95_4 Depth=1
                                        ; implicit-def: $vgpr4_vgpr5
	s_branch .LBB95_18
.LBB95_24:
	s_endpgm
	.section	.rodata,"a",@progbits
	.p2align	6, 0x0
	.amdhsa_kernel _ZL36rocblas_hemvn_kernel_upper_block_sumILi64ElPKdPddEviT1_lS3_lT2_lT0_lPT3_i
		.amdhsa_group_segment_fixed_size 0
		.amdhsa_private_segment_fixed_size 0
		.amdhsa_kernarg_size 344
		.amdhsa_user_sgpr_count 2
		.amdhsa_user_sgpr_dispatch_ptr 0
		.amdhsa_user_sgpr_queue_ptr 0
		.amdhsa_user_sgpr_kernarg_segment_ptr 1
		.amdhsa_user_sgpr_dispatch_id 0
		.amdhsa_user_sgpr_kernarg_preload_length 0
		.amdhsa_user_sgpr_kernarg_preload_offset 0
		.amdhsa_user_sgpr_private_segment_size 0
		.amdhsa_wavefront_size32 1
		.amdhsa_uses_dynamic_stack 0
		.amdhsa_enable_private_segment 0
		.amdhsa_system_sgpr_workgroup_id_x 1
		.amdhsa_system_sgpr_workgroup_id_y 0
		.amdhsa_system_sgpr_workgroup_id_z 1
		.amdhsa_system_sgpr_workgroup_info 0
		.amdhsa_system_vgpr_workitem_id 0
		.amdhsa_next_free_vgpr 10
		.amdhsa_next_free_sgpr 32
		.amdhsa_named_barrier_count 0
		.amdhsa_reserve_vcc 1
		.amdhsa_float_round_mode_32 0
		.amdhsa_float_round_mode_16_64 0
		.amdhsa_float_denorm_mode_32 3
		.amdhsa_float_denorm_mode_16_64 3
		.amdhsa_fp16_overflow 0
		.amdhsa_memory_ordered 1
		.amdhsa_forward_progress 1
		.amdhsa_inst_pref_size 6
		.amdhsa_round_robin_scheduling 0
		.amdhsa_exception_fp_ieee_invalid_op 0
		.amdhsa_exception_fp_denorm_src 0
		.amdhsa_exception_fp_ieee_div_zero 0
		.amdhsa_exception_fp_ieee_overflow 0
		.amdhsa_exception_fp_ieee_underflow 0
		.amdhsa_exception_fp_ieee_inexact 0
		.amdhsa_exception_int_div_zero 0
	.end_amdhsa_kernel
	.section	.text._ZL36rocblas_hemvn_kernel_upper_block_sumILi64ElPKdPddEviT1_lS3_lT2_lT0_lPT3_i,"axG",@progbits,_ZL36rocblas_hemvn_kernel_upper_block_sumILi64ElPKdPddEviT1_lS3_lT2_lT0_lPT3_i,comdat
.Lfunc_end95:
	.size	_ZL36rocblas_hemvn_kernel_upper_block_sumILi64ElPKdPddEviT1_lS3_lT2_lT0_lPT3_i, .Lfunc_end95-_ZL36rocblas_hemvn_kernel_upper_block_sumILi64ElPKdPddEviT1_lS3_lT2_lT0_lPT3_i
                                        ; -- End function
	.set _ZL36rocblas_hemvn_kernel_upper_block_sumILi64ElPKdPddEviT1_lS3_lT2_lT0_lPT3_i.num_vgpr, 10
	.set _ZL36rocblas_hemvn_kernel_upper_block_sumILi64ElPKdPddEviT1_lS3_lT2_lT0_lPT3_i.num_agpr, 0
	.set _ZL36rocblas_hemvn_kernel_upper_block_sumILi64ElPKdPddEviT1_lS3_lT2_lT0_lPT3_i.numbered_sgpr, 32
	.set _ZL36rocblas_hemvn_kernel_upper_block_sumILi64ElPKdPddEviT1_lS3_lT2_lT0_lPT3_i.num_named_barrier, 0
	.set _ZL36rocblas_hemvn_kernel_upper_block_sumILi64ElPKdPddEviT1_lS3_lT2_lT0_lPT3_i.private_seg_size, 0
	.set _ZL36rocblas_hemvn_kernel_upper_block_sumILi64ElPKdPddEviT1_lS3_lT2_lT0_lPT3_i.uses_vcc, 1
	.set _ZL36rocblas_hemvn_kernel_upper_block_sumILi64ElPKdPddEviT1_lS3_lT2_lT0_lPT3_i.uses_flat_scratch, 0
	.set _ZL36rocblas_hemvn_kernel_upper_block_sumILi64ElPKdPddEviT1_lS3_lT2_lT0_lPT3_i.has_dyn_sized_stack, 0
	.set _ZL36rocblas_hemvn_kernel_upper_block_sumILi64ElPKdPddEviT1_lS3_lT2_lT0_lPT3_i.has_recursion, 0
	.set _ZL36rocblas_hemvn_kernel_upper_block_sumILi64ElPKdPddEviT1_lS3_lT2_lT0_lPT3_i.has_indirect_call, 0
	.section	.AMDGPU.csdata,"",@progbits
; Kernel info:
; codeLenInByte = 716
; TotalNumSgprs: 34
; NumVgprs: 10
; ScratchSize: 0
; MemoryBound: 0
; FloatMode: 240
; IeeeMode: 1
; LDSByteSize: 0 bytes/workgroup (compile time only)
; SGPRBlocks: 0
; VGPRBlocks: 0
; NumSGPRsForWavesPerEU: 34
; NumVGPRsForWavesPerEU: 10
; NamedBarCnt: 0
; Occupancy: 16
; WaveLimiterHint : 0
; COMPUTE_PGM_RSRC2:SCRATCH_EN: 0
; COMPUTE_PGM_RSRC2:USER_SGPR: 2
; COMPUTE_PGM_RSRC2:TRAP_HANDLER: 0
; COMPUTE_PGM_RSRC2:TGID_X_EN: 1
; COMPUTE_PGM_RSRC2:TGID_Y_EN: 0
; COMPUTE_PGM_RSRC2:TGID_Z_EN: 1
; COMPUTE_PGM_RSRC2:TIDIG_COMP_CNT: 0
	.section	.text._ZL26rocblas_hemvn_kernel_upperILb0ELi64ELi4ELi33ELi32ELi16EiPKdS1_PdEviT6_lT7_lT5_lS4_lS5_lS3_lT8_i,"axG",@progbits,_ZL26rocblas_hemvn_kernel_upperILb0ELi64ELi4ELi33ELi32ELi16EiPKdS1_PdEviT6_lT7_lT5_lS4_lS5_lS3_lT8_i,comdat
	.globl	_ZL26rocblas_hemvn_kernel_upperILb0ELi64ELi4ELi33ELi32ELi16EiPKdS1_PdEviT6_lT7_lT5_lS4_lS5_lS3_lT8_i ; -- Begin function _ZL26rocblas_hemvn_kernel_upperILb0ELi64ELi4ELi33ELi32ELi16EiPKdS1_PdEviT6_lT7_lT5_lS4_lS5_lS3_lT8_i
	.p2align	8
	.type	_ZL26rocblas_hemvn_kernel_upperILb0ELi64ELi4ELi33ELi32ELi16EiPKdS1_PdEviT6_lT7_lT5_lS4_lS5_lS3_lT8_i,@function
_ZL26rocblas_hemvn_kernel_upperILb0ELi64ELi4ELi33ELi32ELi16EiPKdS1_PdEviT6_lT7_lT5_lS4_lS5_lS3_lT8_i: ; @_ZL26rocblas_hemvn_kernel_upperILb0ELi64ELi4ELi33ELi32ELi16EiPKdS1_PdEviT6_lT7_lT5_lS4_lS5_lS3_lT8_i
; %bb.0:
	s_clause 0x1
	s_load_b64 s[2:3], s[0:1], 0x84
	s_load_b32 s33, s[0:1], 0x70
	s_bfe_u32 s4, ttmp6, 0x40014
	s_lshr_b32 s5, ttmp7, 16
	s_add_co_i32 s4, s4, 1
	s_bfe_u32 s6, ttmp6, 0x40008
	s_mul_i32 s7, s5, s4
	s_getreg_b32 s4, hwreg(HW_REG_IB_STS2, 6, 4)
	s_add_co_i32 s6, s6, s7
	s_mov_b32 s35, 0
	s_wait_kmcnt 0x0
	s_lshr_b32 s7, s2, 16
	s_and_b32 s2, s2, 0xffff
	s_and_b32 s3, s3, 0xffff
	s_mul_i32 s2, s7, s2
	s_cmp_eq_u32 s4, 0
	s_mul_i32 s2, s2, s3
	s_cselect_b32 s34, s5, s6
	s_cmp_lg_u32 s2, 0x100
	s_cselect_b32 s2, -1, 0
	s_cmp_ge_u32 s34, s33
	s_cselect_b32 s3, -1, 0
	s_delay_alu instid0(SALU_CYCLE_1) | instskip(NEXT) | instid1(SALU_CYCLE_1)
	s_or_b32 s2, s2, s3
	s_and_b32 vcc_lo, exec_lo, s2
	s_cbranch_vccnz .LBB96_129
; %bb.1:
	s_clause 0x5
	s_load_b32 s2, s[0:1], 0x0
	s_load_b32 s70, s[0:1], 0x28
	s_load_b256 s[20:27], s[0:1], 0x8
	s_load_b128 s[28:31], s[0:1], 0x30
	s_load_b96 s[16:18], s[0:1], 0x40
	s_load_b256 s[36:43], s[0:1], 0x50
	s_add_nc_u64 s[6:7], s[0:1], 0x78
	s_wait_xcnt 0x0
	s_bfe_u32 s0, ttmp6, 0x4000c
	v_and_b32_e32 v172, 0x3ff, v0
	s_add_co_i32 s0, s0, 1
	v_bfe_u32 v1, v0, 10, 10
	s_and_b32 s1, ttmp6, 15
	s_mul_i32 s3, ttmp9, s0
	s_load_b32 s44, s[6:7], 0x0
	s_add_co_i32 s1, s1, s3
	v_lshl_add_u32 v6, v1, 6, v172
	v_and_b32_e32 v56, 31, v0
	s_mov_b32 s45, s35
	v_cmp_eq_u32_e64 s0, 0, v1
	v_lshl_add_u32 v182, v1, 5, 0x2180
	s_delay_alu instid0(VALU_DEP_3)
	v_dual_lshrrev_b32 v7, 5, v6 :: v_dual_lshlrev_b32 v8, 3, v56
	v_and_b32_e32 v12, 0x7fe0, v6
	s_wait_kmcnt 0x0
	s_ashr_i32 s3, s2, 31
	s_ashr_i32 s71, s70, 31
	s_cmp_eq_u32 s4, 0
	v_mad_u32 v2, s70, v7, v56
	s_cselect_b32 s46, ttmp9, s1
	s_lshr_b32 s1, s3, 26
	s_lshl_b32 s54, s46, 6
	s_delay_alu instid0(SALU_CYCLE_1)
	v_dual_lshlrev_b32 v173, 3, v172 :: v_dual_add_nc_u32 v58, s54, v172
	s_add_co_i32 s1, s2, s1
	s_add_co_i32 s8, s44, -1
	s_and_not1_b32 s1, s1, 63
	s_lshl_b64 s[4:5], s[16:17], 3
	v_mul_lo_u32 v4, s18, v58
	s_lshl_b64 s[6:7], s[26:27], 3
	s_sub_co_i32 s94, s2, s1
	s_cmp_eq_u32 s46, s8
	s_add_nc_u64 s[4:5], s[30:31], s[4:5]
	s_cselect_b32 s26, s94, 0
	s_add_nc_u64 s[6:7], s[24:25], s[6:7]
	s_cmp_lg_u32 s26, 0
	s_mul_u64 s[24:25], s[44:45], s[2:3]
	s_cselect_b32 s95, -1, 0
	s_cmp_eq_u32 s26, 0
	v_dual_ashrrev_i32 v5, 31, v4 :: v_dual_ashrrev_i32 v3, 31, v2
	s_cselect_b32 s1, -1, 0
	s_ashr_i32 s55, s54, 31
	s_ashr_i32 s47, s46, 31
	s_delay_alu instid0(VALU_DEP_1)
	v_lshl_add_u64 v[60:61], v[4:5], 3, s[4:5]
	v_lshlrev_b64_e32 v[2:3], 3, v[2:3]
	s_lshl_b64 s[4:5], s[54:55], 3
	s_sub_co_i32 s15, s26, 32
	s_add_nc_u64 s[4:5], s[6:7], s[4:5]
	s_mul_u64 s[6:7], s[2:3], s[46:47]
	v_mul_u32_u24_e32 v9, 0x108, v7
	s_lshl_b64 s[2:3], s[6:7], 3
	v_add_nc_u64_e32 v[4:5], s[4:5], v[2:3]
	s_mul_i32 s4, s70, s54
	s_add_nc_u64 s[30:31], s[42:43], s[2:3]
	s_ashr_i32 s5, s4, 31
	v_cmp_gt_i32_e64 s2, s26, v7
	v_mul_u32_u24_e32 v14, 0x420, v7
	v_add_nc_u32_e32 v10, 24, v7
	v_lshl_add_u64 v[62:63], s[4:5], 3, v[4:5]
	v_add_nc_u32_e32 v4, 8, v7
	v_lshl_or_b32 v175, v56, 8, v8
	v_dual_lshlrev_b32 v11, 2, v7 :: v_dual_lshlrev_b32 v179, 2, v1
	v_add_nc_u32_e32 v5, 16, v7
	s_delay_alu instid0(VALU_DEP_4) | instskip(NEXT) | instid1(VALU_DEP_3)
	v_cmp_gt_i32_e64 s3, s26, v4
	v_dual_add_nc_u32 v176, v175, v12 :: v_dual_bitop2_b32 v13, 1, v11 bitop3:0x54
	v_cmp_gt_i32_e64 s13, s15, v4
	v_mad_u32 v4, s70, v179, v172
	v_cmp_gt_i32_e64 s5, s26, v10
	v_cmp_gt_u32_e64 s6, v11, v56
	v_cmp_ge_u32_e64 s7, v11, v56
	v_or_b32_e32 v15, 2, v11
	v_or_b32_e32 v11, 3, v11
	v_lshlrev_b32_e32 v17, 3, v7
	v_cmp_gt_i32_e64 s12, s15, v7
	v_cmp_gt_i32_e64 s14, s15, v5
	;; [unrolled: 1-line block ×3, first 2 shown]
	v_cmp_eq_u32_e64 s16, 1, v7
	v_mul_i32_i24_e32 v180, 0xffffffe8, v7
	v_dual_lshrrev_b32 v7, 4, v6 :: v_dual_bitop2_b32 v10, 15, v0 bitop3:0x40
	v_dual_add_nc_u32 v190, 16, v179 :: v_dual_bitop2_b32 v0, 48, v0 bitop3:0x40
	v_cmp_gt_i32_e64 s4, s26, v5
	v_ashrrev_i32_e32 v5, 31, v4
	v_cmp_gt_u32_e64 s9, v11, v56
	v_or_b32_e32 v11, 32, v56
	v_dual_lshlrev_b32 v0, 3, v0 :: v_dual_bitop2_b32 v187, 1, v179 bitop3:0x54
	s_lshl_b32 s52, s70, 5
	v_mad_u32_u24 v183, 0x860, v1, v173
	s_ashr_i32 s53, s52, 31
	v_cmp_gt_i32_e64 s11, s26, v11
	v_lshlrev_b32_e32 v11, 5, v7
	v_mad_u32_u24 v185, 0x218, v10, v0
	v_mad_u32_u24 v199, 0x218, v1, v173
	v_add_nc_u64_e32 v[0:1], s[52:53], v[4:5]
	v_cmp_gt_i32_e32 vcc_lo, s26, v172
	s_lshl_b32 s42, s70, 3
	s_lshl_b32 s48, s70, 4
	s_mul_i32 s50, s70, 24
	s_mul_i32 s54, s18, s54
	s_add_co_i32 s19, s46, 1
	s_or_b32 s96, s1, vcc_lo
	s_ashr_i32 s27, s26, 31
	s_ashr_i32 s43, s42, 31
	;; [unrolled: 1-line block ×5, first 2 shown]
	v_lshlrev_b64_e32 v[0:1], 3, v[0:1]
	s_cmp_lt_u32 s19, s44
	s_mul_u64 s[68:69], s[70:71], 24
	s_cselect_b32 s45, -1, 0
	s_lshl_b64 s[80:81], s[48:49], 4
	v_cmp_gt_u32_e64 s10, 32, v6
	s_add_nc_u64 s[78:79], s[68:69], s[80:81]
	v_mad_u32_u24 v184, 0x218, v10, v11
	v_add_nc_u64_e32 v[74:75], s[78:79], v[0:1]
	s_add_nc_u64 s[78:79], s[70:71], s[48:49]
	v_mul_i32_i24_e32 v11, 0xffffffe8, v7
	v_mad_nc_u64_u32 v[76:77], s78, 24, v[0:1]
	v_cmp_gt_u32_e64 s17, 64, v6
	v_lshlrev_b64_e32 v[6:7], 3, v[4:5]
	v_mad_nc_i64_i32 v[80:81], s48, 24, v[0:1]
	s_add_nc_u64 s[66:67], s[52:53], s[48:49]
	s_lshl_b32 s62, s70, 1
	s_mul_i32 s64, s70, 3
	v_dual_mov_b32 v57, 0 :: v_dual_add_nc_u32 v174, 0x2380, v173
	v_sub_nc_u64_e32 v[66:67], 0, v[2:3]
	v_sub_nc_u64_e32 v[68:69], v[6:7], v[2:3]
	v_add_nc_u64_e32 v[2:3], s[66:67], v[4:5]
	s_lshl_b32 s97, s18, 6
	s_ashr_i32 s63, s62, 31
	s_ashr_i32 s65, s64, 31
	s_lshl_b64 s[56:57], s[70:71], 6
	s_mul_i32 s58, s18, s19
	s_lshl_b64 s[18:19], s[70:71], 3
	s_lshl_b64 s[72:73], s[70:71], 4
	;; [unrolled: 1-line block ×3, first 2 shown]
	s_mul_u64 s[70:71], s[48:49], 24
	v_mad_u32 v77, s79, 24, v77
	v_mul_u32_u24_e32 v13, 0x108, v13
	v_mul_u32_u24_e32 v16, 33, v56
	v_add_nc_u32_e32 v177, 0x2380, v12
	v_or_b32_e32 v12, 0x78, v173
	s_lshl_b32 s99, s58, 6
	s_add_nc_u64 s[58:59], s[72:73], s[76:77]
	s_lshl_b64 s[84:85], s[62:63], 3
	s_lshl_b64 s[86:87], s[64:65], 3
	s_add_nc_u64 s[72:73], s[70:71], s[72:73]
	v_sub_nc_u64_e32 v[64:65], 0, v[56:57]
	v_add_nc_u64_e32 v[70:71], s[68:69], v[0:1]
	v_add_nc_u64_e32 v[78:79], s[72:73], v[0:1]
	;; [unrolled: 1-line block ×5, first 2 shown]
	s_lshl_b64 s[74:75], s[48:49], 3
	v_cmp_gt_i32_e64 s1, s26, v56
	v_cmp_gt_u32_e64 s8, v15, v56
	v_lshl_add_u32 v178, v16, 3, v17
	v_add_nc_u32_e32 v181, 0x2180, v173
	v_mad_u32_u24 v186, 0x218, v10, v12
	v_dual_add_nc_u32 v191, 17, v179 :: v_dual_bitop2_b32 v188, 2, v179 bitop3:0x54
	v_dual_add_nc_u32 v192, 18, v179 :: v_dual_bitop2_b32 v189, 3, v179 bitop3:0x54
	v_dual_add_nc_u32 v193, 19, v179 :: v_dual_add_nc_u32 v194, 32, v179
	v_dual_add_nc_u32 v195, 33, v179 :: v_dual_add_nc_u32 v196, 34, v179
	;; [unrolled: 1-line block ×3, first 2 shown]
	v_dual_ashrrev_i32 v59, 31, v58 :: v_dual_add_nc_u32 v200, v175, v17
	v_add_nc_u32_e32 v201, 0x2380, v17
	v_lshl_add_u64 v[72:73], v[2:3], 3, s[68:69]
	v_dual_add_nc_u32 v202, v8, v9 :: v_dual_add_nc_u32 v203, v8, v14
	v_dual_add_nc_u32 v204, v8, v13 :: v_dual_lshlrev_b32 v56, 3, v56
	v_dual_add_nc_u32 v205, v184, v11 :: v_dual_add_nc_u32 v209, 64, v58
	v_dual_add_nc_u32 v206, 49, v179 :: v_dual_add_nc_u32 v207, 50, v179
	v_add_nc_u32_e32 v208, 51, v179
	s_add_nc_u64 s[60:61], s[18:19], s[76:77]
	s_add_nc_u64 s[62:63], s[76:77], s[84:85]
	;; [unrolled: 1-line block ×5, first 2 shown]
	s_sub_nc_u64 s[54:55], 0, s[54:55]
	s_add_co_i32 s47, s44, -2
	s_and_b32 s98, s0, s96
	s_add_nc_u64 s[68:69], s[60:61], s[74:75]
	s_add_nc_u64 s[70:71], s[66:67], s[84:85]
	;; [unrolled: 1-line block ×6, first 2 shown]
	s_mov_b64 s[82:83], 0xfffffffffffffef8
	s_add_nc_u64 s[84:85], s[76:77], s[84:85]
	s_add_nc_u64 s[86:87], s[76:77], s[86:87]
	s_sub_nc_u64 s[88:89], 0, s[26:27]
	s_lshl_b64 s[90:91], s[48:49], 5
	s_branch .LBB96_4
.LBB96_2:                               ;   in Loop: Header=BB96_4 Depth=1
	s_wait_xcnt 0x0
	s_or_b32 exec_lo, exec_lo, s92
.LBB96_3:                               ;   in Loop: Header=BB96_4 Depth=1
	s_add_co_i32 s34, s34, 0x10000
	s_delay_alu instid0(SALU_CYCLE_1)
	s_cmp_lt_u32 s34, s33
	s_cbranch_scc0 .LBB96_129
.LBB96_4:                               ; =>This Loop Header: Depth=1
                                        ;     Child Loop BB96_69 Depth 2
	s_mul_u64 s[18:19], s[22:23], s[34:35]
	s_wait_xcnt 0x0
	s_mul_u64 s[92:93], s[40:41], s[34:35]
	s_lshl_b64 s[18:19], s[18:19], 3
	s_lshl_b64 s[92:93], s[92:93], 3
	s_add_nc_u64 s[18:19], s[20:21], s[18:19]
	s_add_nc_u64 s[92:93], s[38:39], s[92:93]
	s_clause 0x1
	global_load_b64 v[0:1], v57, s[18:19]
	global_load_b64 v[2:3], v57, s[92:93]
	s_wait_loadcnt 0x1
	s_wait_xcnt 0x1
	v_cmp_eq_f64_e64 s18, 0, v[0:1]
	s_wait_loadcnt 0x0
	v_cmp_eq_f64_e32 vcc_lo, 1.0, v[2:3]
	s_and_b32 s19, s18, vcc_lo
	s_delay_alu instid0(SALU_CYCLE_1)
	s_and_b32 vcc_lo, exec_lo, s19
	s_cbranch_vccnz .LBB96_3
; %bb.5:                                ;   in Loop: Header=BB96_4 Depth=1
	s_and_b32 vcc_lo, exec_lo, s18
	s_cbranch_vccnz .LBB96_3
; %bb.6:                                ;   in Loop: Header=BB96_4 Depth=1
	s_mul_u64 s[18:19], s[36:37], s[34:35]
	s_delay_alu instid0(SALU_CYCLE_1)
	v_lshl_add_u64 v[12:13], s[18:19], 3, v[60:61]
	s_wait_xcnt 0x0
	s_and_saveexec_b32 s18, s0
	s_cbranch_execz .LBB96_10
; %bb.7:                                ;   in Loop: Header=BB96_4 Depth=1
	v_mov_b64_e32 v[0:1], 0
	s_and_saveexec_b32 s19, s96
	s_cbranch_execz .LBB96_9
; %bb.8:                                ;   in Loop: Header=BB96_4 Depth=1
	global_load_b64 v[0:1], v[12:13], off
.LBB96_9:                               ;   in Loop: Header=BB96_4 Depth=1
	s_wait_xcnt 0x0
	s_or_b32 exec_lo, exec_lo, s19
	s_wait_loadcnt 0x0
	ds_store_b64 v174, v[0:1]
.LBB96_10:                              ;   in Loop: Header=BB96_4 Depth=1
	s_or_b32 exec_lo, exec_lo, s18
	s_mul_u64 s[18:19], s[28:29], s[34:35]
	s_and_b32 vcc_lo, exec_lo, s95
	v_lshl_add_u64 v[2:3], s[18:19], 3, v[62:63]
	s_mov_b32 s18, -1
                                        ; implicit-def: $vgpr0_vgpr1
	s_cbranch_vccz .LBB96_20
; %bb.11:                               ;   in Loop: Header=BB96_4 Depth=1
	s_delay_alu instid0(VALU_DEP_1) | instskip(SKIP_2) | instid1(VALU_DEP_3)
	v_lshl_add_u64 v[0:1], v[64:65], 3, v[2:3]
	v_mov_b64_e32 v[4:5], 0
	v_mov_b64_e32 v[6:7], 0
	v_lshl_add_u64 v[0:1], s[26:27], 3, v[0:1]
	s_delay_alu instid0(VALU_DEP_1) | instskip(NEXT) | instid1(VALU_DEP_1)
	v_add_nc_u64_e32 v[0:1], -8, v[0:1]
	v_dual_cndmask_b32 v1, v1, v3, s1 :: v_dual_cndmask_b32 v0, v0, v2, s1
	s_and_saveexec_b32 s18, s2
	s_cbranch_execz .LBB96_13
; %bb.12:                               ;   in Loop: Header=BB96_4 Depth=1
	global_load_b64 v[6:7], v[0:1], off
.LBB96_13:                              ;   in Loop: Header=BB96_4 Depth=1
	s_wait_xcnt 0x0
	s_or_b32 exec_lo, exec_lo, s18
	s_wait_loadcnt 0x0
	ds_store_b64 v202, v[6:7]
	s_and_saveexec_b32 s18, s3
	s_cbranch_execz .LBB96_15
; %bb.14:                               ;   in Loop: Header=BB96_4 Depth=1
	v_lshl_add_u64 v[4:5], s[42:43], 3, v[0:1]
	global_load_b64 v[4:5], v[4:5], off
.LBB96_15:                              ;   in Loop: Header=BB96_4 Depth=1
	s_wait_xcnt 0x0
	s_or_b32 exec_lo, exec_lo, s18
	s_wait_loadcnt 0x0
	ds_store_b64 v202, v[4:5] offset:2112
	v_mov_b64_e32 v[4:5], 0
	v_mov_b64_e32 v[6:7], 0
	s_and_saveexec_b32 s18, s4
	s_cbranch_execz .LBB96_17
; %bb.16:                               ;   in Loop: Header=BB96_4 Depth=1
	v_lshl_add_u64 v[6:7], s[48:49], 3, v[0:1]
	global_load_b64 v[6:7], v[6:7], off
.LBB96_17:                              ;   in Loop: Header=BB96_4 Depth=1
	s_wait_xcnt 0x0
	s_or_b32 exec_lo, exec_lo, s18
	s_wait_loadcnt 0x0
	ds_store_b64 v202, v[6:7] offset:4224
	s_and_saveexec_b32 s18, s5
	s_cbranch_execz .LBB96_19
; %bb.18:                               ;   in Loop: Header=BB96_4 Depth=1
	v_lshl_add_u64 v[4:5], s[50:51], 3, v[0:1]
	global_load_b64 v[4:5], v[4:5], off
.LBB96_19:                              ;   in Loop: Header=BB96_4 Depth=1
	s_wait_xcnt 0x0
	s_or_b32 exec_lo, exec_lo, s18
	v_add_nc_u64_e32 v[0:1], v[0:1], v[56:57]
	s_mov_b32 s18, 0
	s_wait_loadcnt 0x0
	ds_store_b64 v202, v[4:5] offset:6336
	v_lshl_add_u64 v[0:1], s[88:89], 3, v[0:1]
	s_delay_alu instid0(VALU_DEP_1) | instskip(NEXT) | instid1(VALU_DEP_1)
	v_add_nc_u64_e32 v[0:1], 8, v[0:1]
	v_dual_cndmask_b32 v1, v1, v3, s1 :: v_dual_cndmask_b32 v0, v0, v2, s1
.LBB96_20:                              ;   in Loop: Header=BB96_4 Depth=1
	s_and_b32 vcc_lo, exec_lo, s18
	s_cbranch_vccz .LBB96_22
; %bb.21:                               ;   in Loop: Header=BB96_4 Depth=1
	global_load_b64 v[0:1], v[2:3], off
	s_wait_loadcnt 0x0
	ds_store_b64 v202, v[0:1]
	v_lshl_add_u64 v[0:1], s[42:43], 3, v[2:3]
	global_load_b64 v[4:5], v[0:1], off
	s_wait_xcnt 0x0
	v_add_nc_u64_e32 v[0:1], s[56:57], v[0:1]
	s_wait_loadcnt 0x0
	ds_store_b64 v202, v[4:5] offset:2112
	global_load_b64 v[4:5], v[0:1], off
	s_wait_xcnt 0x0
	v_add_nc_u64_e32 v[0:1], s[56:57], v[0:1]
	global_load_b64 v[0:1], v[0:1], off
	s_wait_loadcnt 0x1
	ds_store_b64 v202, v[4:5] offset:4224
	s_wait_loadcnt 0x0
	ds_store_b64 v202, v[0:1] offset:6336
	s_wait_xcnt 0x0
	v_mov_b64_e32 v[0:1], v[2:3]
.LBB96_22:                              ;   in Loop: Header=BB96_4 Depth=1
	s_wait_dscnt 0x0
	s_barrier_signal -1
	s_barrier_wait -1
	s_and_saveexec_b32 s18, s6
	s_cbranch_execnz .LBB96_123
; %bb.23:                               ;   in Loop: Header=BB96_4 Depth=1
	s_or_b32 exec_lo, exec_lo, s18
	s_and_saveexec_b32 s18, s7
	s_cbranch_execnz .LBB96_124
.LBB96_24:                              ;   in Loop: Header=BB96_4 Depth=1
	s_or_b32 exec_lo, exec_lo, s18
	s_and_saveexec_b32 s18, s8
	s_cbranch_execnz .LBB96_125
.LBB96_25:                              ;   in Loop: Header=BB96_4 Depth=1
	s_or_b32 exec_lo, exec_lo, s18
	s_and_saveexec_b32 s18, s9
	s_cbranch_execz .LBB96_27
.LBB96_26:                              ;   in Loop: Header=BB96_4 Depth=1
	ds_load_b64 v[2:3], v204 offset:528
	s_wait_dscnt 0x0
	ds_store_b64 v176, v[2:3] offset:24
.LBB96_27:                              ;   in Loop: Header=BB96_4 Depth=1
	s_or_b32 exec_lo, exec_lo, s18
	s_wait_dscnt 0x0
	s_barrier_signal -1
	s_barrier_wait -1
	ds_load_b64 v[10:11], v203
	ds_load_b128 v[2:5], v177
	ds_load_b128 v[6:9], v177 offset:16
	ds_load_b64 v[18:19], v204 offset:528
	ds_load_2addr_b64 v[14:17], v204 offset1:33
	v_mov_b64_e32 v[88:89], 0
	s_wait_dscnt 0x0
	s_barrier_signal -1
	s_barrier_wait -1
	v_fma_f64 v[2:3], v[10:11], v[2:3], 0
	s_delay_alu instid0(VALU_DEP_1) | instskip(NEXT) | instid1(VALU_DEP_1)
	v_fmac_f64_e32 v[2:3], v[14:15], v[4:5]
	v_fmac_f64_e32 v[2:3], v[16:17], v[6:7]
	s_delay_alu instid0(VALU_DEP_1)
	v_fmac_f64_e32 v[2:3], v[18:19], v[8:9]
	ds_store_b64 v178, v[2:3]
	s_wait_dscnt 0x0
	s_barrier_signal -1
	s_barrier_wait -1
	s_and_saveexec_b32 s18, s10
	s_cbranch_execz .LBB96_29
; %bb.28:                               ;   in Loop: Header=BB96_4 Depth=1
	ds_load_2addr_b64 v[2:5], v175 offset1:1
	ds_load_2addr_b64 v[6:9], v175 offset0:2 offset1:3
	s_wait_dscnt 0x1
	v_add_f64_e32 v[2:3], v[2:3], v[4:5]
	s_wait_dscnt 0x0
	s_delay_alu instid0(VALU_DEP_1) | instskip(NEXT) | instid1(VALU_DEP_1)
	v_add_f64_e32 v[2:3], v[2:3], v[6:7]
	v_add_f64_e32 v[10:11], v[2:3], v[8:9]
	ds_load_2addr_b64 v[2:5], v175 offset0:4 offset1:5
	ds_load_2addr_b64 v[6:9], v175 offset0:6 offset1:7
	s_wait_dscnt 0x1
	v_add_f64_e32 v[2:3], v[10:11], v[2:3]
	s_delay_alu instid0(VALU_DEP_1) | instskip(SKIP_1) | instid1(VALU_DEP_1)
	v_add_f64_e32 v[2:3], v[2:3], v[4:5]
	s_wait_dscnt 0x0
	v_add_f64_e32 v[2:3], v[2:3], v[6:7]
	s_delay_alu instid0(VALU_DEP_1)
	v_add_f64_e32 v[88:89], v[2:3], v[8:9]
.LBB96_29:                              ;   in Loop: Header=BB96_4 Depth=1
	s_or_b32 exec_lo, exec_lo, s18
	v_lshl_add_u64 v[4:5], s[52:53], 3, v[0:1]
	s_and_b32 vcc_lo, exec_lo, s95
	s_mov_b32 s18, -1
	s_barrier_signal -1
	s_delay_alu instid0(VALU_DEP_1)
	v_add_nc_u64_e32 v[2:3], 0x100, v[4:5]
	s_barrier_wait -1
                                        ; implicit-def: $vgpr0_vgpr1
	s_cbranch_vccz .LBB96_39
; %bb.30:                               ;   in Loop: Header=BB96_4 Depth=1
	v_lshl_add_u64 v[0:1], v[64:65], 3, v[4:5]
	v_mov_b64_e32 v[8:9], 0
	v_mov_b64_e32 v[6:7], 0
	s_delay_alu instid0(VALU_DEP_3) | instskip(NEXT) | instid1(VALU_DEP_1)
	v_lshl_add_u64 v[0:1], s[26:27], 3, v[0:1]
	v_add_nc_u64_e32 v[0:1], -8, v[0:1]
	s_delay_alu instid0(VALU_DEP_1)
	v_dual_cndmask_b32 v1, v1, v3, s11 :: v_dual_cndmask_b32 v0, v0, v2, s11
	s_and_saveexec_b32 s18, s12
	s_cbranch_execz .LBB96_32
; %bb.31:                               ;   in Loop: Header=BB96_4 Depth=1
	global_load_b64 v[6:7], v[0:1], off
.LBB96_32:                              ;   in Loop: Header=BB96_4 Depth=1
	s_wait_xcnt 0x0
	s_or_b32 exec_lo, exec_lo, s18
	s_wait_loadcnt 0x0
	ds_store_b64 v202, v[6:7]
	s_and_saveexec_b32 s18, s13
	s_cbranch_execz .LBB96_34
; %bb.33:                               ;   in Loop: Header=BB96_4 Depth=1
	v_lshl_add_u64 v[6:7], s[42:43], 3, v[0:1]
	global_load_b64 v[8:9], v[6:7], off
.LBB96_34:                              ;   in Loop: Header=BB96_4 Depth=1
	s_wait_xcnt 0x0
	s_or_b32 exec_lo, exec_lo, s18
	v_mov_b64_e32 v[6:7], 0
	v_mov_b64_e32 v[10:11], 0
	s_wait_loadcnt 0x0
	ds_store_b64 v202, v[8:9] offset:2112
	s_and_saveexec_b32 s18, s14
	s_cbranch_execz .LBB96_36
; %bb.35:                               ;   in Loop: Header=BB96_4 Depth=1
	v_lshl_add_u64 v[8:9], s[48:49], 3, v[0:1]
	global_load_b64 v[10:11], v[8:9], off
.LBB96_36:                              ;   in Loop: Header=BB96_4 Depth=1
	s_wait_xcnt 0x0
	s_or_b32 exec_lo, exec_lo, s18
	s_wait_loadcnt 0x0
	ds_store_b64 v202, v[10:11] offset:4224
	s_and_saveexec_b32 s18, s15
	s_cbranch_execz .LBB96_38
; %bb.37:                               ;   in Loop: Header=BB96_4 Depth=1
	v_lshl_add_u64 v[6:7], s[50:51], 3, v[0:1]
	global_load_b64 v[6:7], v[6:7], off
.LBB96_38:                              ;   in Loop: Header=BB96_4 Depth=1
	s_wait_xcnt 0x0
	s_or_b32 exec_lo, exec_lo, s18
	v_add_nc_u64_e32 v[0:1], v[0:1], v[56:57]
	s_mov_b32 s18, 0
	s_wait_loadcnt 0x0
	ds_store_b64 v202, v[6:7] offset:6336
	v_lshl_add_u64 v[0:1], s[88:89], 3, v[0:1]
	s_delay_alu instid0(VALU_DEP_1) | instskip(NEXT) | instid1(VALU_DEP_1)
	v_add_nc_u64_e32 v[0:1], 0x108, v[0:1]
	v_dual_cndmask_b32 v1, v1, v3, s11 :: v_dual_cndmask_b32 v0, v0, v2, s11
.LBB96_39:                              ;   in Loop: Header=BB96_4 Depth=1
	s_and_b32 vcc_lo, exec_lo, s18
	s_cbranch_vccz .LBB96_41
; %bb.40:                               ;   in Loop: Header=BB96_4 Depth=1
	v_lshl_add_u64 v[0:1], s[42:43], 3, v[4:5]
	s_delay_alu instid0(VALU_DEP_1) | instskip(NEXT) | instid1(VALU_DEP_1)
	v_add_nc_u64_e32 v[6:7], s[56:57], v[0:1]
	v_add_nc_u64_e32 v[8:9], s[56:57], v[6:7]
	s_clause 0x3
	global_load_b64 v[4:5], v[4:5], off offset:256
	global_load_b64 v[10:11], v[0:1], off offset:256
	global_load_b64 v[6:7], v[6:7], off offset:256
	global_load_b64 v[8:9], v[8:9], off offset:256
	s_wait_xcnt 0x2
	v_mov_b64_e32 v[0:1], v[2:3]
	s_wait_loadcnt 0x3
	ds_store_b64 v202, v[4:5]
	s_wait_loadcnt 0x2
	ds_store_b64 v202, v[10:11] offset:2112
	s_wait_loadcnt 0x1
	ds_store_b64 v202, v[6:7] offset:4224
	;; [unrolled: 2-line block ×3, first 2 shown]
.LBB96_41:                              ;   in Loop: Header=BB96_4 Depth=1
	s_wait_dscnt 0x0
	s_barrier_signal -1
	s_barrier_wait -1
	s_wait_xcnt 0x0
	s_and_saveexec_b32 s18, s6
	s_cbranch_execnz .LBB96_126
; %bb.42:                               ;   in Loop: Header=BB96_4 Depth=1
	s_or_b32 exec_lo, exec_lo, s18
	s_and_saveexec_b32 s18, s7
	s_cbranch_execnz .LBB96_127
.LBB96_43:                              ;   in Loop: Header=BB96_4 Depth=1
	s_or_b32 exec_lo, exec_lo, s18
	s_and_saveexec_b32 s18, s8
	s_cbranch_execnz .LBB96_128
.LBB96_44:                              ;   in Loop: Header=BB96_4 Depth=1
	s_or_b32 exec_lo, exec_lo, s18
	s_and_saveexec_b32 s18, s9
	s_cbranch_execz .LBB96_46
.LBB96_45:                              ;   in Loop: Header=BB96_4 Depth=1
	ds_load_b64 v[2:3], v204 offset:528
	s_wait_dscnt 0x0
	ds_store_b64 v176, v[2:3] offset:24
.LBB96_46:                              ;   in Loop: Header=BB96_4 Depth=1
	s_or_b32 exec_lo, exec_lo, s18
	s_wait_dscnt 0x0
	s_barrier_signal -1
	s_barrier_wait -1
	ds_load_b64 v[10:11], v203
	ds_load_b128 v[2:5], v177 offset:256
	ds_load_b128 v[6:9], v177 offset:272
	ds_load_b64 v[18:19], v204 offset:528
	ds_load_2addr_b64 v[14:17], v204 offset1:33
	s_wait_dscnt 0x0
	s_barrier_signal -1
	s_barrier_wait -1
	v_fma_f64 v[2:3], v[10:11], v[2:3], 0
	s_delay_alu instid0(VALU_DEP_1) | instskip(NEXT) | instid1(VALU_DEP_1)
	v_fmac_f64_e32 v[2:3], v[14:15], v[4:5]
	v_fmac_f64_e32 v[2:3], v[16:17], v[6:7]
	s_delay_alu instid0(VALU_DEP_1)
	v_fmac_f64_e32 v[2:3], v[18:19], v[8:9]
	ds_store_b64 v178, v[2:3]
	s_wait_dscnt 0x0
	s_barrier_signal -1
	s_barrier_wait -1
	s_and_saveexec_b32 s18, s16
	s_cbranch_execz .LBB96_48
; %bb.47:                               ;   in Loop: Header=BB96_4 Depth=1
	ds_load_2addr_b64 v[2:5], v175 offset1:1
	ds_load_2addr_b64 v[6:9], v175 offset0:2 offset1:3
	s_wait_dscnt 0x1
	v_add_f64_e32 v[2:3], v[2:3], v[4:5]
	s_wait_dscnt 0x0
	s_delay_alu instid0(VALU_DEP_1) | instskip(NEXT) | instid1(VALU_DEP_1)
	v_add_f64_e32 v[2:3], v[2:3], v[6:7]
	v_add_f64_e32 v[10:11], v[2:3], v[8:9]
	ds_load_2addr_b64 v[2:5], v175 offset0:4 offset1:5
	ds_load_2addr_b64 v[6:9], v175 offset0:6 offset1:7
	s_wait_dscnt 0x1
	v_add_f64_e32 v[2:3], v[10:11], v[2:3]
	s_delay_alu instid0(VALU_DEP_1) | instskip(SKIP_1) | instid1(VALU_DEP_1)
	v_add_f64_e32 v[2:3], v[2:3], v[4:5]
	s_wait_dscnt 0x0
	v_add_f64_e32 v[2:3], v[2:3], v[6:7]
	s_delay_alu instid0(VALU_DEP_1)
	v_add_f64_e32 v[88:89], v[2:3], v[8:9]
.LBB96_48:                              ;   in Loop: Header=BB96_4 Depth=1
	s_or_b32 exec_lo, exec_lo, s18
	s_mov_b64 s[18:19], 0xffffffffffffff00
	s_and_b32 vcc_lo, exec_lo, s95
	v_add_nc_u64_e32 v[2:3], s[18:19], v[0:1]
	s_mov_b32 s18, -1
	s_barrier_signal -1
	s_barrier_wait -1
                                        ; implicit-def: $vgpr14_vgpr15
	s_cbranch_vccz .LBB96_58
; %bb.49:                               ;   in Loop: Header=BB96_4 Depth=1
	v_lshl_add_u64 v[4:5], v[64:65], 3, v[0:1]
	v_mov_b64_e32 v[8:9], 0
	v_mov_b64_e32 v[6:7], 0
	s_delay_alu instid0(VALU_DEP_3) | instskip(NEXT) | instid1(VALU_DEP_1)
	v_lshl_add_u64 v[4:5], s[26:27], 3, v[4:5]
	v_add_nc_u64_e32 v[4:5], s[82:83], v[4:5]
	s_delay_alu instid0(VALU_DEP_1)
	v_dual_cndmask_b32 v5, v5, v3, s1 :: v_dual_cndmask_b32 v4, v4, v2, s1
	s_and_saveexec_b32 s18, s12
	s_cbranch_execz .LBB96_51
; %bb.50:                               ;   in Loop: Header=BB96_4 Depth=1
	global_load_b64 v[6:7], v[4:5], off
.LBB96_51:                              ;   in Loop: Header=BB96_4 Depth=1
	s_wait_xcnt 0x0
	s_or_b32 exec_lo, exec_lo, s18
	s_wait_loadcnt 0x0
	ds_store_b64 v202, v[6:7]
	s_and_saveexec_b32 s18, s13
	s_cbranch_execz .LBB96_53
; %bb.52:                               ;   in Loop: Header=BB96_4 Depth=1
	v_lshl_add_u64 v[6:7], s[42:43], 3, v[4:5]
	global_load_b64 v[8:9], v[6:7], off
.LBB96_53:                              ;   in Loop: Header=BB96_4 Depth=1
	s_wait_xcnt 0x0
	s_or_b32 exec_lo, exec_lo, s18
	v_mov_b64_e32 v[6:7], 0
	v_mov_b64_e32 v[10:11], 0
	s_wait_loadcnt 0x0
	ds_store_b64 v202, v[8:9] offset:2112
	s_and_saveexec_b32 s18, s14
	s_cbranch_execz .LBB96_55
; %bb.54:                               ;   in Loop: Header=BB96_4 Depth=1
	v_lshl_add_u64 v[8:9], s[48:49], 3, v[4:5]
	global_load_b64 v[10:11], v[8:9], off
.LBB96_55:                              ;   in Loop: Header=BB96_4 Depth=1
	s_wait_xcnt 0x0
	s_or_b32 exec_lo, exec_lo, s18
	s_wait_loadcnt 0x0
	ds_store_b64 v202, v[10:11] offset:4224
	s_and_saveexec_b32 s18, s15
	s_cbranch_execz .LBB96_57
; %bb.56:                               ;   in Loop: Header=BB96_4 Depth=1
	v_lshl_add_u64 v[6:7], s[50:51], 3, v[4:5]
	global_load_b64 v[6:7], v[6:7], off
.LBB96_57:                              ;   in Loop: Header=BB96_4 Depth=1
	s_wait_xcnt 0x0
	s_or_b32 exec_lo, exec_lo, s18
	v_add_nc_u64_e32 v[4:5], v[4:5], v[56:57]
	s_mov_b32 s18, 0
	s_wait_loadcnt 0x0
	ds_store_b64 v202, v[6:7] offset:6336
	v_lshl_add_u64 v[4:5], s[88:89], 3, v[4:5]
	s_delay_alu instid0(VALU_DEP_1) | instskip(NEXT) | instid1(VALU_DEP_1)
	v_add_nc_u64_e32 v[4:5], 8, v[4:5]
	v_dual_cndmask_b32 v15, v5, v3, s1 :: v_dual_cndmask_b32 v14, v4, v2, s1
.LBB96_58:                              ;   in Loop: Header=BB96_4 Depth=1
	s_and_b32 vcc_lo, exec_lo, s18
	s_cbranch_vccz .LBB96_60
; %bb.59:                               ;   in Loop: Header=BB96_4 Depth=1
	v_lshl_add_u64 v[4:5], s[42:43], 3, v[0:1]
	v_mov_b64_e32 v[14:15], v[2:3]
	s_delay_alu instid0(VALU_DEP_2) | instskip(NEXT) | instid1(VALU_DEP_1)
	v_add_nc_u64_e32 v[6:7], s[56:57], v[4:5]
	v_add_nc_u64_e32 v[8:9], s[56:57], v[6:7]
	s_clause 0x3
	global_load_b64 v[0:1], v[0:1], off offset:-256
	global_load_b64 v[4:5], v[4:5], off offset:-256
	;; [unrolled: 1-line block ×4, first 2 shown]
	s_wait_loadcnt 0x3
	ds_store_b64 v202, v[0:1]
	s_wait_loadcnt 0x2
	ds_store_b64 v202, v[4:5] offset:2112
	s_wait_loadcnt 0x1
	ds_store_b64 v202, v[6:7] offset:4224
	;; [unrolled: 2-line block ×3, first 2 shown]
.LBB96_60:                              ;   in Loop: Header=BB96_4 Depth=1
	s_wait_xcnt 0x3
	v_dual_add_nc_u32 v0, v176, v180 :: v_dual_add_nc_u32 v2, v177, v180
	s_wait_dscnt 0x0
	s_barrier_signal -1
	s_barrier_wait -1
	ds_load_b64 v[0:1], v0
	ds_load_b64 v[2:3], v2
	s_wait_xcnt 0x0
	ds_load_b64 v[8:9], v201 offset:192
	s_wait_dscnt 0x1
	v_fma_f64 v[20:21], v[0:1], v[2:3], 0
	ds_load_2addr_b64 v[0:3], v200 offset0:8 offset1:16
	ds_load_2addr_b64 v[4:7], v201 offset0:8 offset1:16
	s_wait_dscnt 0x0
	v_fmac_f64_e32 v[20:21], v[0:1], v[4:5]
	ds_load_b64 v[0:1], v200 offset:192
	v_fmac_f64_e32 v[20:21], v[2:3], v[6:7]
	s_wait_dscnt 0x0
	s_delay_alu instid0(VALU_DEP_1)
	v_fmac_f64_e32 v[20:21], v[0:1], v[8:9]
	ds_load_b128 v[8:11], v177 offset:256
	ds_load_b128 v[0:3], v177 offset:272
	ds_load_2addr_b64 v[4:7], v204 offset1:33
	ds_load_b64 v[18:19], v203
	ds_load_b64 v[16:17], v204 offset:528
	s_wait_dscnt 0x0
	s_barrier_signal -1
	s_barrier_wait -1
	ds_store_b64 v178, v[20:21]
	s_wait_dscnt 0x0
	s_barrier_signal -1
	s_barrier_wait -1
	s_and_saveexec_b32 s18, s16
	s_cbranch_execz .LBB96_62
; %bb.61:                               ;   in Loop: Header=BB96_4 Depth=1
	ds_load_2addr_b64 v[20:23], v175 offset1:1
	ds_load_2addr_b64 v[24:27], v175 offset0:2 offset1:3
	s_wait_dscnt 0x1
	v_add_f64_e32 v[20:21], v[88:89], v[20:21]
	s_delay_alu instid0(VALU_DEP_1) | instskip(SKIP_1) | instid1(VALU_DEP_1)
	v_add_f64_e32 v[20:21], v[20:21], v[22:23]
	s_wait_dscnt 0x0
	v_add_f64_e32 v[20:21], v[20:21], v[24:25]
	s_delay_alu instid0(VALU_DEP_1) | instskip(SKIP_4) | instid1(VALU_DEP_1)
	v_add_f64_e32 v[28:29], v[20:21], v[26:27]
	ds_load_2addr_b64 v[20:23], v175 offset0:4 offset1:5
	ds_load_2addr_b64 v[24:27], v175 offset0:6 offset1:7
	s_wait_dscnt 0x1
	v_add_f64_e32 v[20:21], v[28:29], v[20:21]
	v_add_f64_e32 v[20:21], v[20:21], v[22:23]
	s_wait_dscnt 0x0
	s_delay_alu instid0(VALU_DEP_1) | instskip(NEXT) | instid1(VALU_DEP_1)
	v_add_f64_e32 v[20:21], v[20:21], v[24:25]
	v_add_f64_e32 v[88:89], v[20:21], v[26:27]
.LBB96_62:                              ;   in Loop: Header=BB96_4 Depth=1
	s_or_b32 exec_lo, exec_lo, s18
	v_fma_f64 v[8:9], v[18:19], v[8:9], 0
	s_barrier_signal -1
	s_barrier_wait -1
	s_delay_alu instid0(VALU_DEP_1) | instskip(NEXT) | instid1(VALU_DEP_1)
	v_fmac_f64_e32 v[8:9], v[4:5], v[10:11]
	v_fmac_f64_e32 v[8:9], v[6:7], v[0:1]
	s_delay_alu instid0(VALU_DEP_1)
	v_fmac_f64_e32 v[8:9], v[16:17], v[2:3]
	ds_store_b64 v178, v[8:9]
	s_wait_dscnt 0x0
	s_barrier_signal -1
	s_barrier_wait -1
	s_and_saveexec_b32 s18, s10
	s_cbranch_execz .LBB96_64
; %bb.63:                               ;   in Loop: Header=BB96_4 Depth=1
	ds_load_2addr_b64 v[0:3], v175 offset1:1
	ds_load_2addr_b64 v[4:7], v175 offset0:2 offset1:3
	s_wait_dscnt 0x1
	v_add_f64_e32 v[0:1], v[88:89], v[0:1]
	s_delay_alu instid0(VALU_DEP_1) | instskip(SKIP_1) | instid1(VALU_DEP_1)
	v_add_f64_e32 v[0:1], v[0:1], v[2:3]
	s_wait_dscnt 0x0
	v_add_f64_e32 v[0:1], v[0:1], v[4:5]
	s_delay_alu instid0(VALU_DEP_1) | instskip(SKIP_4) | instid1(VALU_DEP_1)
	v_add_f64_e32 v[8:9], v[0:1], v[6:7]
	ds_load_2addr_b64 v[0:3], v175 offset0:4 offset1:5
	ds_load_2addr_b64 v[4:7], v175 offset0:6 offset1:7
	s_wait_dscnt 0x1
	v_add_f64_e32 v[0:1], v[8:9], v[0:1]
	v_add_f64_e32 v[0:1], v[0:1], v[2:3]
	s_wait_dscnt 0x0
	s_delay_alu instid0(VALU_DEP_1) | instskip(NEXT) | instid1(VALU_DEP_1)
	v_add_f64_e32 v[0:1], v[0:1], v[4:5]
	v_add_f64_e32 v[88:89], v[0:1], v[6:7]
.LBB96_64:                              ;   in Loop: Header=BB96_4 Depth=1
	s_or_b32 exec_lo, exec_lo, s18
	s_mul_u64 s[18:19], s[24:25], s[34:35]
	s_and_not1_b32 vcc_lo, exec_lo, s45
	s_lshl_b64 s[18:19], s[18:19], 3
	s_delay_alu instid0(SALU_CYCLE_1)
	s_add_nc_u64 s[18:19], s[30:31], s[18:19]
	s_barrier_signal -1
	s_barrier_wait -1
	s_cbranch_vccnz .LBB96_121
; %bb.65:                               ;   in Loop: Header=BB96_4 Depth=1
	v_add_nc_u64_e32 v[92:93], s[58:59], v[14:15]
	v_add_nc_u64_e32 v[94:95], v[14:15], v[70:71]
	v_add_nc_u64_e32 v[96:97], s[60:61], v[14:15]
	v_add_nc_u64_e32 v[98:99], s[62:63], v[14:15]
	v_add_nc_u64_e32 v[100:101], s[64:65], v[14:15]
	v_add_nc_u64_e32 v[102:103], s[66:67], v[14:15]
	v_add_nc_u64_e32 v[104:105], s[68:69], v[14:15]
	v_add_nc_u64_e32 v[106:107], s[70:71], v[14:15]
	v_add_nc_u64_e32 v[108:109], s[72:73], v[14:15]
	v_add_nc_u64_e32 v[110:111], s[74:75], v[14:15]
	v_add_nc_u64_e32 v[112:113], v[14:15], v[72:73]
	v_add_nc_u64_e32 v[114:115], s[76:77], v[14:15]
	v_add_nc_u64_e32 v[116:117], s[78:79], v[14:15]
	v_add_nc_u64_e32 v[118:119], s[84:85], v[14:15]
	v_add_nc_u64_e32 v[120:121], s[86:87], v[14:15]
	v_add_nc_u64_e32 v[122:123], s[80:81], v[14:15]
	v_add_nc_u64_e32 v[124:125], v[14:15], v[74:75]
	v_add_nc_u64_e32 v[126:127], v[14:15], v[80:81]
	v_add_nc_u64_e32 v[128:129], v[14:15], v[82:83]
	v_add_nc_u64_e32 v[130:131], v[14:15], v[84:85]
	v_add_nc_u64_e32 v[132:133], v[14:15], v[86:87]
	v_add_nc_u64_e32 v[134:135], v[14:15], v[78:79]
	v_add_nc_u64_e32 v[136:137], v[14:15], v[76:77]
	v_lshl_add_u64 v[90:91], s[54:55], 3, v[12:13]
	v_lshl_add_u64 v[138:139], s[52:53], 3, v[14:15]
	v_mov_b32_e32 v210, v209
	s_mov_b32 s92, s99
	s_mov_b32 s100, s46
	s_delay_alu instid0(SALU_CYCLE_1)
	s_cmp_eq_u32 s47, s100
	s_cselect_b32 s101, s94, 0
	s_and_saveexec_b32 s102, s0
	s_cbranch_execz .LBB96_69
.LBB96_66:                              ;   in Loop: Header=BB96_4 Depth=1
	v_cmp_gt_i32_e32 vcc_lo, s101, v172
	v_mov_b64_e32 v[0:1], 0
	s_cmp_eq_u32 s101, 0
	s_cselect_b32 s93, -1, 0
	s_delay_alu instid0(SALU_CYCLE_1) | instskip(NEXT) | instid1(SALU_CYCLE_1)
	s_or_b32 s93, s93, vcc_lo
	s_and_saveexec_b32 s103, s93
	s_cbranch_execz .LBB96_68
; %bb.67:                               ;   in Loop: Header=BB96_4 Depth=1
	s_ashr_i32 s93, s92, 31
	s_delay_alu instid0(SALU_CYCLE_1)
	v_lshl_add_u64 v[0:1], s[92:93], 3, v[90:91]
	global_load_b64 v[0:1], v[0:1], off
.LBB96_68:                              ;   in Loop: Header=BB96_4 Depth=1
	s_wait_xcnt 0x0
	s_or_b32 exec_lo, exec_lo, s103
	s_wait_loadcnt 0x0
	ds_store_b64 v181, v[0:1]
.LBB96_69:                              ;   Parent Loop BB96_4 Depth=1
                                        ; =>  This Inner Loop Header: Depth=2
	s_or_b32 exec_lo, exec_lo, s102
	s_cmp_eq_u32 s101, 0
	v_add_nc_u64_e32 v[0:1], v[138:139], v[68:69]
	s_cselect_b32 s93, -1, 0
	s_cmp_lg_u32 s101, 0
	s_mov_b32 s103, -1
	s_cselect_b32 s102, -1, 0
	s_wait_dscnt 0x0
	s_and_b32 vcc_lo, exec_lo, s102
	s_barrier_signal -1
	s_barrier_wait -1
                                        ; implicit-def: $vgpr144_vgpr145
                                        ; implicit-def: $vgpr146_vgpr147
                                        ; implicit-def: $vgpr140_vgpr141
                                        ; implicit-def: $vgpr142_vgpr143
	s_cbranch_vccz .LBB96_79
; %bb.70:                               ;   in Loop: Header=BB96_69 Depth=2
	v_mov_b64_e32 v[140:141], 0
	v_mov_b64_e32 v[142:143], 0
	s_mov_b32 s103, exec_lo
	v_cmpx_gt_i32_e64 s101, v179
	s_cbranch_execz .LBB96_72
; %bb.71:                               ;   in Loop: Header=BB96_69 Depth=2
	global_load_b64 v[142:143], v[0:1], off
.LBB96_72:                              ;   in Loop: Header=BB96_69 Depth=2
	s_wait_xcnt 0x0
	s_or_b32 exec_lo, exec_lo, s103
	s_delay_alu instid0(SALU_CYCLE_1)
	s_mov_b32 s103, exec_lo
	v_cmpx_gt_i32_e64 s101, v187
	s_cbranch_execz .LBB96_74
; %bb.73:                               ;   in Loop: Header=BB96_69 Depth=2
	v_add_nc_u64_e32 v[2:3], v[96:97], v[68:69]
	global_load_b64 v[140:141], v[2:3], off
.LBB96_74:                              ;   in Loop: Header=BB96_69 Depth=2
	s_wait_xcnt 0x0
	s_or_b32 exec_lo, exec_lo, s103
	v_mov_b64_e32 v[144:145], 0
	v_mov_b64_e32 v[146:147], 0
	s_mov_b32 s103, exec_lo
	v_cmpx_gt_i32_e64 s101, v188
	s_cbranch_execz .LBB96_76
; %bb.75:                               ;   in Loop: Header=BB96_69 Depth=2
	v_add_nc_u64_e32 v[2:3], v[98:99], v[68:69]
	global_load_b64 v[146:147], v[2:3], off
.LBB96_76:                              ;   in Loop: Header=BB96_69 Depth=2
	s_wait_xcnt 0x0
	s_or_b32 exec_lo, exec_lo, s103
	s_delay_alu instid0(SALU_CYCLE_1)
	s_mov_b32 s103, exec_lo
	v_cmpx_gt_i32_e64 s101, v189
	s_cbranch_execz .LBB96_78
; %bb.77:                               ;   in Loop: Header=BB96_69 Depth=2
	v_add_nc_u64_e32 v[2:3], v[100:101], v[68:69]
	global_load_b64 v[144:145], v[2:3], off
.LBB96_78:                              ;   in Loop: Header=BB96_69 Depth=2
	s_wait_xcnt 0x0
	s_or_b32 exec_lo, exec_lo, s103
	s_mov_b32 s103, 0
.LBB96_79:                              ;   in Loop: Header=BB96_69 Depth=2
	s_delay_alu instid0(SALU_CYCLE_1)
	s_and_b32 vcc_lo, exec_lo, s103
	s_cbranch_vccz .LBB96_81
; %bb.80:                               ;   in Loop: Header=BB96_69 Depth=2
	v_add_nc_u64_e32 v[2:3], v[96:97], v[68:69]
	v_add_nc_u64_e32 v[4:5], v[92:93], v[68:69]
	;; [unrolled: 1-line block ×3, first 2 shown]
	s_wait_loadcnt 0x0
	global_load_b64 v[142:143], v[0:1], off
	global_load_b64 v[140:141], v[2:3], off
	;; [unrolled: 1-line block ×4, first 2 shown]
.LBB96_81:                              ;   in Loop: Header=BB96_69 Depth=2
	s_wait_xcnt 0x1
	ds_load_b64 v[4:5], v174
	ds_load_b128 v[0:3], v182
	v_cndmask_b32_e64 v44, 0, 1, s102
	s_and_not1_b32 vcc_lo, exec_lo, s102
	s_mov_b32 s102, -1
                                        ; implicit-def: $vgpr152_vgpr153
                                        ; implicit-def: $vgpr154_vgpr155
                                        ; implicit-def: $vgpr148_vgpr149
                                        ; implicit-def: $vgpr150_vgpr151
	s_wait_loadcnt_dscnt 0x1
	v_mul_f64_e32 v[8:9], v[142:143], v[4:5]
	v_mul_f64_e32 v[10:11], v[140:141], v[4:5]
	;; [unrolled: 1-line block ×4, first 2 shown]
	s_wait_xcnt 0x0
	ds_load_b128 v[4:7], v182 offset:16
	ds_store_2addr_b64 v183, v[8:9], v[10:11] offset1:67
	ds_store_2addr_b64 v183, v[12:13], v[14:15] offset0:134 offset1:201
	s_wait_dscnt 0x0
	s_barrier_signal -1
	s_barrier_wait -1
	ds_load_2addr_b64 v[16:19], v184 offset1:1
	ds_load_2addr_b64 v[8:11], v184 offset0:2 offset1:3
	v_add_nc_u64_e32 v[12:13], v[102:103], v[68:69]
	s_wait_dscnt 0x0
	s_barrier_signal -1
	s_barrier_wait -1
	s_cbranch_vccnz .LBB96_91
; %bb.82:                               ;   in Loop: Header=BB96_69 Depth=2
	v_mov_b64_e32 v[148:149], 0
	v_mov_b64_e32 v[150:151], 0
	s_mov_b32 s102, exec_lo
	v_cmpx_gt_i32_e64 s101, v190
	s_cbranch_execz .LBB96_84
; %bb.83:                               ;   in Loop: Header=BB96_69 Depth=2
	global_load_b64 v[150:151], v[12:13], off
.LBB96_84:                              ;   in Loop: Header=BB96_69 Depth=2
	s_wait_xcnt 0x0
	s_or_b32 exec_lo, exec_lo, s102
	s_delay_alu instid0(SALU_CYCLE_1)
	s_mov_b32 s102, exec_lo
	v_cmpx_gt_i32_e64 s101, v191
	s_cbranch_execz .LBB96_86
; %bb.85:                               ;   in Loop: Header=BB96_69 Depth=2
	v_add_nc_u64_e32 v[14:15], v[104:105], v[68:69]
	global_load_b64 v[148:149], v[14:15], off
.LBB96_86:                              ;   in Loop: Header=BB96_69 Depth=2
	s_wait_xcnt 0x0
	s_or_b32 exec_lo, exec_lo, s102
	v_mov_b64_e32 v[152:153], 0
	v_mov_b64_e32 v[154:155], 0
	s_mov_b32 s102, exec_lo
	v_cmpx_gt_i32_e64 s101, v192
	s_cbranch_execz .LBB96_88
; %bb.87:                               ;   in Loop: Header=BB96_69 Depth=2
	v_add_nc_u64_e32 v[14:15], v[106:107], v[68:69]
	global_load_b64 v[154:155], v[14:15], off
.LBB96_88:                              ;   in Loop: Header=BB96_69 Depth=2
	s_wait_xcnt 0x0
	s_or_b32 exec_lo, exec_lo, s102
	s_delay_alu instid0(SALU_CYCLE_1)
	s_mov_b32 s102, exec_lo
	v_cmpx_gt_i32_e64 s101, v193
	s_cbranch_execz .LBB96_90
; %bb.89:                               ;   in Loop: Header=BB96_69 Depth=2
	v_add_nc_u64_e32 v[14:15], v[108:109], v[68:69]
	global_load_b64 v[152:153], v[14:15], off
.LBB96_90:                              ;   in Loop: Header=BB96_69 Depth=2
	s_wait_xcnt 0x0
	s_or_b32 exec_lo, exec_lo, s102
	s_mov_b32 s102, 0
.LBB96_91:                              ;   in Loop: Header=BB96_69 Depth=2
	s_delay_alu instid0(SALU_CYCLE_1)
	s_and_b32 vcc_lo, exec_lo, s102
	s_cbranch_vccz .LBB96_93
; %bb.92:                               ;   in Loop: Header=BB96_69 Depth=2
	v_add_nc_u64_e32 v[14:15], v[104:105], v[68:69]
	v_add_nc_u64_e32 v[20:21], v[110:111], v[68:69]
	;; [unrolled: 1-line block ×3, first 2 shown]
	s_wait_loadcnt 0x0
	global_load_b64 v[150:151], v[12:13], off
	global_load_b64 v[148:149], v[14:15], off
	;; [unrolled: 1-line block ×4, first 2 shown]
.LBB96_93:                              ;   in Loop: Header=BB96_69 Depth=2
	s_wait_xcnt 0x1
	ds_load_b64 v[20:21], v174
	ds_load_b128 v[12:15], v182 offset:128
	v_cmp_ne_u32_e32 vcc_lo, 1, v44
	s_mov_b32 s102, -1
                                        ; implicit-def: $vgpr160_vgpr161
                                        ; implicit-def: $vgpr162_vgpr163
                                        ; implicit-def: $vgpr156_vgpr157
                                        ; implicit-def: $vgpr158_vgpr159
	s_and_b32 vcc_lo, exec_lo, vcc_lo
	s_wait_loadcnt_dscnt 0x1
	v_mul_f64_e32 v[24:25], v[150:151], v[20:21]
	v_mul_f64_e32 v[26:27], v[148:149], v[20:21]
	v_mul_f64_e32 v[28:29], v[154:155], v[20:21]
	v_mul_f64_e32 v[30:31], v[152:153], v[20:21]
	s_wait_xcnt 0x0
	ds_load_b128 v[20:23], v182 offset:144
	ds_store_2addr_b64 v183, v[24:25], v[26:27] offset1:67
	ds_store_2addr_b64 v183, v[28:29], v[30:31] offset0:134 offset1:201
	s_wait_dscnt 0x0
	s_barrier_signal -1
	s_barrier_wait -1
	ds_load_2addr_b64 v[36:39], v184 offset1:1
	ds_load_2addr_b64 v[32:35], v184 offset0:2 offset1:3
	v_add_nc_u64_e32 v[24:25], v[114:115], v[68:69]
	s_wait_dscnt 0x0
	s_barrier_signal -1
	s_barrier_wait -1
	s_cbranch_vccnz .LBB96_103
; %bb.94:                               ;   in Loop: Header=BB96_69 Depth=2
	v_mov_b64_e32 v[156:157], 0
	v_mov_b64_e32 v[158:159], 0
	s_mov_b32 s102, exec_lo
	v_cmpx_gt_i32_e64 s101, v194
	s_cbranch_execz .LBB96_96
; %bb.95:                               ;   in Loop: Header=BB96_69 Depth=2
	global_load_b64 v[158:159], v[24:25], off
.LBB96_96:                              ;   in Loop: Header=BB96_69 Depth=2
	s_wait_xcnt 0x0
	s_or_b32 exec_lo, exec_lo, s102
	s_delay_alu instid0(SALU_CYCLE_1)
	s_mov_b32 s102, exec_lo
	v_cmpx_gt_i32_e64 s101, v195
	s_cbranch_execz .LBB96_98
; %bb.97:                               ;   in Loop: Header=BB96_69 Depth=2
	v_add_nc_u64_e32 v[26:27], v[116:117], v[68:69]
	global_load_b64 v[156:157], v[26:27], off
.LBB96_98:                              ;   in Loop: Header=BB96_69 Depth=2
	s_wait_xcnt 0x0
	s_or_b32 exec_lo, exec_lo, s102
	v_mov_b64_e32 v[160:161], 0
	v_mov_b64_e32 v[162:163], 0
	s_mov_b32 s102, exec_lo
	v_cmpx_gt_i32_e64 s101, v196
	s_cbranch_execz .LBB96_100
; %bb.99:                               ;   in Loop: Header=BB96_69 Depth=2
	v_add_nc_u64_e32 v[26:27], v[118:119], v[68:69]
	global_load_b64 v[162:163], v[26:27], off
.LBB96_100:                             ;   in Loop: Header=BB96_69 Depth=2
	s_wait_xcnt 0x0
	s_or_b32 exec_lo, exec_lo, s102
	s_delay_alu instid0(SALU_CYCLE_1)
	s_mov_b32 s102, exec_lo
	v_cmpx_gt_i32_e64 s101, v197
	s_cbranch_execz .LBB96_102
; %bb.101:                              ;   in Loop: Header=BB96_69 Depth=2
	v_add_nc_u64_e32 v[26:27], v[120:121], v[68:69]
	global_load_b64 v[160:161], v[26:27], off
.LBB96_102:                             ;   in Loop: Header=BB96_69 Depth=2
	s_wait_xcnt 0x0
	s_or_b32 exec_lo, exec_lo, s102
	s_mov_b32 s102, 0
.LBB96_103:                             ;   in Loop: Header=BB96_69 Depth=2
	s_delay_alu instid0(SALU_CYCLE_1)
	s_and_b32 vcc_lo, exec_lo, s102
	s_cbranch_vccz .LBB96_105
; %bb.104:                              ;   in Loop: Header=BB96_69 Depth=2
	v_add_nc_u64_e32 v[26:27], v[116:117], v[68:69]
	v_add_nc_u64_e32 v[28:29], v[122:123], v[68:69]
	;; [unrolled: 1-line block ×3, first 2 shown]
	s_wait_loadcnt 0x0
	global_load_b64 v[158:159], v[24:25], off
	global_load_b64 v[156:157], v[26:27], off
	;; [unrolled: 1-line block ×4, first 2 shown]
.LBB96_105:                             ;   in Loop: Header=BB96_69 Depth=2
	s_wait_xcnt 0x3
	ds_load_b64 v[24:25], v174
	v_cmp_ne_u32_e32 vcc_lo, 1, v44
	v_add_nc_u64_e32 v[44:45], v[126:127], v[66:67]
	s_mov_b32 s102, -1
                                        ; implicit-def: $vgpr168_vgpr169
                                        ; implicit-def: $vgpr170_vgpr171
                                        ; implicit-def: $vgpr164_vgpr165
                                        ; implicit-def: $vgpr166_vgpr167
	s_and_b32 vcc_lo, exec_lo, vcc_lo
	s_wait_loadcnt_dscnt 0x0
	v_mul_f64_e32 v[40:41], v[158:159], v[24:25]
	v_mul_f64_e32 v[42:43], v[156:157], v[24:25]
	;; [unrolled: 1-line block ×4, first 2 shown]
	s_wait_xcnt 0x0
	ds_load_b128 v[28:31], v182 offset:256
	ds_load_b128 v[24:27], v182 offset:272
	ds_store_2addr_b64 v183, v[40:41], v[42:43] offset1:67
	ds_store_2addr_b64 v183, v[46:47], v[48:49] offset0:134 offset1:201
	s_wait_dscnt 0x0
	s_barrier_signal -1
	s_barrier_wait -1
	ds_load_2addr_b64 v[52:55], v184 offset1:1
	ds_load_2addr_b64 v[40:43], v184 offset0:2 offset1:3
	s_wait_dscnt 0x0
	s_barrier_signal -1
	s_barrier_wait -1
	s_cbranch_vccnz .LBB96_115
; %bb.106:                              ;   in Loop: Header=BB96_69 Depth=2
	v_mov_b64_e32 v[164:165], 0
	v_mov_b64_e32 v[166:167], 0
	s_mov_b32 s102, exec_lo
	v_cmpx_gt_i32_e64 s101, v198
	s_cbranch_execz .LBB96_108
; %bb.107:                              ;   in Loop: Header=BB96_69 Depth=2
	global_load_b64 v[166:167], v[44:45], off
.LBB96_108:                             ;   in Loop: Header=BB96_69 Depth=2
	s_wait_xcnt 0x0
	s_or_b32 exec_lo, exec_lo, s102
	s_delay_alu instid0(SALU_CYCLE_1)
	s_mov_b32 s102, exec_lo
	v_cmpx_gt_i32_e64 s101, v206
	s_cbranch_execz .LBB96_110
; %bb.109:                              ;   in Loop: Header=BB96_69 Depth=2
	v_add_nc_u64_e32 v[46:47], v[128:129], v[66:67]
	global_load_b64 v[164:165], v[46:47], off
.LBB96_110:                             ;   in Loop: Header=BB96_69 Depth=2
	s_wait_xcnt 0x0
	s_or_b32 exec_lo, exec_lo, s102
	v_mov_b64_e32 v[168:169], 0
	v_mov_b64_e32 v[170:171], 0
	s_mov_b32 s102, exec_lo
	v_cmpx_gt_i32_e64 s101, v207
	s_cbranch_execz .LBB96_112
; %bb.111:                              ;   in Loop: Header=BB96_69 Depth=2
	v_add_nc_u64_e32 v[46:47], v[130:131], v[66:67]
	global_load_b64 v[170:171], v[46:47], off
.LBB96_112:                             ;   in Loop: Header=BB96_69 Depth=2
	s_wait_xcnt 0x0
	s_or_b32 exec_lo, exec_lo, s102
	s_delay_alu instid0(SALU_CYCLE_1)
	s_mov_b32 s102, exec_lo
	v_cmpx_gt_i32_e64 s101, v208
	s_cbranch_execz .LBB96_114
; %bb.113:                              ;   in Loop: Header=BB96_69 Depth=2
	v_add_nc_u64_e32 v[46:47], v[132:133], v[66:67]
	global_load_b64 v[168:169], v[46:47], off
.LBB96_114:                             ;   in Loop: Header=BB96_69 Depth=2
	s_wait_xcnt 0x0
	s_or_b32 exec_lo, exec_lo, s102
	s_mov_b32 s102, 0
.LBB96_115:                             ;   in Loop: Header=BB96_69 Depth=2
	s_delay_alu instid0(SALU_CYCLE_1)
	s_and_b32 vcc_lo, exec_lo, s102
	s_cbranch_vccz .LBB96_117
; %bb.116:                              ;   in Loop: Header=BB96_69 Depth=2
	v_add_nc_u64_e32 v[46:47], v[128:129], v[66:67]
	v_add_nc_u64_e32 v[48:49], v[134:135], v[66:67]
	;; [unrolled: 1-line block ×3, first 2 shown]
	s_wait_loadcnt 0x0
	global_load_b64 v[166:167], v[44:45], off
	global_load_b64 v[164:165], v[46:47], off
	;; [unrolled: 1-line block ×4, first 2 shown]
.LBB96_117:                             ;   in Loop: Header=BB96_69 Depth=2
	s_wait_xcnt 0x1
	ds_load_b64 v[48:49], v174
	ds_load_b128 v[44:47], v182 offset:384
	v_add_f64_e32 v[36:37], 0, v[36:37]
	v_add_f64_e32 v[16:17], 0, v[16:17]
	;; [unrolled: 1-line block ×3, first 2 shown]
	v_cmp_gt_i32_e32 vcc_lo, s101, v172
	s_or_b32 s93, s93, vcc_lo
	s_delay_alu instid0(SALU_CYCLE_1)
	s_and_b32 s101, s17, s93
	s_wait_loadcnt_dscnt 0x1
	v_mul_f64_e32 v[212:213], v[166:167], v[48:49]
	v_mul_f64_e32 v[214:215], v[164:165], v[48:49]
	;; [unrolled: 1-line block ×4, first 2 shown]
	s_wait_xcnt 0x0
	ds_load_b128 v[48:51], v182 offset:400
	ds_store_2addr_b64 v183, v[212:213], v[214:215] offset1:67
	ds_store_2addr_b64 v183, v[216:217], v[218:219] offset0:134 offset1:201
	s_wait_dscnt 0x0
	s_barrier_signal -1
	s_barrier_wait -1
	ds_load_2addr_b64 v[212:215], v184 offset1:1
	ds_load_2addr_b64 v[216:219], v184 offset0:2 offset1:3
	v_add_f64_e32 v[36:37], v[36:37], v[38:39]
	v_add_f64_e32 v[16:17], v[16:17], v[18:19]
	;; [unrolled: 1-line block ×3, first 2 shown]
	s_wait_dscnt 0x0
	s_barrier_signal -1
	s_barrier_wait -1
	v_add_f64_e32 v[212:213], 0, v[212:213]
	s_delay_alu instid0(VALU_DEP_4) | instskip(NEXT) | instid1(VALU_DEP_4)
	v_add_f64_e32 v[32:33], v[36:37], v[32:33]
	v_add_f64_e32 v[8:9], v[16:17], v[8:9]
	s_delay_alu instid0(VALU_DEP_4) | instskip(NEXT) | instid1(VALU_DEP_4)
	v_add_f64_e32 v[38:39], v[52:53], v[40:41]
	;; [unrolled: 3-line block ×3, first 2 shown]
	v_add_f64_e32 v[8:9], v[8:9], v[10:11]
	s_delay_alu instid0(VALU_DEP_3) | instskip(SKIP_1) | instid1(VALU_DEP_2)
	v_add_f64_e32 v[16:17], v[18:19], v[216:217]
	v_add_f64_e32 v[18:19], v[38:39], v[42:43]
	;; [unrolled: 1-line block ×3, first 2 shown]
	ds_store_2addr_b64 v205, v[8:9], v[32:33] offset1:16
	ds_store_2addr_b64 v205, v[18:19], v[10:11] offset0:32 offset1:48
	s_wait_dscnt 0x0
	s_barrier_signal -1
	s_barrier_wait -1
	s_and_saveexec_b32 s93, s101
	s_cbranch_execz .LBB96_119
; %bb.118:                              ;   in Loop: Header=BB96_69 Depth=2
	ds_load_2addr_b64 v[8:11], v185 offset1:1
	ds_load_2addr_b64 v[16:19], v185 offset0:2 offset1:3
	s_wait_dscnt 0x1
	v_add_f64_e32 v[8:9], v[8:9], v[10:11]
	s_wait_dscnt 0x0
	s_delay_alu instid0(VALU_DEP_1) | instskip(NEXT) | instid1(VALU_DEP_1)
	v_add_f64_e32 v[8:9], v[8:9], v[16:17]
	v_add_f64_e32 v[32:33], v[8:9], v[18:19]
	ds_load_2addr_b64 v[8:11], v185 offset0:4 offset1:5
	ds_load_2addr_b64 v[16:19], v185 offset0:6 offset1:7
	s_wait_dscnt 0x1
	v_add_f64_e32 v[8:9], v[32:33], v[8:9]
	s_delay_alu instid0(VALU_DEP_1) | instskip(SKIP_1) | instid1(VALU_DEP_1)
	v_add_f64_e32 v[8:9], v[8:9], v[10:11]
	s_wait_dscnt 0x0
	v_add_f64_e32 v[8:9], v[8:9], v[16:17]
	s_delay_alu instid0(VALU_DEP_1) | instskip(SKIP_4) | instid1(VALU_DEP_1)
	v_add_f64_e32 v[32:33], v[8:9], v[18:19]
	ds_load_2addr_b64 v[8:11], v185 offset0:8 offset1:9
	ds_load_2addr_b64 v[16:19], v185 offset0:10 offset1:11
	s_wait_dscnt 0x1
	v_add_f64_e32 v[8:9], v[32:33], v[8:9]
	v_add_f64_e32 v[8:9], v[8:9], v[10:11]
	s_wait_dscnt 0x0
	s_delay_alu instid0(VALU_DEP_1) | instskip(NEXT) | instid1(VALU_DEP_1)
	v_add_f64_e32 v[8:9], v[8:9], v[16:17]
	v_add_f64_e32 v[16:17], v[8:9], v[18:19]
	ds_load_2addr_b64 v[8:11], v185 offset0:12 offset1:13
	ds_load_b64 v[18:19], v185 offset:112
	s_wait_dscnt 0x1
	v_add_f64_e32 v[8:9], v[16:17], v[8:9]
	s_delay_alu instid0(VALU_DEP_1) | instskip(SKIP_4) | instid1(VALU_DEP_1)
	v_add_f64_e32 v[8:9], v[8:9], v[10:11]
	ds_load_b64 v[10:11], v186
	s_wait_dscnt 0x1
	v_add_f64_e32 v[8:9], v[8:9], v[18:19]
	s_wait_dscnt 0x0
	v_add_f64_e32 v[8:9], v[8:9], v[10:11]
	global_store_b64 v210, v[8:9], s[18:19] scale_offset
.LBB96_119:                             ;   in Loop: Header=BB96_69 Depth=2
	s_wait_xcnt 0x0
	s_or_b32 exec_lo, exec_lo, s93
	v_fmac_f64_e32 v[88:89], v[142:143], v[0:1]
	v_add_nc_u64_e32 v[138:139], s[90:91], v[138:139]
	v_add_nc_u64_e32 v[92:93], s[90:91], v[92:93]
	;; [unrolled: 1-line block ×24, first 2 shown]
	v_add_nc_u32_e32 v210, 64, v210
	s_add_co_i32 s93, s100, 1
	s_add_co_i32 s100, s100, 2
	;; [unrolled: 1-line block ×3, first 2 shown]
	s_cmp_ge_u32 s100, s44
	s_wait_storecnt 0x0
	s_barrier_signal -1
	v_fmac_f64_e32 v[88:89], v[140:141], v[2:3]
	s_barrier_wait -1
	s_delay_alu instid0(VALU_DEP_1) | instskip(NEXT) | instid1(VALU_DEP_1)
	v_fmac_f64_e32 v[88:89], v[146:147], v[4:5]
	v_fmac_f64_e32 v[88:89], v[144:145], v[6:7]
	s_delay_alu instid0(VALU_DEP_1) | instskip(NEXT) | instid1(VALU_DEP_1)
	v_fmac_f64_e32 v[88:89], v[150:151], v[12:13]
	v_fmac_f64_e32 v[88:89], v[148:149], v[14:15]
	;; [unrolled: 3-line block ×7, first 2 shown]
	s_cbranch_scc1 .LBB96_121
; %bb.120:                              ;   in Loop: Header=BB96_69 Depth=2
	s_mov_b32 s100, s93
	s_delay_alu instid0(SALU_CYCLE_1)
	s_cmp_eq_u32 s47, s100
	s_cselect_b32 s101, s94, 0
	s_and_saveexec_b32 s102, s0
	s_cbranch_execnz .LBB96_66
	s_branch .LBB96_69
.LBB96_121:                             ;   in Loop: Header=BB96_4 Depth=1
	ds_store_b64 v199, v[88:89]
	s_wait_dscnt 0x0
	s_barrier_signal -1
	s_barrier_wait -1
	s_and_saveexec_b32 s92, s98
	s_cbranch_execz .LBB96_2
; %bb.122:                              ;   in Loop: Header=BB96_4 Depth=1
	ds_load_2addr_b64 v[0:3], v173 offset1:67
	s_wait_dscnt 0x0
	v_add_f64_e32 v[4:5], v[0:1], v[2:3]
	ds_load_2addr_b64 v[0:3], v173 offset0:134 offset1:201
	s_wait_dscnt 0x0
	v_add_f64_e32 v[0:1], v[4:5], v[0:1]
	s_delay_alu instid0(VALU_DEP_1)
	v_add_f64_e32 v[0:1], v[0:1], v[2:3]
	v_lshl_add_u64 v[2:3], v[58:59], 3, s[18:19]
	global_store_b64 v[2:3], v[0:1], off
	s_branch .LBB96_2
.LBB96_123:                             ;   in Loop: Header=BB96_4 Depth=1
	ds_load_b64 v[2:3], v203
	s_wait_dscnt 0x0
	ds_store_b64 v176, v[2:3]
	s_or_b32 exec_lo, exec_lo, s18
	s_and_saveexec_b32 s18, s7
	s_cbranch_execz .LBB96_24
.LBB96_124:                             ;   in Loop: Header=BB96_4 Depth=1
	ds_load_b64 v[2:3], v204
	s_wait_dscnt 0x0
	ds_store_b64 v176, v[2:3] offset:8
	s_or_b32 exec_lo, exec_lo, s18
	s_and_saveexec_b32 s18, s8
	s_cbranch_execz .LBB96_25
.LBB96_125:                             ;   in Loop: Header=BB96_4 Depth=1
	ds_load_b64 v[2:3], v204 offset:264
	s_wait_dscnt 0x0
	ds_store_b64 v176, v[2:3] offset:16
	s_or_b32 exec_lo, exec_lo, s18
	s_and_saveexec_b32 s18, s9
	s_cbranch_execnz .LBB96_26
	s_branch .LBB96_27
.LBB96_126:                             ;   in Loop: Header=BB96_4 Depth=1
	ds_load_b64 v[2:3], v203
	s_wait_dscnt 0x0
	ds_store_b64 v176, v[2:3]
	s_or_b32 exec_lo, exec_lo, s18
	s_and_saveexec_b32 s18, s7
	s_cbranch_execz .LBB96_43
.LBB96_127:                             ;   in Loop: Header=BB96_4 Depth=1
	ds_load_b64 v[2:3], v204
	s_wait_dscnt 0x0
	ds_store_b64 v176, v[2:3] offset:8
	s_or_b32 exec_lo, exec_lo, s18
	s_and_saveexec_b32 s18, s8
	s_cbranch_execz .LBB96_44
.LBB96_128:                             ;   in Loop: Header=BB96_4 Depth=1
	ds_load_b64 v[2:3], v204 offset:264
	s_wait_dscnt 0x0
	ds_store_b64 v176, v[2:3] offset:16
	s_or_b32 exec_lo, exec_lo, s18
	s_and_saveexec_b32 s18, s9
	s_cbranch_execnz .LBB96_45
	s_branch .LBB96_46
.LBB96_129:
	s_sendmsg sendmsg(MSG_DEALLOC_VGPRS)
	s_endpgm
	.section	.rodata,"a",@progbits
	.p2align	6, 0x0
	.amdhsa_kernel _ZL26rocblas_hemvn_kernel_upperILb0ELi64ELi4ELi33ELi32ELi16EiPKdS1_PdEviT6_lT7_lT5_lS4_lS5_lS3_lT8_i
		.amdhsa_group_segment_fixed_size 9600
		.amdhsa_private_segment_fixed_size 0
		.amdhsa_kernarg_size 376
		.amdhsa_user_sgpr_count 2
		.amdhsa_user_sgpr_dispatch_ptr 0
		.amdhsa_user_sgpr_queue_ptr 0
		.amdhsa_user_sgpr_kernarg_segment_ptr 1
		.amdhsa_user_sgpr_dispatch_id 0
		.amdhsa_user_sgpr_kernarg_preload_length 0
		.amdhsa_user_sgpr_kernarg_preload_offset 0
		.amdhsa_user_sgpr_private_segment_size 0
		.amdhsa_wavefront_size32 1
		.amdhsa_uses_dynamic_stack 0
		.amdhsa_enable_private_segment 0
		.amdhsa_system_sgpr_workgroup_id_x 1
		.amdhsa_system_sgpr_workgroup_id_y 0
		.amdhsa_system_sgpr_workgroup_id_z 1
		.amdhsa_system_sgpr_workgroup_info 0
		.amdhsa_system_vgpr_workitem_id 1
		.amdhsa_next_free_vgpr 220
		.amdhsa_next_free_sgpr 104
		.amdhsa_named_barrier_count 0
		.amdhsa_reserve_vcc 1
		.amdhsa_float_round_mode_32 0
		.amdhsa_float_round_mode_16_64 0
		.amdhsa_float_denorm_mode_32 3
		.amdhsa_float_denorm_mode_16_64 3
		.amdhsa_fp16_overflow 0
		.amdhsa_memory_ordered 1
		.amdhsa_forward_progress 1
		.amdhsa_inst_pref_size 53
		.amdhsa_round_robin_scheduling 0
		.amdhsa_exception_fp_ieee_invalid_op 0
		.amdhsa_exception_fp_denorm_src 0
		.amdhsa_exception_fp_ieee_div_zero 0
		.amdhsa_exception_fp_ieee_overflow 0
		.amdhsa_exception_fp_ieee_underflow 0
		.amdhsa_exception_fp_ieee_inexact 0
		.amdhsa_exception_int_div_zero 0
	.end_amdhsa_kernel
	.section	.text._ZL26rocblas_hemvn_kernel_upperILb0ELi64ELi4ELi33ELi32ELi16EiPKdS1_PdEviT6_lT7_lT5_lS4_lS5_lS3_lT8_i,"axG",@progbits,_ZL26rocblas_hemvn_kernel_upperILb0ELi64ELi4ELi33ELi32ELi16EiPKdS1_PdEviT6_lT7_lT5_lS4_lS5_lS3_lT8_i,comdat
.Lfunc_end96:
	.size	_ZL26rocblas_hemvn_kernel_upperILb0ELi64ELi4ELi33ELi32ELi16EiPKdS1_PdEviT6_lT7_lT5_lS4_lS5_lS3_lT8_i, .Lfunc_end96-_ZL26rocblas_hemvn_kernel_upperILb0ELi64ELi4ELi33ELi32ELi16EiPKdS1_PdEviT6_lT7_lT5_lS4_lS5_lS3_lT8_i
                                        ; -- End function
	.set _ZL26rocblas_hemvn_kernel_upperILb0ELi64ELi4ELi33ELi32ELi16EiPKdS1_PdEviT6_lT7_lT5_lS4_lS5_lS3_lT8_i.num_vgpr, 220
	.set _ZL26rocblas_hemvn_kernel_upperILb0ELi64ELi4ELi33ELi32ELi16EiPKdS1_PdEviT6_lT7_lT5_lS4_lS5_lS3_lT8_i.num_agpr, 0
	.set _ZL26rocblas_hemvn_kernel_upperILb0ELi64ELi4ELi33ELi32ELi16EiPKdS1_PdEviT6_lT7_lT5_lS4_lS5_lS3_lT8_i.numbered_sgpr, 104
	.set _ZL26rocblas_hemvn_kernel_upperILb0ELi64ELi4ELi33ELi32ELi16EiPKdS1_PdEviT6_lT7_lT5_lS4_lS5_lS3_lT8_i.num_named_barrier, 0
	.set _ZL26rocblas_hemvn_kernel_upperILb0ELi64ELi4ELi33ELi32ELi16EiPKdS1_PdEviT6_lT7_lT5_lS4_lS5_lS3_lT8_i.private_seg_size, 0
	.set _ZL26rocblas_hemvn_kernel_upperILb0ELi64ELi4ELi33ELi32ELi16EiPKdS1_PdEviT6_lT7_lT5_lS4_lS5_lS3_lT8_i.uses_vcc, 1
	.set _ZL26rocblas_hemvn_kernel_upperILb0ELi64ELi4ELi33ELi32ELi16EiPKdS1_PdEviT6_lT7_lT5_lS4_lS5_lS3_lT8_i.uses_flat_scratch, 0
	.set _ZL26rocblas_hemvn_kernel_upperILb0ELi64ELi4ELi33ELi32ELi16EiPKdS1_PdEviT6_lT7_lT5_lS4_lS5_lS3_lT8_i.has_dyn_sized_stack, 0
	.set _ZL26rocblas_hemvn_kernel_upperILb0ELi64ELi4ELi33ELi32ELi16EiPKdS1_PdEviT6_lT7_lT5_lS4_lS5_lS3_lT8_i.has_recursion, 0
	.set _ZL26rocblas_hemvn_kernel_upperILb0ELi64ELi4ELi33ELi32ELi16EiPKdS1_PdEviT6_lT7_lT5_lS4_lS5_lS3_lT8_i.has_indirect_call, 0
	.section	.AMDGPU.csdata,"",@progbits
; Kernel info:
; codeLenInByte = 6672
; TotalNumSgprs: 106
; NumVgprs: 220
; ScratchSize: 0
; MemoryBound: 0
; FloatMode: 240
; IeeeMode: 1
; LDSByteSize: 9600 bytes/workgroup (compile time only)
; SGPRBlocks: 0
; VGPRBlocks: 13
; NumSGPRsForWavesPerEU: 106
; NumVGPRsForWavesPerEU: 220
; NamedBarCnt: 0
; Occupancy: 4
; WaveLimiterHint : 0
; COMPUTE_PGM_RSRC2:SCRATCH_EN: 0
; COMPUTE_PGM_RSRC2:USER_SGPR: 2
; COMPUTE_PGM_RSRC2:TRAP_HANDLER: 0
; COMPUTE_PGM_RSRC2:TGID_X_EN: 1
; COMPUTE_PGM_RSRC2:TGID_Y_EN: 0
; COMPUTE_PGM_RSRC2:TGID_Z_EN: 1
; COMPUTE_PGM_RSRC2:TIDIG_COMP_CNT: 1
	.section	.text._ZL36rocblas_hemvn_kernel_upper_block_sumILi64EiPKdPddEviT1_lS3_lT2_lT0_lPT3_i,"axG",@progbits,_ZL36rocblas_hemvn_kernel_upper_block_sumILi64EiPKdPddEviT1_lS3_lT2_lT0_lPT3_i,comdat
	.globl	_ZL36rocblas_hemvn_kernel_upper_block_sumILi64EiPKdPddEviT1_lS3_lT2_lT0_lPT3_i ; -- Begin function _ZL36rocblas_hemvn_kernel_upper_block_sumILi64EiPKdPddEviT1_lS3_lT2_lT0_lPT3_i
	.p2align	8
	.type	_ZL36rocblas_hemvn_kernel_upper_block_sumILi64EiPKdPddEviT1_lS3_lT2_lT0_lPT3_i,@function
_ZL36rocblas_hemvn_kernel_upper_block_sumILi64EiPKdPddEviT1_lS3_lT2_lT0_lPT3_i: ; @_ZL36rocblas_hemvn_kernel_upper_block_sumILi64EiPKdPddEviT1_lS3_lT2_lT0_lPT3_i
; %bb.0:
	s_load_b32 s3, s[0:1], 0x50
	s_bfe_u32 s2, ttmp6, 0x40014
	s_lshr_b32 s4, ttmp7, 16
	s_add_co_i32 s2, s2, 1
	s_bfe_u32 s6, ttmp6, 0x40008
	s_mul_i32 s5, s4, s2
	s_getreg_b32 s2, hwreg(HW_REG_IB_STS2, 6, 4)
	s_add_co_i32 s6, s6, s5
	s_cmp_eq_u32 s2, 0
	s_mov_b32 s17, 0
	s_cselect_b32 s16, s4, s6
	s_wait_kmcnt 0x0
	s_cmp_ge_u32 s16, s3
	s_cbranch_scc1 .LBB97_24
; %bb.1:
	s_clause 0x1
	s_load_b128 s[20:23], s[0:1], 0x28
	s_load_b32 s25, s[0:1], 0x38
	s_bfe_u32 s4, ttmp6, 0x4000c
	s_and_b32 s5, ttmp6, 15
	s_add_co_i32 s4, s4, 1
	s_load_b32 s24, s[0:1], 0x0
	s_mul_i32 s4, ttmp9, s4
	s_load_b128 s[12:15], s[0:1], 0x40
	s_add_co_i32 s5, s5, s4
	s_wait_kmcnt 0x0
	s_lshl_b64 s[18:19], s[22:23], 3
	s_cmp_eq_u32 s2, 0
	s_add_nc_u64 s[18:19], s[20:21], s[18:19]
	s_cselect_b32 s27, ttmp9, s5
	s_load_b256 s[4:11], s[0:1], 0x8
	v_lshl_or_b32 v2, s27, 6, v0
	s_wait_xcnt 0x0
	s_add_nc_u64 s[0:1], s[0:1], 0x58
	s_delay_alu instid0(VALU_DEP_1)
	v_mul_lo_u32 v0, s25, v2
	v_ashrrev_i32_e32 v3, 31, v2
	s_ashr_i32 s25, s24, 31
	v_cmp_gt_i32_e64 s2, s24, v2
	s_cmp_gt_i32 s27, -1
	s_cselect_b32 s26, -1, 0
	s_add_co_i32 s27, s27, 1
	v_ashrrev_i32_e32 v1, 31, v0
	v_lshl_add_u64 v[2:3], v[2:3], 3, s[14:15]
	s_lshl_b64 s[14:15], s[24:25], 3
	s_branch .LBB97_4
.LBB97_2:                               ;   in Loop: Header=BB97_4 Depth=1
	s_wait_xcnt 0x0
	s_or_b32 exec_lo, exec_lo, s22
.LBB97_3:                               ;   in Loop: Header=BB97_4 Depth=1
	s_add_co_i32 s16, s16, 0x10000
	s_delay_alu instid0(SALU_CYCLE_1)
	s_cmp_lt_u32 s16, s3
	s_cbranch_scc0 .LBB97_24
.LBB97_4:                               ; =>This Loop Header: Depth=1
                                        ;     Child Loop BB97_15 Depth 2
	s_wait_kmcnt 0x0
	s_mul_u64 s[20:21], s[6:7], s[16:17]
	s_mul_u64 s[22:23], s[10:11], s[16:17]
	s_lshl_b64 s[20:21], s[20:21], 3
	s_lshl_b64 s[22:23], s[22:23], 3
	s_add_nc_u64 s[20:21], s[4:5], s[20:21]
	s_add_nc_u64 s[28:29], s[8:9], s[22:23]
	s_load_b64 s[22:23], s[20:21], 0x0
	s_load_b64 s[24:25], s[28:29], 0x0
	s_wait_kmcnt 0x0
	s_wait_xcnt 0x0
	v_cmp_eq_f64_e64 s20, s[22:23], 0
	v_cmp_eq_f64_e64 s21, s[24:25], 1.0
	s_and_b32 s20, s20, s21
	s_delay_alu instid0(SALU_CYCLE_1)
	s_and_b32 vcc_lo, exec_lo, s20
	s_cbranch_vccnz .LBB97_3
; %bb.5:                                ;   in Loop: Header=BB97_4 Depth=1
	v_cmp_neq_f64_e64 s28, s[22:23], 0
	s_mul_u64 s[20:21], s[12:13], s[16:17]
	s_delay_alu instid0(SALU_CYCLE_1) | instskip(NEXT) | instid1(SALU_CYCLE_1)
	s_lshl_b64 s[20:21], s[20:21], 3
	s_add_nc_u64 s[20:21], s[18:19], s[20:21]
	s_and_b32 vcc_lo, exec_lo, s28
	s_cbranch_vccnz .LBB97_10
; %bb.6:                                ;   in Loop: Header=BB97_4 Depth=1
	s_mov_b32 s29, 0
	s_mov_b32 s28, 0
                                        ; implicit-def: $vgpr4_vgpr5
	s_and_saveexec_b32 s30, s2
	s_cbranch_execz .LBB97_11
; %bb.7:                                ;   in Loop: Header=BB97_4 Depth=1
	v_cmp_eq_f64_e64 s28, s[24:25], 0
	v_mov_b64_e32 v[4:5], 0
	s_and_b32 vcc_lo, exec_lo, s28
	s_cbranch_vccnz .LBB97_9
; %bb.8:                                ;   in Loop: Header=BB97_4 Depth=1
	v_lshl_add_u64 v[4:5], v[0:1], 3, s[20:21]
	global_load_b64 v[4:5], v[4:5], off
	s_wait_loadcnt 0x0
	s_wait_xcnt 0x0
	v_mul_f64_e32 v[4:5], s[24:25], v[4:5]
.LBB97_9:                               ;   in Loop: Header=BB97_4 Depth=1
	s_mov_b32 s28, exec_lo
	s_or_b32 exec_lo, exec_lo, s30
	s_delay_alu instid0(SALU_CYCLE_1)
	s_and_b32 vcc_lo, exec_lo, s29
	s_cbranch_vccnz .LBB97_12
	s_branch .LBB97_21
.LBB97_10:                              ;   in Loop: Header=BB97_4 Depth=1
	s_mov_b32 s28, 0
                                        ; implicit-def: $vgpr4_vgpr5
	s_cbranch_execnz .LBB97_12
	s_branch .LBB97_21
.LBB97_11:                              ;   in Loop: Header=BB97_4 Depth=1
	s_or_b32 exec_lo, exec_lo, s30
	s_delay_alu instid0(SALU_CYCLE_1)
	s_and_b32 vcc_lo, exec_lo, s29
	s_cbranch_vccz .LBB97_21
.LBB97_12:                              ;   in Loop: Header=BB97_4 Depth=1
                                        ; implicit-def: $vgpr4_vgpr5
	s_and_saveexec_b32 s29, s2
	s_cbranch_execz .LBB97_20
; %bb.13:                               ;   in Loop: Header=BB97_4 Depth=1
	v_mov_b64_e32 v[6:7], 0
	s_and_not1_b32 vcc_lo, exec_lo, s26
	s_cbranch_vccnz .LBB97_16
; %bb.14:                               ;   in Loop: Header=BB97_4 Depth=1
	s_load_b32 s30, s[0:1], 0x0
	s_mov_b32 s31, s17
	v_mov_b64_e32 v[6:7], 0
	s_wait_kmcnt 0x0
	s_mul_u64 s[30:31], s[14:15], s[30:31]
	s_delay_alu instid0(SALU_CYCLE_1) | instskip(SKIP_1) | instid1(VALU_DEP_1)
	v_mad_nc_u64_u32 v[4:5], s30, s16, v[2:3]
	s_mov_b32 s30, s27
	v_mad_u32 v5, s31, s16, v5
.LBB97_15:                              ;   Parent Loop BB97_4 Depth=1
                                        ; =>  This Inner Loop Header: Depth=2
	global_load_b64 v[8:9], v[4:5], off
	s_wait_xcnt 0x0
	v_add_nc_u64_e32 v[4:5], s[14:15], v[4:5]
	s_add_co_i32 s30, s30, -1
	s_delay_alu instid0(SALU_CYCLE_1)
	s_cmp_eq_u32 s30, 0
	s_wait_loadcnt 0x0
	v_add_f64_e32 v[6:7], v[6:7], v[8:9]
	s_cbranch_scc0 .LBB97_15
.LBB97_16:                              ;   in Loop: Header=BB97_4 Depth=1
	v_cmp_eq_f64_e64 s30, s[24:25], 0
	s_and_b32 vcc_lo, exec_lo, s30
	s_cbranch_vccz .LBB97_23
; %bb.17:                               ;   in Loop: Header=BB97_4 Depth=1
	v_mul_f64_e32 v[4:5], s[22:23], v[6:7]
	s_cbranch_execnz .LBB97_19
.LBB97_18:                              ;   in Loop: Header=BB97_4 Depth=1
	v_lshl_add_u64 v[4:5], v[0:1], 3, s[20:21]
	global_load_b64 v[4:5], v[4:5], off
	s_wait_loadcnt 0x0
	s_wait_xcnt 0x0
	v_mul_f64_e32 v[4:5], s[24:25], v[4:5]
	s_delay_alu instid0(VALU_DEP_1)
	v_fmac_f64_e32 v[4:5], s[22:23], v[6:7]
.LBB97_19:                              ;   in Loop: Header=BB97_4 Depth=1
	s_or_b32 s28, s28, exec_lo
.LBB97_20:                              ;   in Loop: Header=BB97_4 Depth=1
	s_or_b32 exec_lo, exec_lo, s29
.LBB97_21:                              ;   in Loop: Header=BB97_4 Depth=1
	s_and_saveexec_b32 s22, s28
	s_cbranch_execz .LBB97_2
; %bb.22:                               ;   in Loop: Header=BB97_4 Depth=1
	v_lshl_add_u64 v[6:7], v[0:1], 3, s[20:21]
	global_store_b64 v[6:7], v[4:5], off
	s_branch .LBB97_2
.LBB97_23:                              ;   in Loop: Header=BB97_4 Depth=1
                                        ; implicit-def: $vgpr4_vgpr5
	s_branch .LBB97_18
.LBB97_24:
	s_endpgm
	.section	.rodata,"a",@progbits
	.p2align	6, 0x0
	.amdhsa_kernel _ZL36rocblas_hemvn_kernel_upper_block_sumILi64EiPKdPddEviT1_lS3_lT2_lT0_lPT3_i
		.amdhsa_group_segment_fixed_size 0
		.amdhsa_private_segment_fixed_size 0
		.amdhsa_kernarg_size 344
		.amdhsa_user_sgpr_count 2
		.amdhsa_user_sgpr_dispatch_ptr 0
		.amdhsa_user_sgpr_queue_ptr 0
		.amdhsa_user_sgpr_kernarg_segment_ptr 1
		.amdhsa_user_sgpr_dispatch_id 0
		.amdhsa_user_sgpr_kernarg_preload_length 0
		.amdhsa_user_sgpr_kernarg_preload_offset 0
		.amdhsa_user_sgpr_private_segment_size 0
		.amdhsa_wavefront_size32 1
		.amdhsa_uses_dynamic_stack 0
		.amdhsa_enable_private_segment 0
		.amdhsa_system_sgpr_workgroup_id_x 1
		.amdhsa_system_sgpr_workgroup_id_y 0
		.amdhsa_system_sgpr_workgroup_id_z 1
		.amdhsa_system_sgpr_workgroup_info 0
		.amdhsa_system_vgpr_workitem_id 0
		.amdhsa_next_free_vgpr 10
		.amdhsa_next_free_sgpr 32
		.amdhsa_named_barrier_count 0
		.amdhsa_reserve_vcc 1
		.amdhsa_float_round_mode_32 0
		.amdhsa_float_round_mode_16_64 0
		.amdhsa_float_denorm_mode_32 3
		.amdhsa_float_denorm_mode_16_64 3
		.amdhsa_fp16_overflow 0
		.amdhsa_memory_ordered 1
		.amdhsa_forward_progress 1
		.amdhsa_inst_pref_size 6
		.amdhsa_round_robin_scheduling 0
		.amdhsa_exception_fp_ieee_invalid_op 0
		.amdhsa_exception_fp_denorm_src 0
		.amdhsa_exception_fp_ieee_div_zero 0
		.amdhsa_exception_fp_ieee_overflow 0
		.amdhsa_exception_fp_ieee_underflow 0
		.amdhsa_exception_fp_ieee_inexact 0
		.amdhsa_exception_int_div_zero 0
	.end_amdhsa_kernel
	.section	.text._ZL36rocblas_hemvn_kernel_upper_block_sumILi64EiPKdPddEviT1_lS3_lT2_lT0_lPT3_i,"axG",@progbits,_ZL36rocblas_hemvn_kernel_upper_block_sumILi64EiPKdPddEviT1_lS3_lT2_lT0_lPT3_i,comdat
.Lfunc_end97:
	.size	_ZL36rocblas_hemvn_kernel_upper_block_sumILi64EiPKdPddEviT1_lS3_lT2_lT0_lPT3_i, .Lfunc_end97-_ZL36rocblas_hemvn_kernel_upper_block_sumILi64EiPKdPddEviT1_lS3_lT2_lT0_lPT3_i
                                        ; -- End function
	.set _ZL36rocblas_hemvn_kernel_upper_block_sumILi64EiPKdPddEviT1_lS3_lT2_lT0_lPT3_i.num_vgpr, 10
	.set _ZL36rocblas_hemvn_kernel_upper_block_sumILi64EiPKdPddEviT1_lS3_lT2_lT0_lPT3_i.num_agpr, 0
	.set _ZL36rocblas_hemvn_kernel_upper_block_sumILi64EiPKdPddEviT1_lS3_lT2_lT0_lPT3_i.numbered_sgpr, 32
	.set _ZL36rocblas_hemvn_kernel_upper_block_sumILi64EiPKdPddEviT1_lS3_lT2_lT0_lPT3_i.num_named_barrier, 0
	.set _ZL36rocblas_hemvn_kernel_upper_block_sumILi64EiPKdPddEviT1_lS3_lT2_lT0_lPT3_i.private_seg_size, 0
	.set _ZL36rocblas_hemvn_kernel_upper_block_sumILi64EiPKdPddEviT1_lS3_lT2_lT0_lPT3_i.uses_vcc, 1
	.set _ZL36rocblas_hemvn_kernel_upper_block_sumILi64EiPKdPddEviT1_lS3_lT2_lT0_lPT3_i.uses_flat_scratch, 0
	.set _ZL36rocblas_hemvn_kernel_upper_block_sumILi64EiPKdPddEviT1_lS3_lT2_lT0_lPT3_i.has_dyn_sized_stack, 0
	.set _ZL36rocblas_hemvn_kernel_upper_block_sumILi64EiPKdPddEviT1_lS3_lT2_lT0_lPT3_i.has_recursion, 0
	.set _ZL36rocblas_hemvn_kernel_upper_block_sumILi64EiPKdPddEviT1_lS3_lT2_lT0_lPT3_i.has_indirect_call, 0
	.section	.AMDGPU.csdata,"",@progbits
; Kernel info:
; codeLenInByte = 724
; TotalNumSgprs: 34
; NumVgprs: 10
; ScratchSize: 0
; MemoryBound: 0
; FloatMode: 240
; IeeeMode: 1
; LDSByteSize: 0 bytes/workgroup (compile time only)
; SGPRBlocks: 0
; VGPRBlocks: 0
; NumSGPRsForWavesPerEU: 34
; NumVGPRsForWavesPerEU: 10
; NamedBarCnt: 0
; Occupancy: 16
; WaveLimiterHint : 0
; COMPUTE_PGM_RSRC2:SCRATCH_EN: 0
; COMPUTE_PGM_RSRC2:USER_SGPR: 2
; COMPUTE_PGM_RSRC2:TRAP_HANDLER: 0
; COMPUTE_PGM_RSRC2:TGID_X_EN: 1
; COMPUTE_PGM_RSRC2:TGID_Y_EN: 0
; COMPUTE_PGM_RSRC2:TGID_Z_EN: 1
; COMPUTE_PGM_RSRC2:TIDIG_COMP_CNT: 0
	.section	.text._ZL26rocblas_hemvn_kernel_upperILb0ELi64ELi4ELi33ELi32ELi16EldPKdPdEviT6_lT7_lT5_lS4_lS5_lS3_lT8_i,"axG",@progbits,_ZL26rocblas_hemvn_kernel_upperILb0ELi64ELi4ELi33ELi32ELi16EldPKdPdEviT6_lT7_lT5_lS4_lS5_lS3_lT8_i,comdat
	.globl	_ZL26rocblas_hemvn_kernel_upperILb0ELi64ELi4ELi33ELi32ELi16EldPKdPdEviT6_lT7_lT5_lS4_lS5_lS3_lT8_i ; -- Begin function _ZL26rocblas_hemvn_kernel_upperILb0ELi64ELi4ELi33ELi32ELi16EldPKdPdEviT6_lT7_lT5_lS4_lS5_lS3_lT8_i
	.p2align	8
	.type	_ZL26rocblas_hemvn_kernel_upperILb0ELi64ELi4ELi33ELi32ELi16EldPKdPdEviT6_lT7_lT5_lS4_lS5_lS3_lT8_i,@function
_ZL26rocblas_hemvn_kernel_upperILb0ELi64ELi4ELi33ELi32ELi16EldPKdPdEviT6_lT7_lT5_lS4_lS5_lS3_lT8_i: ; @_ZL26rocblas_hemvn_kernel_upperILb0ELi64ELi4ELi33ELi32ELi16EldPKdPdEviT6_lT7_lT5_lS4_lS5_lS3_lT8_i
; %bb.0:
	s_clause 0x1
	s_load_b64 s[4:5], s[0:1], 0x84
	s_load_b32 s33, s[0:1], 0x70
	s_bfe_u32 s2, ttmp6, 0x40014
	s_lshr_b32 s3, ttmp7, 16
	s_add_co_i32 s2, s2, 1
	s_bfe_u32 s6, ttmp6, 0x40008
	s_mul_i32 s7, s3, s2
	s_getreg_b32 s2, hwreg(HW_REG_IB_STS2, 6, 4)
	s_add_co_i32 s6, s6, s7
	s_mov_b32 s35, 0
	s_wait_kmcnt 0x0
	s_lshr_b32 s7, s4, 16
	s_and_b32 s4, s4, 0xffff
	s_and_b32 s5, s5, 0xffff
	s_mul_i32 s4, s7, s4
	s_cmp_eq_u32 s2, 0
	s_mul_i32 s4, s4, s5
	s_cselect_b32 s34, s3, s6
	s_cmp_lg_u32 s4, 0x100
	s_cselect_b32 s3, -1, 0
	s_cmp_ge_u32 s34, s33
	s_cselect_b32 s4, -1, 0
	s_delay_alu instid0(SALU_CYCLE_1) | instskip(NEXT) | instid1(SALU_CYCLE_1)
	s_or_b32 s3, s3, s4
	s_and_b32 vcc_lo, exec_lo, s3
	s_cbranch_vccnz .LBB98_129
; %bb.1:
	s_clause 0x2
	s_load_b64 s[8:9], s[0:1], 0x58
	s_load_b64 s[10:11], s[0:1], 0x8
	s_load_b32 s6, s[0:1], 0x0
	s_add_nc_u64 s[12:13], s[0:1], 0x78
	s_clause 0x1
	s_load_b512 s[16:31], s[0:1], 0x18
	s_load_b64 s[4:5], s[0:1], 0x68
	s_wait_xcnt 0x0
	s_bfe_u32 s0, ttmp6, 0x4000c
	s_load_b32 s36, s[12:13], 0x0
	s_add_co_i32 s0, s0, 1
	v_and_b32_e32 v170, 0x3ff, v0
	v_bfe_u32 v1, v0, 10, 10
	s_and_b32 s1, ttmp6, 15
	s_mul_i32 s3, ttmp9, s0
	v_dual_mov_b32 v59, 0 :: v_dual_bitop2_b32 v56, 31, v0 bitop3:0x40
	s_add_co_i32 s1, s1, s3
	v_lshl_add_u32 v36, v1, 6, v170
	v_lshlrev_b32_e32 v60, 3, v170
	s_mov_b32 s37, s35
	v_mov_b32_e32 v57, v59
	v_cmp_eq_u32_e64 s0, 0, v1
	s_wait_kmcnt 0x0
	v_cmp_neq_f64_e64 s12, s[8:9], 1.0
	v_cmp_neq_f64_e64 s13, s[10:11], 0
	s_ashr_i32 s7, s6, 31
	s_cmp_eq_u32 s2, 0
	v_sub_nc_u64_e32 v[100:101], 0, v[56:57]
	s_cselect_b32 s38, ttmp9, s1
	s_lshr_b32 s1, s7, 26
	s_lshl_b32 s56, s38, 6
	s_delay_alu instid0(SALU_CYCLE_1) | instskip(SKIP_3) | instid1(VALU_DEP_1)
	v_dual_lshrrev_b32 v37, 5, v36 :: v_dual_add_nc_u32 v62, s56, v170
	s_add_co_i32 s1, s6, s1
	s_add_co_i32 s14, s36, -1
	s_and_not1_b32 s1, s1, 63
	v_mad_nc_u64_u32 v[2:3], s20, v37, v[56:57]
	v_dual_ashrrev_i32 v63, 31, v62 :: v_dual_lshlrev_b32 v58, 5, v1
	s_mul_u64 s[40:41], s[36:37], s[6:7]
	s_lshl_b64 s[2:3], s[26:27], 3
	s_lshl_b64 s[8:9], s[18:19], 3
	s_delay_alu instid0(VALU_DEP_1) | instskip(SKIP_3) | instid1(VALU_DEP_4)
	v_mul_u64_e32 v[4:5], s[28:29], v[62:63]
	s_sub_co_i32 s37, s6, s1
	s_add_nc_u64 s[8:9], s[16:17], s[8:9]
	v_dual_add_nc_u32 v41, 16, v37 :: v_dual_lshlrev_b32 v42, 2, v37
	v_mad_u32 v3, s21, v37, v3
	v_add_nc_u32_e32 v43, 24, v37
	s_add_nc_u64 s[10:11], s[24:25], s[2:3]
	v_add_nc_u64_e32 v[10:11], 0x108, v[58:59]
	v_or_b32_e32 v8, 2, v42
	v_or_b32_e32 v9, 3, v42
	v_add_nc_u64_e32 v[12:13], 0x180, v[58:59]
	v_add_nc_u64_e32 v[14:15], 0x188, v[58:59]
	;; [unrolled: 1-line block ×3, first 2 shown]
	s_or_b32 s60, s13, s12
	s_cmp_eq_u32 s38, s14
	v_lshlrev_b64_e32 v[2:3], 3, v[2:3]
	s_cselect_b32 s18, s37, 0
	v_cndmask_b32_e64 v171, 0, 1, s13
	s_cmp_lg_u32 s18, 0
	v_add_nc_u64_e32 v[18:19], 0x198, v[58:59]
	s_cselect_b32 s61, -1, 0
	s_cmp_eq_u32 s18, 0
	v_add_nc_u64_e32 v[20:21], 0x200, v[58:59]
	s_cselect_b32 s14, -1, 0
	s_ashr_i32 s57, s56, 31
	s_ashr_i32 s39, s38, 31
	s_lshl_b64 s[12:13], s[56:57], 3
	s_mul_u64 s[6:7], s[6:7], s[38:39]
	s_add_nc_u64 s[8:9], s[8:9], s[12:13]
	s_lshl_b64 s[6:7], s[6:7], 3
	v_add_nc_u64_e32 v[6:7], s[8:9], v[2:3]
	s_mul_u64 s[8:9], s[20:21], s[56:57]
	s_sub_co_i32 s16, s18, 32
	s_add_nc_u64 s[26:27], s[4:5], s[6:7]
	v_lshl_add_u64 v[64:65], v[4:5], 3, s[10:11]
	v_cmp_gt_i32_e64 s4, s18, v41
	v_add_nc_u64_e32 v[4:5], 0x100, v[58:59]
	v_lshl_add_u64 v[66:67], s[8:9], 3, v[6:7]
	v_add_nc_u64_e32 v[6:7], 0x110, v[58:59]
	v_cmp_gt_u32_e64 s6, v8, v56
	v_add_nc_u64_e32 v[22:23], 0x208, v[58:59]
	v_add_nc_u64_e32 v[24:25], 0x210, v[58:59]
	;; [unrolled: 1-line block ×7, first 2 shown]
	v_cmp_gt_i32_e64 s13, s16, v41
	v_lshrrev_b32_e32 v41, 4, v36
	v_cmp_gt_u32_e64 s7, v9, v56
	v_add_nc_u64_e32 v[8:9], 0x118, v[58:59]
	v_mul_u64_e32 v[4:5], s[20:21], v[4:5]
	v_mul_u64_e32 v[6:7], s[20:21], v[6:7]
	;; [unrolled: 1-line block ×16, first 2 shown]
	v_cmp_gt_i32_e32 vcc_lo, s18, v170
	v_dual_lshlrev_b32 v38, 3, v56 :: v_dual_add_nc_u32 v40, 8, v37
	v_mul_u32_u24_e32 v39, 0x108, v37
	v_cmp_gt_i32_e64 s5, s18, v43
	s_or_b32 s39, s14, vcc_lo
	v_or_b32_e32 v44, 32, v56
	v_cmp_gt_i32_e64 s14, s16, v43
	v_and_b32_e32 v43, 15, v0
	v_dual_add_nc_u32 v176, v38, v39 :: v_dual_bitop2_b32 v0, 48, v0 bitop3:0x40
	v_lshl_or_b32 v172, v56, 8, v38
	v_cmp_gt_u32_e64 s8, v42, v56
	v_cmp_ge_u32_e64 s9, v42, v56
	s_delay_alu instid0(VALU_DEP_4)
	v_dual_lshlrev_b32 v0, 3, v0 :: v_dual_bitop2_b32 v42, 1, v42 bitop3:0x54
	v_sub_nc_u64_e32 v[68:69], v[4:5], v[2:3]
	v_sub_nc_u64_e32 v[70:71], v[6:7], v[2:3]
	;; [unrolled: 1-line block ×16, first 2 shown]
	v_lshlrev_b32_e32 v2, 5, v41
	v_cmp_gt_i32_e64 s10, s18, v44
	v_and_b32_e32 v44, 0x7fe0, v36
	v_cmp_gt_i32_e64 s3, s18, v40
	v_cmp_gt_i32_e64 s11, s16, v40
	v_mul_u32_u24_e32 v40, 0x420, v37
	v_mul_u32_u24_e32 v42, 0x108, v42
	v_or_b32_e32 v3, 0x78, v60
	v_mul_u32_u24_e32 v4, 33, v56
	v_mad_u32_u24 v174, 0x218, v43, v0
	v_lshlrev_b32_e32 v0, 3, v37
	v_mad_u32_u24 v173, 0x218, v43, v2
	v_dual_add_nc_u32 v179, v172, v44 :: v_dual_lshlrev_b32 v183, 2, v1
	v_mul_i32_i24_e32 v2, 0xffffffe8, v41
	s_add_co_i32 s50, s38, 1
	v_cmp_gt_i32_e64 s1, s18, v56
	v_cmp_gt_i32_e64 s2, s18, v37
	s_ashr_i32 s19, s18, 31
	s_lshl_b64 s[24:25], s[20:21], 6
	s_lshl_b64 s[42:43], s[20:21], 7
	v_cmp_gt_u32_e64 s12, 32, v36
	v_cmp_gt_u32_e64 s15, 64, v36
	v_mad_u32_u24 v175, 0x218, v43, v3
	v_dual_add_nc_u32 v177, v38, v40 :: v_dual_add_nc_u32 v178, v38, v42
	v_dual_mov_b32 v61, v59 :: v_dual_add_nc_u32 v180, 0x2380, v44
	v_lshl_add_u32 v181, v4, 3, v0
	s_lshl_b64 s[46:47], s[20:21], 5
	v_cmp_gt_i32_e64 s16, s16, v37
	v_cmp_eq_u32_e64 s17, 1, v37
	v_mul_i32_i24_e32 v182, 0xffffffe8, v37
	v_mad_u32_u24 v184, 0x860, v1, v60
	v_mad_u32_u24 v185, 0x218, v1, v60
	v_dual_add_nc_u32 v186, v172, v0 :: v_dual_add_nc_u32 v188, v173, v2
	v_add_nc_u32_e32 v187, 0x2380, v0
	v_add_nc_u32_e32 v189, 0x2380, v60
	;; [unrolled: 1-line block ×4, first 2 shown]
	v_dual_add_nc_u32 v195, 16, v183 :: v_dual_bitop2_b32 v192, 1, v183 bitop3:0x54
	v_dual_add_nc_u32 v196, 17, v183 :: v_dual_bitop2_b32 v193, 2, v183 bitop3:0x54
	;; [unrolled: 1-line block ×3, first 2 shown]
	v_dual_add_nc_u32 v198, 19, v183 :: v_dual_add_nc_u32 v199, 32, v183
	v_dual_add_nc_u32 v200, 33, v183 :: v_dual_add_nc_u32 v201, 34, v183
	;; [unrolled: 1-line block ×4, first 2 shown]
	v_add_nc_u32_e32 v57, 51, v183
	s_mul_u64 s[48:49], s[28:29], s[56:57]
	s_cmp_lt_u32 s50, s36
	s_mul_u64 s[44:45], s[20:21], 0xc0
	s_sub_nc_u64 s[48:49], 0, s[48:49]
	s_cselect_b32 s62, -1, 0
	s_add_co_i32 s63, s36, -2
	s_and_b32 s64, s0, s39
	s_mov_b64 s[50:51], 0xffffffffffffff00
	s_mov_b64 s[52:53], 0xfffffffffffffef8
	s_sub_nc_u64 s[54:55], 0, s[18:19]
	s_add_co_i32 s65, s56, 64
	s_lshl_b64 s[20:21], s[20:21], 9
	s_branch .LBB98_4
.LBB98_2:                               ;   in Loop: Header=BB98_4 Depth=1
	s_wait_xcnt 0x0
	s_or_b32 exec_lo, exec_lo, s58
.LBB98_3:                               ;   in Loop: Header=BB98_4 Depth=1
	s_add_co_i32 s34, s34, 0x10000
	s_delay_alu instid0(SALU_CYCLE_1)
	s_cmp_lt_u32 s34, s33
	s_cbranch_scc0 .LBB98_129
.LBB98_4:                               ; =>This Loop Header: Depth=1
                                        ;     Child Loop BB98_69 Depth 2
	s_and_not1_b32 vcc_lo, exec_lo, s60
	s_cbranch_vccnz .LBB98_3
; %bb.5:                                ;   in Loop: Header=BB98_4 Depth=1
	v_cmp_ne_u32_e32 vcc_lo, 1, v171
	s_cbranch_vccnz .LBB98_3
; %bb.6:                                ;   in Loop: Header=BB98_4 Depth=1
	s_mul_u64 s[56:57], s[30:31], s[34:35]
	s_delay_alu instid0(SALU_CYCLE_1)
	v_lshl_add_u64 v[12:13], s[56:57], 3, v[64:65]
	s_and_saveexec_b32 s56, s0
	s_cbranch_execz .LBB98_10
; %bb.7:                                ;   in Loop: Header=BB98_4 Depth=1
	v_mov_b64_e32 v[0:1], 0
	s_and_saveexec_b32 s57, s39
	s_cbranch_execz .LBB98_9
; %bb.8:                                ;   in Loop: Header=BB98_4 Depth=1
	global_load_b64 v[0:1], v[12:13], off
.LBB98_9:                               ;   in Loop: Header=BB98_4 Depth=1
	s_wait_xcnt 0x0
	s_or_b32 exec_lo, exec_lo, s57
	s_wait_loadcnt 0x0
	ds_store_b64 v189, v[0:1]
.LBB98_10:                              ;   in Loop: Header=BB98_4 Depth=1
	s_or_b32 exec_lo, exec_lo, s56
	s_mul_u64 s[56:57], s[22:23], s[34:35]
	s_and_b32 vcc_lo, exec_lo, s61
	v_lshl_add_u64 v[2:3], s[56:57], 3, v[66:67]
	s_mov_b32 s56, -1
                                        ; implicit-def: $vgpr0_vgpr1
	s_cbranch_vccz .LBB98_20
; %bb.11:                               ;   in Loop: Header=BB98_4 Depth=1
	s_delay_alu instid0(VALU_DEP_1) | instskip(SKIP_2) | instid1(VALU_DEP_3)
	v_lshl_add_u64 v[0:1], v[100:101], 3, v[2:3]
	v_mov_b64_e32 v[6:7], 0
	v_mov_b64_e32 v[4:5], 0
	v_lshl_add_u64 v[0:1], s[18:19], 3, v[0:1]
	s_delay_alu instid0(VALU_DEP_1) | instskip(NEXT) | instid1(VALU_DEP_1)
	v_add_nc_u64_e32 v[0:1], -8, v[0:1]
	v_dual_cndmask_b32 v1, v1, v3, s1 :: v_dual_cndmask_b32 v0, v0, v2, s1
	s_and_saveexec_b32 s56, s2
	s_cbranch_execz .LBB98_13
; %bb.12:                               ;   in Loop: Header=BB98_4 Depth=1
	global_load_b64 v[4:5], v[0:1], off
.LBB98_13:                              ;   in Loop: Header=BB98_4 Depth=1
	s_wait_xcnt 0x0
	s_or_b32 exec_lo, exec_lo, s56
	s_wait_loadcnt 0x0
	ds_store_b64 v176, v[4:5]
	s_and_saveexec_b32 s56, s3
	s_cbranch_execz .LBB98_15
; %bb.14:                               ;   in Loop: Header=BB98_4 Depth=1
	v_add_nc_u64_e32 v[4:5], s[24:25], v[0:1]
	global_load_b64 v[6:7], v[4:5], off
.LBB98_15:                              ;   in Loop: Header=BB98_4 Depth=1
	s_wait_xcnt 0x0
	s_or_b32 exec_lo, exec_lo, s56
	v_mov_b64_e32 v[4:5], 0
	v_mov_b64_e32 v[8:9], 0
	s_wait_loadcnt 0x0
	ds_store_b64 v176, v[6:7] offset:2112
	s_and_saveexec_b32 s56, s4
	s_cbranch_execz .LBB98_17
; %bb.16:                               ;   in Loop: Header=BB98_4 Depth=1
	v_add_nc_u64_e32 v[6:7], s[42:43], v[0:1]
	global_load_b64 v[8:9], v[6:7], off
.LBB98_17:                              ;   in Loop: Header=BB98_4 Depth=1
	s_wait_xcnt 0x0
	s_or_b32 exec_lo, exec_lo, s56
	s_wait_loadcnt 0x0
	ds_store_b64 v176, v[8:9] offset:4224
	s_and_saveexec_b32 s56, s5
	s_cbranch_execz .LBB98_19
; %bb.18:                               ;   in Loop: Header=BB98_4 Depth=1
	v_add_nc_u64_e32 v[4:5], s[44:45], v[0:1]
	global_load_b64 v[4:5], v[4:5], off
.LBB98_19:                              ;   in Loop: Header=BB98_4 Depth=1
	s_wait_xcnt 0x0
	s_or_b32 exec_lo, exec_lo, s56
	v_lshlrev_b32_e32 v58, 3, v56
	s_mov_b32 s56, 0
	s_wait_loadcnt 0x0
	ds_store_b64 v176, v[4:5] offset:6336
	v_add_nc_u64_e32 v[0:1], v[0:1], v[58:59]
	s_delay_alu instid0(VALU_DEP_1) | instskip(NEXT) | instid1(VALU_DEP_1)
	v_lshl_add_u64 v[0:1], s[54:55], 3, v[0:1]
	v_add_nc_u64_e32 v[0:1], 8, v[0:1]
	s_delay_alu instid0(VALU_DEP_1)
	v_dual_cndmask_b32 v1, v1, v3, s1 :: v_dual_cndmask_b32 v0, v0, v2, s1
.LBB98_20:                              ;   in Loop: Header=BB98_4 Depth=1
	s_and_b32 vcc_lo, exec_lo, s56
	s_cbranch_vccz .LBB98_22
; %bb.21:                               ;   in Loop: Header=BB98_4 Depth=1
	v_add_nc_u64_e32 v[0:1], s[24:25], v[2:3]
	s_delay_alu instid0(VALU_DEP_1) | instskip(NEXT) | instid1(VALU_DEP_1)
	v_add_nc_u64_e32 v[4:5], s[24:25], v[0:1]
	v_add_nc_u64_e32 v[6:7], s[24:25], v[4:5]
	s_clause 0x3
	global_load_b64 v[8:9], v[2:3], off
	global_load_b64 v[10:11], v[0:1], off
	global_load_b64 v[4:5], v[4:5], off
	global_load_b64 v[6:7], v[6:7], off
	s_wait_xcnt 0x2
	v_mov_b64_e32 v[0:1], v[2:3]
	s_wait_loadcnt 0x3
	ds_store_b64 v176, v[8:9]
	s_wait_loadcnt 0x2
	ds_store_b64 v176, v[10:11] offset:2112
	s_wait_loadcnt 0x1
	ds_store_b64 v176, v[4:5] offset:4224
	;; [unrolled: 2-line block ×3, first 2 shown]
.LBB98_22:                              ;   in Loop: Header=BB98_4 Depth=1
	s_wait_dscnt 0x0
	s_barrier_signal -1
	s_barrier_wait -1
	s_wait_xcnt 0x0
	s_and_saveexec_b32 s56, s8
	s_cbranch_execnz .LBB98_123
; %bb.23:                               ;   in Loop: Header=BB98_4 Depth=1
	s_or_b32 exec_lo, exec_lo, s56
	s_and_saveexec_b32 s56, s9
	s_cbranch_execnz .LBB98_124
.LBB98_24:                              ;   in Loop: Header=BB98_4 Depth=1
	s_or_b32 exec_lo, exec_lo, s56
	s_and_saveexec_b32 s56, s6
	s_cbranch_execnz .LBB98_125
.LBB98_25:                              ;   in Loop: Header=BB98_4 Depth=1
	s_or_b32 exec_lo, exec_lo, s56
	s_and_saveexec_b32 s56, s7
	s_cbranch_execz .LBB98_27
.LBB98_26:                              ;   in Loop: Header=BB98_4 Depth=1
	ds_load_b64 v[2:3], v178 offset:528
	s_wait_dscnt 0x0
	ds_store_b64 v179, v[2:3] offset:24
.LBB98_27:                              ;   in Loop: Header=BB98_4 Depth=1
	s_or_b32 exec_lo, exec_lo, s56
	s_wait_dscnt 0x0
	s_barrier_signal -1
	s_barrier_wait -1
	ds_load_b64 v[10:11], v177
	ds_load_b128 v[2:5], v180
	ds_load_b128 v[6:9], v180 offset:16
	ds_load_b64 v[18:19], v178 offset:528
	ds_load_2addr_b64 v[14:17], v178 offset1:33
	v_mov_b64_e32 v[102:103], 0
	s_wait_dscnt 0x0
	s_barrier_signal -1
	s_barrier_wait -1
	v_fma_f64 v[2:3], v[10:11], v[2:3], 0
	s_delay_alu instid0(VALU_DEP_1) | instskip(NEXT) | instid1(VALU_DEP_1)
	v_fmac_f64_e32 v[2:3], v[14:15], v[4:5]
	v_fmac_f64_e32 v[2:3], v[16:17], v[6:7]
	s_delay_alu instid0(VALU_DEP_1)
	v_fmac_f64_e32 v[2:3], v[18:19], v[8:9]
	ds_store_b64 v181, v[2:3]
	s_wait_dscnt 0x0
	s_barrier_signal -1
	s_barrier_wait -1
	s_and_saveexec_b32 s56, s12
	s_cbranch_execz .LBB98_29
; %bb.28:                               ;   in Loop: Header=BB98_4 Depth=1
	ds_load_2addr_b64 v[2:5], v172 offset1:1
	ds_load_2addr_b64 v[6:9], v172 offset0:2 offset1:3
	s_wait_dscnt 0x1
	v_add_f64_e32 v[2:3], v[2:3], v[4:5]
	s_wait_dscnt 0x0
	s_delay_alu instid0(VALU_DEP_1) | instskip(NEXT) | instid1(VALU_DEP_1)
	v_add_f64_e32 v[2:3], v[2:3], v[6:7]
	v_add_f64_e32 v[10:11], v[2:3], v[8:9]
	ds_load_2addr_b64 v[2:5], v172 offset0:4 offset1:5
	ds_load_2addr_b64 v[6:9], v172 offset0:6 offset1:7
	s_wait_dscnt 0x1
	v_add_f64_e32 v[2:3], v[10:11], v[2:3]
	s_delay_alu instid0(VALU_DEP_1) | instskip(SKIP_1) | instid1(VALU_DEP_1)
	v_add_f64_e32 v[2:3], v[2:3], v[4:5]
	s_wait_dscnt 0x0
	v_add_f64_e32 v[2:3], v[2:3], v[6:7]
	s_delay_alu instid0(VALU_DEP_1)
	v_add_f64_e32 v[102:103], v[2:3], v[8:9]
.LBB98_29:                              ;   in Loop: Header=BB98_4 Depth=1
	s_or_b32 exec_lo, exec_lo, s56
	v_lshl_add_u64 v[4:5], s[46:47], 3, v[0:1]
	s_and_b32 vcc_lo, exec_lo, s61
	s_mov_b32 s56, -1
	s_barrier_signal -1
	s_delay_alu instid0(VALU_DEP_1)
	v_add_nc_u64_e32 v[2:3], 0x100, v[4:5]
	s_barrier_wait -1
                                        ; implicit-def: $vgpr0_vgpr1
	s_cbranch_vccz .LBB98_39
; %bb.30:                               ;   in Loop: Header=BB98_4 Depth=1
	v_lshl_add_u64 v[0:1], v[100:101], 3, v[4:5]
	v_mov_b64_e32 v[8:9], 0
	v_mov_b64_e32 v[6:7], 0
	s_delay_alu instid0(VALU_DEP_3) | instskip(NEXT) | instid1(VALU_DEP_1)
	v_lshl_add_u64 v[0:1], s[18:19], 3, v[0:1]
	v_add_nc_u64_e32 v[0:1], -8, v[0:1]
	s_delay_alu instid0(VALU_DEP_1)
	v_dual_cndmask_b32 v1, v1, v3, s10 :: v_dual_cndmask_b32 v0, v0, v2, s10
	s_and_saveexec_b32 s56, s16
	s_cbranch_execz .LBB98_32
; %bb.31:                               ;   in Loop: Header=BB98_4 Depth=1
	global_load_b64 v[6:7], v[0:1], off
.LBB98_32:                              ;   in Loop: Header=BB98_4 Depth=1
	s_wait_xcnt 0x0
	s_or_b32 exec_lo, exec_lo, s56
	s_wait_loadcnt 0x0
	ds_store_b64 v176, v[6:7]
	s_and_saveexec_b32 s56, s11
	s_cbranch_execz .LBB98_34
; %bb.33:                               ;   in Loop: Header=BB98_4 Depth=1
	v_add_nc_u64_e32 v[6:7], s[24:25], v[0:1]
	global_load_b64 v[8:9], v[6:7], off
.LBB98_34:                              ;   in Loop: Header=BB98_4 Depth=1
	s_wait_xcnt 0x0
	s_or_b32 exec_lo, exec_lo, s56
	v_mov_b64_e32 v[6:7], 0
	v_mov_b64_e32 v[10:11], 0
	s_wait_loadcnt 0x0
	ds_store_b64 v176, v[8:9] offset:2112
	s_and_saveexec_b32 s56, s13
	s_cbranch_execz .LBB98_36
; %bb.35:                               ;   in Loop: Header=BB98_4 Depth=1
	v_add_nc_u64_e32 v[8:9], s[42:43], v[0:1]
	global_load_b64 v[10:11], v[8:9], off
.LBB98_36:                              ;   in Loop: Header=BB98_4 Depth=1
	s_wait_xcnt 0x0
	s_or_b32 exec_lo, exec_lo, s56
	s_wait_loadcnt 0x0
	ds_store_b64 v176, v[10:11] offset:4224
	s_and_saveexec_b32 s56, s14
	s_cbranch_execz .LBB98_38
; %bb.37:                               ;   in Loop: Header=BB98_4 Depth=1
	v_add_nc_u64_e32 v[6:7], s[44:45], v[0:1]
	global_load_b64 v[6:7], v[6:7], off
.LBB98_38:                              ;   in Loop: Header=BB98_4 Depth=1
	s_wait_xcnt 0x0
	s_or_b32 exec_lo, exec_lo, s56
	v_lshlrev_b32_e32 v58, 3, v56
	s_mov_b32 s56, 0
	s_wait_loadcnt 0x0
	ds_store_b64 v176, v[6:7] offset:6336
	v_add_nc_u64_e32 v[0:1], v[0:1], v[58:59]
	s_delay_alu instid0(VALU_DEP_1) | instskip(NEXT) | instid1(VALU_DEP_1)
	v_lshl_add_u64 v[0:1], s[54:55], 3, v[0:1]
	v_add_nc_u64_e32 v[0:1], 0x108, v[0:1]
	s_delay_alu instid0(VALU_DEP_1)
	v_dual_cndmask_b32 v1, v1, v3, s10 :: v_dual_cndmask_b32 v0, v0, v2, s10
.LBB98_39:                              ;   in Loop: Header=BB98_4 Depth=1
	s_and_b32 vcc_lo, exec_lo, s56
	s_cbranch_vccz .LBB98_41
; %bb.40:                               ;   in Loop: Header=BB98_4 Depth=1
	v_add_nc_u64_e32 v[0:1], s[24:25], v[4:5]
	s_delay_alu instid0(VALU_DEP_1) | instskip(NEXT) | instid1(VALU_DEP_1)
	v_add_nc_u64_e32 v[6:7], s[24:25], v[0:1]
	v_add_nc_u64_e32 v[8:9], s[24:25], v[6:7]
	s_clause 0x3
	global_load_b64 v[4:5], v[4:5], off offset:256
	global_load_b64 v[10:11], v[0:1], off offset:256
	global_load_b64 v[6:7], v[6:7], off offset:256
	global_load_b64 v[8:9], v[8:9], off offset:256
	s_wait_xcnt 0x2
	v_mov_b64_e32 v[0:1], v[2:3]
	s_wait_loadcnt 0x3
	ds_store_b64 v176, v[4:5]
	s_wait_loadcnt 0x2
	ds_store_b64 v176, v[10:11] offset:2112
	s_wait_loadcnt 0x1
	ds_store_b64 v176, v[6:7] offset:4224
	;; [unrolled: 2-line block ×3, first 2 shown]
.LBB98_41:                              ;   in Loop: Header=BB98_4 Depth=1
	s_wait_dscnt 0x0
	s_barrier_signal -1
	s_barrier_wait -1
	s_wait_xcnt 0x0
	s_and_saveexec_b32 s56, s8
	s_cbranch_execnz .LBB98_126
; %bb.42:                               ;   in Loop: Header=BB98_4 Depth=1
	s_or_b32 exec_lo, exec_lo, s56
	s_and_saveexec_b32 s56, s9
	s_cbranch_execnz .LBB98_127
.LBB98_43:                              ;   in Loop: Header=BB98_4 Depth=1
	s_or_b32 exec_lo, exec_lo, s56
	s_and_saveexec_b32 s56, s6
	s_cbranch_execnz .LBB98_128
.LBB98_44:                              ;   in Loop: Header=BB98_4 Depth=1
	s_or_b32 exec_lo, exec_lo, s56
	s_and_saveexec_b32 s56, s7
	s_cbranch_execz .LBB98_46
.LBB98_45:                              ;   in Loop: Header=BB98_4 Depth=1
	ds_load_b64 v[2:3], v178 offset:528
	s_wait_dscnt 0x0
	ds_store_b64 v179, v[2:3] offset:24
.LBB98_46:                              ;   in Loop: Header=BB98_4 Depth=1
	s_or_b32 exec_lo, exec_lo, s56
	s_wait_dscnt 0x0
	s_barrier_signal -1
	s_barrier_wait -1
	ds_load_b64 v[10:11], v177
	ds_load_b128 v[2:5], v180 offset:256
	ds_load_b128 v[6:9], v180 offset:272
	ds_load_b64 v[18:19], v178 offset:528
	ds_load_2addr_b64 v[14:17], v178 offset1:33
	s_wait_dscnt 0x0
	s_barrier_signal -1
	s_barrier_wait -1
	v_fma_f64 v[2:3], v[10:11], v[2:3], 0
	s_delay_alu instid0(VALU_DEP_1) | instskip(NEXT) | instid1(VALU_DEP_1)
	v_fmac_f64_e32 v[2:3], v[14:15], v[4:5]
	v_fmac_f64_e32 v[2:3], v[16:17], v[6:7]
	s_delay_alu instid0(VALU_DEP_1)
	v_fmac_f64_e32 v[2:3], v[18:19], v[8:9]
	ds_store_b64 v181, v[2:3]
	s_wait_dscnt 0x0
	s_barrier_signal -1
	s_barrier_wait -1
	s_and_saveexec_b32 s56, s17
	s_cbranch_execz .LBB98_48
; %bb.47:                               ;   in Loop: Header=BB98_4 Depth=1
	ds_load_2addr_b64 v[2:5], v172 offset1:1
	ds_load_2addr_b64 v[6:9], v172 offset0:2 offset1:3
	s_wait_dscnt 0x1
	v_add_f64_e32 v[2:3], v[2:3], v[4:5]
	s_wait_dscnt 0x0
	s_delay_alu instid0(VALU_DEP_1) | instskip(NEXT) | instid1(VALU_DEP_1)
	v_add_f64_e32 v[2:3], v[2:3], v[6:7]
	v_add_f64_e32 v[10:11], v[2:3], v[8:9]
	ds_load_2addr_b64 v[2:5], v172 offset0:4 offset1:5
	ds_load_2addr_b64 v[6:9], v172 offset0:6 offset1:7
	s_wait_dscnt 0x1
	v_add_f64_e32 v[2:3], v[10:11], v[2:3]
	s_delay_alu instid0(VALU_DEP_1) | instskip(SKIP_1) | instid1(VALU_DEP_1)
	v_add_f64_e32 v[2:3], v[2:3], v[4:5]
	s_wait_dscnt 0x0
	v_add_f64_e32 v[2:3], v[2:3], v[6:7]
	s_delay_alu instid0(VALU_DEP_1)
	v_add_f64_e32 v[102:103], v[2:3], v[8:9]
.LBB98_48:                              ;   in Loop: Header=BB98_4 Depth=1
	s_or_b32 exec_lo, exec_lo, s56
	v_add_nc_u64_e32 v[2:3], s[50:51], v[0:1]
	s_and_b32 vcc_lo, exec_lo, s61
	s_mov_b32 s56, -1
	s_barrier_signal -1
	s_barrier_wait -1
                                        ; implicit-def: $vgpr14_vgpr15
	s_cbranch_vccz .LBB98_58
; %bb.49:                               ;   in Loop: Header=BB98_4 Depth=1
	v_lshl_add_u64 v[4:5], v[100:101], 3, v[0:1]
	v_mov_b64_e32 v[8:9], 0
	v_mov_b64_e32 v[6:7], 0
	s_delay_alu instid0(VALU_DEP_3) | instskip(NEXT) | instid1(VALU_DEP_1)
	v_lshl_add_u64 v[4:5], s[18:19], 3, v[4:5]
	v_add_nc_u64_e32 v[4:5], s[52:53], v[4:5]
	s_delay_alu instid0(VALU_DEP_1)
	v_dual_cndmask_b32 v5, v5, v3, s1 :: v_dual_cndmask_b32 v4, v4, v2, s1
	s_and_saveexec_b32 s56, s16
	s_cbranch_execz .LBB98_51
; %bb.50:                               ;   in Loop: Header=BB98_4 Depth=1
	global_load_b64 v[6:7], v[4:5], off
.LBB98_51:                              ;   in Loop: Header=BB98_4 Depth=1
	s_wait_xcnt 0x0
	s_or_b32 exec_lo, exec_lo, s56
	s_wait_loadcnt 0x0
	ds_store_b64 v176, v[6:7]
	s_and_saveexec_b32 s56, s11
	s_cbranch_execz .LBB98_53
; %bb.52:                               ;   in Loop: Header=BB98_4 Depth=1
	v_add_nc_u64_e32 v[6:7], s[24:25], v[4:5]
	global_load_b64 v[8:9], v[6:7], off
.LBB98_53:                              ;   in Loop: Header=BB98_4 Depth=1
	s_wait_xcnt 0x0
	s_or_b32 exec_lo, exec_lo, s56
	v_mov_b64_e32 v[6:7], 0
	v_mov_b64_e32 v[10:11], 0
	s_wait_loadcnt 0x0
	ds_store_b64 v176, v[8:9] offset:2112
	s_and_saveexec_b32 s56, s13
	s_cbranch_execz .LBB98_55
; %bb.54:                               ;   in Loop: Header=BB98_4 Depth=1
	v_add_nc_u64_e32 v[8:9], s[42:43], v[4:5]
	global_load_b64 v[10:11], v[8:9], off
.LBB98_55:                              ;   in Loop: Header=BB98_4 Depth=1
	s_wait_xcnt 0x0
	s_or_b32 exec_lo, exec_lo, s56
	s_wait_loadcnt 0x0
	ds_store_b64 v176, v[10:11] offset:4224
	s_and_saveexec_b32 s56, s14
	s_cbranch_execz .LBB98_57
; %bb.56:                               ;   in Loop: Header=BB98_4 Depth=1
	v_add_nc_u64_e32 v[6:7], s[44:45], v[4:5]
	global_load_b64 v[6:7], v[6:7], off
.LBB98_57:                              ;   in Loop: Header=BB98_4 Depth=1
	s_wait_xcnt 0x0
	s_or_b32 exec_lo, exec_lo, s56
	v_lshlrev_b32_e32 v58, 3, v56
	s_mov_b32 s56, 0
	s_wait_loadcnt 0x0
	ds_store_b64 v176, v[6:7] offset:6336
	v_add_nc_u64_e32 v[4:5], v[4:5], v[58:59]
	s_delay_alu instid0(VALU_DEP_1) | instskip(NEXT) | instid1(VALU_DEP_1)
	v_lshl_add_u64 v[4:5], s[54:55], 3, v[4:5]
	v_add_nc_u64_e32 v[4:5], 8, v[4:5]
	s_delay_alu instid0(VALU_DEP_1)
	v_dual_cndmask_b32 v15, v5, v3, s1 :: v_dual_cndmask_b32 v14, v4, v2, s1
.LBB98_58:                              ;   in Loop: Header=BB98_4 Depth=1
	s_and_b32 vcc_lo, exec_lo, s56
	s_cbranch_vccz .LBB98_60
; %bb.59:                               ;   in Loop: Header=BB98_4 Depth=1
	v_add_nc_u64_e32 v[4:5], s[24:25], v[0:1]
	v_mov_b64_e32 v[14:15], v[2:3]
	s_delay_alu instid0(VALU_DEP_2) | instskip(NEXT) | instid1(VALU_DEP_1)
	v_add_nc_u64_e32 v[6:7], s[24:25], v[4:5]
	v_add_nc_u64_e32 v[8:9], s[24:25], v[6:7]
	s_clause 0x3
	global_load_b64 v[0:1], v[0:1], off offset:-256
	global_load_b64 v[4:5], v[4:5], off offset:-256
	;; [unrolled: 1-line block ×4, first 2 shown]
	s_wait_loadcnt 0x3
	ds_store_b64 v176, v[0:1]
	s_wait_loadcnt 0x2
	ds_store_b64 v176, v[4:5] offset:2112
	s_wait_loadcnt 0x1
	ds_store_b64 v176, v[6:7] offset:4224
	;; [unrolled: 2-line block ×3, first 2 shown]
.LBB98_60:                              ;   in Loop: Header=BB98_4 Depth=1
	s_wait_xcnt 0x3
	v_dual_add_nc_u32 v0, v179, v182 :: v_dual_add_nc_u32 v2, v180, v182
	s_wait_dscnt 0x0
	s_barrier_signal -1
	s_barrier_wait -1
	ds_load_b64 v[0:1], v0
	ds_load_b64 v[2:3], v2
	s_wait_xcnt 0x0
	ds_load_b64 v[8:9], v187 offset:192
	s_wait_dscnt 0x1
	v_fma_f64 v[20:21], v[0:1], v[2:3], 0
	ds_load_2addr_b64 v[0:3], v186 offset0:8 offset1:16
	ds_load_2addr_b64 v[4:7], v187 offset0:8 offset1:16
	s_wait_dscnt 0x0
	v_fmac_f64_e32 v[20:21], v[0:1], v[4:5]
	ds_load_b64 v[0:1], v186 offset:192
	v_fmac_f64_e32 v[20:21], v[2:3], v[6:7]
	s_wait_dscnt 0x0
	s_delay_alu instid0(VALU_DEP_1)
	v_fmac_f64_e32 v[20:21], v[0:1], v[8:9]
	ds_load_b128 v[8:11], v180 offset:256
	ds_load_b128 v[0:3], v180 offset:272
	ds_load_2addr_b64 v[4:7], v178 offset1:33
	ds_load_b64 v[18:19], v177
	ds_load_b64 v[16:17], v178 offset:528
	s_wait_dscnt 0x0
	s_barrier_signal -1
	s_barrier_wait -1
	ds_store_b64 v181, v[20:21]
	s_wait_dscnt 0x0
	s_barrier_signal -1
	s_barrier_wait -1
	s_and_saveexec_b32 s56, s17
	s_cbranch_execz .LBB98_62
; %bb.61:                               ;   in Loop: Header=BB98_4 Depth=1
	ds_load_2addr_b64 v[20:23], v172 offset1:1
	s_wait_dscnt 0x0
	v_add_f64_e32 v[20:21], v[102:103], v[20:21]
	s_delay_alu instid0(VALU_DEP_1) | instskip(SKIP_3) | instid1(VALU_DEP_1)
	v_add_f64_e32 v[24:25], v[20:21], v[22:23]
	ds_load_2addr_b64 v[20:23], v172 offset0:2 offset1:3
	s_wait_dscnt 0x0
	v_add_f64_e32 v[20:21], v[24:25], v[20:21]
	v_add_f64_e32 v[24:25], v[20:21], v[22:23]
	ds_load_2addr_b64 v[20:23], v172 offset0:4 offset1:5
	s_wait_dscnt 0x0
	v_add_f64_e32 v[20:21], v[24:25], v[20:21]
	s_delay_alu instid0(VALU_DEP_1) | instskip(SKIP_3) | instid1(VALU_DEP_1)
	v_add_f64_e32 v[24:25], v[20:21], v[22:23]
	ds_load_2addr_b64 v[20:23], v172 offset0:6 offset1:7
	s_wait_dscnt 0x0
	v_add_f64_e32 v[20:21], v[24:25], v[20:21]
	v_add_f64_e32 v[102:103], v[20:21], v[22:23]
.LBB98_62:                              ;   in Loop: Header=BB98_4 Depth=1
	s_or_b32 exec_lo, exec_lo, s56
	v_fma_f64 v[8:9], v[18:19], v[8:9], 0
	s_barrier_signal -1
	s_barrier_wait -1
	s_delay_alu instid0(VALU_DEP_1) | instskip(NEXT) | instid1(VALU_DEP_1)
	v_fmac_f64_e32 v[8:9], v[4:5], v[10:11]
	v_fmac_f64_e32 v[8:9], v[6:7], v[0:1]
	s_delay_alu instid0(VALU_DEP_1)
	v_fmac_f64_e32 v[8:9], v[16:17], v[2:3]
	ds_store_b64 v181, v[8:9]
	s_wait_dscnt 0x0
	s_barrier_signal -1
	s_barrier_wait -1
	s_and_saveexec_b32 s56, s12
	s_cbranch_execz .LBB98_64
; %bb.63:                               ;   in Loop: Header=BB98_4 Depth=1
	ds_load_2addr_b64 v[0:3], v172 offset1:1
	ds_load_2addr_b64 v[4:7], v172 offset0:2 offset1:3
	s_wait_dscnt 0x1
	v_add_f64_e32 v[0:1], v[102:103], v[0:1]
	s_delay_alu instid0(VALU_DEP_1) | instskip(SKIP_1) | instid1(VALU_DEP_1)
	v_add_f64_e32 v[0:1], v[0:1], v[2:3]
	s_wait_dscnt 0x0
	v_add_f64_e32 v[0:1], v[0:1], v[4:5]
	s_delay_alu instid0(VALU_DEP_1) | instskip(SKIP_4) | instid1(VALU_DEP_1)
	v_add_f64_e32 v[8:9], v[0:1], v[6:7]
	ds_load_2addr_b64 v[0:3], v172 offset0:4 offset1:5
	ds_load_2addr_b64 v[4:7], v172 offset0:6 offset1:7
	s_wait_dscnt 0x1
	v_add_f64_e32 v[0:1], v[8:9], v[0:1]
	v_add_f64_e32 v[0:1], v[0:1], v[2:3]
	s_wait_dscnt 0x0
	s_delay_alu instid0(VALU_DEP_1) | instskip(NEXT) | instid1(VALU_DEP_1)
	v_add_f64_e32 v[0:1], v[0:1], v[4:5]
	v_add_f64_e32 v[102:103], v[0:1], v[6:7]
.LBB98_64:                              ;   in Loop: Header=BB98_4 Depth=1
	s_or_b32 exec_lo, exec_lo, s56
	s_mul_u64 s[56:57], s[40:41], s[34:35]
	s_and_not1_b32 vcc_lo, exec_lo, s62
	s_lshl_b64 s[56:57], s[56:57], 3
	s_delay_alu instid0(SALU_CYCLE_1)
	s_add_nc_u64 s[56:57], s[26:27], s[56:57]
	s_barrier_signal -1
	s_barrier_wait -1
	s_cbranch_vccnz .LBB98_121
; %bb.65:                               ;   in Loop: Header=BB98_4 Depth=1
	v_add_nc_u64_e32 v[104:105], v[14:15], v[68:69]
	v_add_nc_u64_e32 v[106:107], v[14:15], v[70:71]
	;; [unrolled: 1-line block ×16, first 2 shown]
	v_lshl_add_u64 v[136:137], s[48:49], 3, v[12:13]
	s_mov_b32 s58, s65
	s_mov_b32 s66, s38
	s_delay_alu instid0(SALU_CYCLE_1)
	s_cmp_eq_u32 s63, s66
	s_cselect_b32 s67, s37, 0
	s_and_saveexec_b32 s68, s0
	s_cbranch_execz .LBB98_69
.LBB98_66:                              ;   in Loop: Header=BB98_4 Depth=1
	v_cmp_gt_i32_e32 vcc_lo, s67, v170
	v_mov_b64_e32 v[0:1], 0
	s_cmp_eq_u32 s67, 0
	s_cselect_b32 s59, -1, 0
	s_delay_alu instid0(SALU_CYCLE_1) | instskip(NEXT) | instid1(SALU_CYCLE_1)
	s_or_b32 s59, s59, vcc_lo
	s_and_saveexec_b32 s69, s59
	s_cbranch_execz .LBB98_68
; %bb.67:                               ;   in Loop: Header=BB98_4 Depth=1
	s_ashr_i32 s59, s58, 31
	s_delay_alu instid0(SALU_CYCLE_1) | instskip(NEXT) | instid1(SALU_CYCLE_1)
	s_mul_u64 s[70:71], s[28:29], s[58:59]
	v_lshl_add_u64 v[0:1], s[70:71], 3, v[136:137]
	global_load_b64 v[0:1], v[0:1], off
.LBB98_68:                              ;   in Loop: Header=BB98_4 Depth=1
	s_wait_xcnt 0x0
	s_or_b32 exec_lo, exec_lo, s69
	s_wait_loadcnt 0x0
	ds_store_b64 v190, v[0:1]
.LBB98_69:                              ;   Parent Loop BB98_4 Depth=1
                                        ; =>  This Inner Loop Header: Depth=2
	s_or_b32 exec_lo, exec_lo, s68
	s_cmp_eq_u32 s67, 0
	v_add_nc_u64_e32 v[0:1], v[104:105], v[60:61]
	s_cselect_b32 s59, -1, 0
	s_cmp_lg_u32 s67, 0
	s_mov_b32 s69, -1
	s_cselect_b32 s68, -1, 0
	s_wait_dscnt 0x0
	s_and_b32 vcc_lo, exec_lo, s68
	s_barrier_signal -1
	s_barrier_wait -1
                                        ; implicit-def: $vgpr142_vgpr143
                                        ; implicit-def: $vgpr144_vgpr145
                                        ; implicit-def: $vgpr138_vgpr139
                                        ; implicit-def: $vgpr140_vgpr141
	s_cbranch_vccz .LBB98_79
; %bb.70:                               ;   in Loop: Header=BB98_69 Depth=2
	v_mov_b64_e32 v[138:139], 0
	v_mov_b64_e32 v[140:141], 0
	s_mov_b32 s69, exec_lo
	v_cmpx_gt_i32_e64 s67, v183
	s_cbranch_execz .LBB98_72
; %bb.71:                               ;   in Loop: Header=BB98_69 Depth=2
	global_load_b64 v[140:141], v[0:1], off
.LBB98_72:                              ;   in Loop: Header=BB98_69 Depth=2
	s_wait_xcnt 0x0
	s_or_b32 exec_lo, exec_lo, s69
	s_delay_alu instid0(SALU_CYCLE_1)
	s_mov_b32 s69, exec_lo
	v_cmpx_gt_i32_e64 s67, v192
	s_cbranch_execz .LBB98_74
; %bb.73:                               ;   in Loop: Header=BB98_69 Depth=2
	v_add_nc_u64_e32 v[2:3], v[110:111], v[60:61]
	global_load_b64 v[138:139], v[2:3], off
.LBB98_74:                              ;   in Loop: Header=BB98_69 Depth=2
	s_wait_xcnt 0x0
	s_or_b32 exec_lo, exec_lo, s69
	v_mov_b64_e32 v[142:143], 0
	v_mov_b64_e32 v[144:145], 0
	s_mov_b32 s69, exec_lo
	v_cmpx_gt_i32_e64 s67, v193
	s_cbranch_execz .LBB98_76
; %bb.75:                               ;   in Loop: Header=BB98_69 Depth=2
	v_add_nc_u64_e32 v[2:3], v[106:107], v[60:61]
	global_load_b64 v[144:145], v[2:3], off
.LBB98_76:                              ;   in Loop: Header=BB98_69 Depth=2
	s_wait_xcnt 0x0
	s_or_b32 exec_lo, exec_lo, s69
	s_delay_alu instid0(SALU_CYCLE_1)
	s_mov_b32 s69, exec_lo
	v_cmpx_gt_i32_e64 s67, v194
	s_cbranch_execz .LBB98_78
; %bb.77:                               ;   in Loop: Header=BB98_69 Depth=2
	v_add_nc_u64_e32 v[2:3], v[108:109], v[60:61]
	global_load_b64 v[142:143], v[2:3], off
.LBB98_78:                              ;   in Loop: Header=BB98_69 Depth=2
	s_wait_xcnt 0x0
	s_or_b32 exec_lo, exec_lo, s69
	s_mov_b32 s69, 0
.LBB98_79:                              ;   in Loop: Header=BB98_69 Depth=2
	s_delay_alu instid0(SALU_CYCLE_1)
	s_and_b32 vcc_lo, exec_lo, s69
	s_cbranch_vccz .LBB98_81
; %bb.80:                               ;   in Loop: Header=BB98_69 Depth=2
	v_add_nc_u64_e32 v[2:3], v[110:111], v[60:61]
	v_add_nc_u64_e32 v[4:5], v[106:107], v[60:61]
	;; [unrolled: 1-line block ×3, first 2 shown]
	s_wait_loadcnt 0x0
	global_load_b64 v[140:141], v[0:1], off
	global_load_b64 v[138:139], v[2:3], off
	;; [unrolled: 1-line block ×4, first 2 shown]
.LBB98_81:                              ;   in Loop: Header=BB98_69 Depth=2
	s_wait_xcnt 0x1
	ds_load_b64 v[4:5], v189
	ds_load_b128 v[0:3], v191
	v_cndmask_b32_e64 v44, 0, 1, s68
	s_and_not1_b32 vcc_lo, exec_lo, s68
	s_mov_b32 s68, -1
                                        ; implicit-def: $vgpr150_vgpr151
                                        ; implicit-def: $vgpr152_vgpr153
                                        ; implicit-def: $vgpr146_vgpr147
                                        ; implicit-def: $vgpr148_vgpr149
	s_wait_loadcnt_dscnt 0x1
	v_mul_f64_e32 v[8:9], v[140:141], v[4:5]
	v_mul_f64_e32 v[10:11], v[138:139], v[4:5]
	;; [unrolled: 1-line block ×4, first 2 shown]
	s_wait_xcnt 0x0
	ds_load_b128 v[4:7], v191 offset:16
	ds_store_2addr_b64 v184, v[8:9], v[10:11] offset1:67
	ds_store_2addr_b64 v184, v[12:13], v[14:15] offset0:134 offset1:201
	s_wait_dscnt 0x0
	s_barrier_signal -1
	s_barrier_wait -1
	ds_load_2addr_b64 v[20:23], v173 offset1:1
	ds_load_2addr_b64 v[8:11], v173 offset0:2 offset1:3
	v_add_nc_u64_e32 v[12:13], v[112:113], v[60:61]
	s_wait_dscnt 0x0
	s_barrier_signal -1
	s_barrier_wait -1
	s_cbranch_vccnz .LBB98_91
; %bb.82:                               ;   in Loop: Header=BB98_69 Depth=2
	v_mov_b64_e32 v[146:147], 0
	v_mov_b64_e32 v[148:149], 0
	s_mov_b32 s68, exec_lo
	v_cmpx_gt_i32_e64 s67, v195
	s_cbranch_execz .LBB98_84
; %bb.83:                               ;   in Loop: Header=BB98_69 Depth=2
	global_load_b64 v[148:149], v[12:13], off
.LBB98_84:                              ;   in Loop: Header=BB98_69 Depth=2
	s_wait_xcnt 0x0
	s_or_b32 exec_lo, exec_lo, s68
	s_delay_alu instid0(SALU_CYCLE_1)
	s_mov_b32 s68, exec_lo
	v_cmpx_gt_i32_e64 s67, v196
	s_cbranch_execz .LBB98_86
; %bb.85:                               ;   in Loop: Header=BB98_69 Depth=2
	v_add_nc_u64_e32 v[14:15], v[114:115], v[60:61]
	global_load_b64 v[146:147], v[14:15], off
.LBB98_86:                              ;   in Loop: Header=BB98_69 Depth=2
	s_wait_xcnt 0x0
	s_or_b32 exec_lo, exec_lo, s68
	v_mov_b64_e32 v[150:151], 0
	v_mov_b64_e32 v[152:153], 0
	s_mov_b32 s68, exec_lo
	v_cmpx_gt_i32_e64 s67, v197
	s_cbranch_execz .LBB98_88
; %bb.87:                               ;   in Loop: Header=BB98_69 Depth=2
	v_add_nc_u64_e32 v[14:15], v[116:117], v[60:61]
	global_load_b64 v[152:153], v[14:15], off
.LBB98_88:                              ;   in Loop: Header=BB98_69 Depth=2
	s_wait_xcnt 0x0
	s_or_b32 exec_lo, exec_lo, s68
	s_delay_alu instid0(SALU_CYCLE_1)
	s_mov_b32 s68, exec_lo
	v_cmpx_gt_i32_e64 s67, v198
	s_cbranch_execz .LBB98_90
; %bb.89:                               ;   in Loop: Header=BB98_69 Depth=2
	v_add_nc_u64_e32 v[14:15], v[118:119], v[60:61]
	global_load_b64 v[150:151], v[14:15], off
.LBB98_90:                              ;   in Loop: Header=BB98_69 Depth=2
	s_wait_xcnt 0x0
	s_or_b32 exec_lo, exec_lo, s68
	s_mov_b32 s68, 0
.LBB98_91:                              ;   in Loop: Header=BB98_69 Depth=2
	s_delay_alu instid0(SALU_CYCLE_1)
	s_and_b32 vcc_lo, exec_lo, s68
	s_cbranch_vccz .LBB98_93
; %bb.92:                               ;   in Loop: Header=BB98_69 Depth=2
	v_add_nc_u64_e32 v[14:15], v[114:115], v[60:61]
	v_add_nc_u64_e32 v[16:17], v[116:117], v[60:61]
	;; [unrolled: 1-line block ×3, first 2 shown]
	s_wait_loadcnt 0x0
	global_load_b64 v[148:149], v[12:13], off
	global_load_b64 v[146:147], v[14:15], off
	;; [unrolled: 1-line block ×4, first 2 shown]
.LBB98_93:                              ;   in Loop: Header=BB98_69 Depth=2
	s_wait_xcnt 0x1
	ds_load_b64 v[16:17], v189
	ds_load_b128 v[12:15], v191 offset:128
	v_cmp_ne_u32_e32 vcc_lo, 1, v44
	s_mov_b32 s68, -1
                                        ; implicit-def: $vgpr158_vgpr159
                                        ; implicit-def: $vgpr160_vgpr161
                                        ; implicit-def: $vgpr154_vgpr155
                                        ; implicit-def: $vgpr156_vgpr157
	s_and_b32 vcc_lo, exec_lo, vcc_lo
	s_wait_loadcnt_dscnt 0x1
	v_mul_f64_e32 v[24:25], v[148:149], v[16:17]
	v_mul_f64_e32 v[26:27], v[146:147], v[16:17]
	;; [unrolled: 1-line block ×4, first 2 shown]
	s_wait_xcnt 0x0
	ds_load_b128 v[16:19], v191 offset:144
	ds_store_2addr_b64 v184, v[24:25], v[26:27] offset1:67
	ds_store_2addr_b64 v184, v[28:29], v[30:31] offset0:134 offset1:201
	s_wait_dscnt 0x0
	s_barrier_signal -1
	s_barrier_wait -1
	ds_load_2addr_b64 v[36:39], v173 offset1:1
	ds_load_2addr_b64 v[32:35], v173 offset0:2 offset1:3
	v_add_nc_u64_e32 v[24:25], v[120:121], v[60:61]
	s_wait_dscnt 0x0
	s_barrier_signal -1
	s_barrier_wait -1
	s_cbranch_vccnz .LBB98_103
; %bb.94:                               ;   in Loop: Header=BB98_69 Depth=2
	v_mov_b64_e32 v[154:155], 0
	v_mov_b64_e32 v[156:157], 0
	s_mov_b32 s68, exec_lo
	v_cmpx_gt_i32_e64 s67, v199
	s_cbranch_execz .LBB98_96
; %bb.95:                               ;   in Loop: Header=BB98_69 Depth=2
	global_load_b64 v[156:157], v[24:25], off
.LBB98_96:                              ;   in Loop: Header=BB98_69 Depth=2
	s_wait_xcnt 0x0
	s_or_b32 exec_lo, exec_lo, s68
	s_delay_alu instid0(SALU_CYCLE_1)
	s_mov_b32 s68, exec_lo
	v_cmpx_gt_i32_e64 s67, v200
	s_cbranch_execz .LBB98_98
; %bb.97:                               ;   in Loop: Header=BB98_69 Depth=2
	v_add_nc_u64_e32 v[26:27], v[122:123], v[60:61]
	global_load_b64 v[154:155], v[26:27], off
.LBB98_98:                              ;   in Loop: Header=BB98_69 Depth=2
	s_wait_xcnt 0x0
	s_or_b32 exec_lo, exec_lo, s68
	v_mov_b64_e32 v[158:159], 0
	v_mov_b64_e32 v[160:161], 0
	s_mov_b32 s68, exec_lo
	v_cmpx_gt_i32_e64 s67, v201
	s_cbranch_execz .LBB98_100
; %bb.99:                               ;   in Loop: Header=BB98_69 Depth=2
	v_add_nc_u64_e32 v[26:27], v[124:125], v[60:61]
	global_load_b64 v[160:161], v[26:27], off
.LBB98_100:                             ;   in Loop: Header=BB98_69 Depth=2
	s_wait_xcnt 0x0
	s_or_b32 exec_lo, exec_lo, s68
	s_delay_alu instid0(SALU_CYCLE_1)
	s_mov_b32 s68, exec_lo
	v_cmpx_gt_i32_e64 s67, v202
	s_cbranch_execz .LBB98_102
; %bb.101:                              ;   in Loop: Header=BB98_69 Depth=2
	v_add_nc_u64_e32 v[26:27], v[126:127], v[60:61]
	global_load_b64 v[158:159], v[26:27], off
.LBB98_102:                             ;   in Loop: Header=BB98_69 Depth=2
	s_wait_xcnt 0x0
	s_or_b32 exec_lo, exec_lo, s68
	s_mov_b32 s68, 0
.LBB98_103:                             ;   in Loop: Header=BB98_69 Depth=2
	s_delay_alu instid0(SALU_CYCLE_1)
	s_and_b32 vcc_lo, exec_lo, s68
	s_cbranch_vccz .LBB98_105
; %bb.104:                              ;   in Loop: Header=BB98_69 Depth=2
	v_add_nc_u64_e32 v[26:27], v[122:123], v[60:61]
	v_add_nc_u64_e32 v[28:29], v[124:125], v[60:61]
	;; [unrolled: 1-line block ×3, first 2 shown]
	s_wait_loadcnt 0x0
	global_load_b64 v[156:157], v[24:25], off
	global_load_b64 v[154:155], v[26:27], off
	;; [unrolled: 1-line block ×4, first 2 shown]
.LBB98_105:                             ;   in Loop: Header=BB98_69 Depth=2
	s_wait_xcnt 0x3
	ds_load_b64 v[24:25], v189
	v_cmp_ne_u32_e32 vcc_lo, 1, v44
	v_add_nc_u64_e32 v[44:45], v[128:129], v[60:61]
	s_mov_b32 s68, -1
                                        ; implicit-def: $vgpr166_vgpr167
                                        ; implicit-def: $vgpr168_vgpr169
                                        ; implicit-def: $vgpr162_vgpr163
                                        ; implicit-def: $vgpr164_vgpr165
	s_and_b32 vcc_lo, exec_lo, vcc_lo
	s_wait_loadcnt_dscnt 0x0
	v_mul_f64_e32 v[40:41], v[156:157], v[24:25]
	v_mul_f64_e32 v[42:43], v[154:155], v[24:25]
	;; [unrolled: 1-line block ×4, first 2 shown]
	s_wait_xcnt 0x0
	ds_load_b128 v[28:31], v191 offset:256
	ds_load_b128 v[24:27], v191 offset:272
	ds_store_2addr_b64 v184, v[40:41], v[42:43] offset1:67
	ds_store_2addr_b64 v184, v[46:47], v[48:49] offset0:134 offset1:201
	s_wait_dscnt 0x0
	s_barrier_signal -1
	s_barrier_wait -1
	ds_load_2addr_b64 v[48:51], v173 offset1:1
	ds_load_2addr_b64 v[40:43], v173 offset0:2 offset1:3
	s_wait_dscnt 0x0
	s_barrier_signal -1
	s_barrier_wait -1
	s_cbranch_vccnz .LBB98_115
; %bb.106:                              ;   in Loop: Header=BB98_69 Depth=2
	v_mov_b64_e32 v[162:163], 0
	v_mov_b64_e32 v[164:165], 0
	s_mov_b32 s68, exec_lo
	v_cmpx_gt_i32_e64 s67, v203
	s_cbranch_execz .LBB98_108
; %bb.107:                              ;   in Loop: Header=BB98_69 Depth=2
	global_load_b64 v[164:165], v[44:45], off
.LBB98_108:                             ;   in Loop: Header=BB98_69 Depth=2
	s_wait_xcnt 0x0
	s_or_b32 exec_lo, exec_lo, s68
	s_delay_alu instid0(SALU_CYCLE_1)
	s_mov_b32 s68, exec_lo
	v_cmpx_gt_i32_e64 s67, v204
	s_cbranch_execz .LBB98_110
; %bb.109:                              ;   in Loop: Header=BB98_69 Depth=2
	v_add_nc_u64_e32 v[46:47], v[130:131], v[60:61]
	global_load_b64 v[162:163], v[46:47], off
.LBB98_110:                             ;   in Loop: Header=BB98_69 Depth=2
	s_wait_xcnt 0x0
	s_or_b32 exec_lo, exec_lo, s68
	v_mov_b64_e32 v[166:167], 0
	v_mov_b64_e32 v[168:169], 0
	s_mov_b32 s68, exec_lo
	v_cmpx_gt_i32_e64 s67, v205
	s_cbranch_execz .LBB98_112
; %bb.111:                              ;   in Loop: Header=BB98_69 Depth=2
	v_add_nc_u64_e32 v[46:47], v[132:133], v[60:61]
	global_load_b64 v[168:169], v[46:47], off
.LBB98_112:                             ;   in Loop: Header=BB98_69 Depth=2
	s_wait_xcnt 0x0
	s_or_b32 exec_lo, exec_lo, s68
	s_delay_alu instid0(SALU_CYCLE_1)
	s_mov_b32 s68, exec_lo
	v_cmpx_gt_i32_e64 s67, v57
	s_cbranch_execz .LBB98_114
; %bb.113:                              ;   in Loop: Header=BB98_69 Depth=2
	v_add_nc_u64_e32 v[46:47], v[134:135], v[60:61]
	global_load_b64 v[166:167], v[46:47], off
.LBB98_114:                             ;   in Loop: Header=BB98_69 Depth=2
	s_wait_xcnt 0x0
	s_or_b32 exec_lo, exec_lo, s68
	s_mov_b32 s68, 0
.LBB98_115:                             ;   in Loop: Header=BB98_69 Depth=2
	s_delay_alu instid0(SALU_CYCLE_1)
	s_and_b32 vcc_lo, exec_lo, s68
	s_cbranch_vccz .LBB98_117
; %bb.116:                              ;   in Loop: Header=BB98_69 Depth=2
	v_add_nc_u64_e32 v[46:47], v[130:131], v[60:61]
	v_add_nc_u64_e32 v[52:53], v[132:133], v[60:61]
	;; [unrolled: 1-line block ×3, first 2 shown]
	s_wait_loadcnt 0x0
	global_load_b64 v[164:165], v[44:45], off
	global_load_b64 v[162:163], v[46:47], off
	;; [unrolled: 1-line block ×4, first 2 shown]
.LBB98_117:                             ;   in Loop: Header=BB98_69 Depth=2
	s_wait_xcnt 0x1
	ds_load_b64 v[52:53], v189
	ds_load_b128 v[44:47], v191 offset:384
	v_add_f64_e32 v[36:37], 0, v[36:37]
	v_add_f64_e32 v[20:21], 0, v[20:21]
	;; [unrolled: 1-line block ×3, first 2 shown]
	v_cmp_gt_i32_e32 vcc_lo, s67, v170
	s_or_b32 s59, s59, vcc_lo
	s_delay_alu instid0(SALU_CYCLE_1)
	s_and_b32 s67, s15, s59
	s_wait_loadcnt_dscnt 0x1
	v_mul_f64_e32 v[206:207], v[164:165], v[52:53]
	v_mul_f64_e32 v[208:209], v[162:163], v[52:53]
	;; [unrolled: 1-line block ×4, first 2 shown]
	s_wait_xcnt 0x0
	ds_load_b128 v[52:55], v191 offset:400
	ds_store_2addr_b64 v184, v[206:207], v[208:209] offset1:67
	ds_store_2addr_b64 v184, v[210:211], v[212:213] offset0:134 offset1:201
	s_wait_dscnt 0x0
	s_barrier_signal -1
	s_barrier_wait -1
	ds_load_2addr_b64 v[206:209], v173 offset1:1
	ds_load_2addr_b64 v[210:213], v173 offset0:2 offset1:3
	v_add_f64_e32 v[36:37], v[36:37], v[38:39]
	v_add_f64_e32 v[20:21], v[20:21], v[22:23]
	;; [unrolled: 1-line block ×3, first 2 shown]
	s_wait_dscnt 0x0
	s_barrier_signal -1
	s_barrier_wait -1
	v_add_f64_e32 v[206:207], 0, v[206:207]
	s_delay_alu instid0(VALU_DEP_4) | instskip(NEXT) | instid1(VALU_DEP_4)
	v_add_f64_e32 v[32:33], v[36:37], v[32:33]
	v_add_f64_e32 v[8:9], v[20:21], v[8:9]
	s_delay_alu instid0(VALU_DEP_4) | instskip(NEXT) | instid1(VALU_DEP_4)
	v_add_f64_e32 v[38:39], v[48:49], v[40:41]
	;; [unrolled: 3-line block ×3, first 2 shown]
	v_add_f64_e32 v[8:9], v[8:9], v[10:11]
	s_delay_alu instid0(VALU_DEP_3) | instskip(SKIP_1) | instid1(VALU_DEP_2)
	v_add_f64_e32 v[20:21], v[22:23], v[210:211]
	v_add_f64_e32 v[22:23], v[38:39], v[42:43]
	v_add_f64_e32 v[10:11], v[20:21], v[212:213]
	ds_store_2addr_b64 v188, v[8:9], v[32:33] offset1:16
	ds_store_2addr_b64 v188, v[22:23], v[10:11] offset0:32 offset1:48
	s_wait_dscnt 0x0
	s_barrier_signal -1
	s_barrier_wait -1
	s_and_saveexec_b32 s59, s67
	s_cbranch_execz .LBB98_119
; %bb.118:                              ;   in Loop: Header=BB98_69 Depth=2
	ds_load_2addr_b64 v[8:11], v174 offset1:1
	ds_load_2addr_b64 v[20:23], v174 offset0:2 offset1:3
	s_wait_dscnt 0x1
	v_add_f64_e32 v[8:9], v[8:9], v[10:11]
	s_wait_dscnt 0x0
	s_delay_alu instid0(VALU_DEP_1) | instskip(NEXT) | instid1(VALU_DEP_1)
	v_add_f64_e32 v[8:9], v[8:9], v[20:21]
	v_add_f64_e32 v[32:33], v[8:9], v[22:23]
	ds_load_2addr_b64 v[8:11], v174 offset0:4 offset1:5
	ds_load_2addr_b64 v[20:23], v174 offset0:6 offset1:7
	s_wait_dscnt 0x1
	v_add_f64_e32 v[8:9], v[32:33], v[8:9]
	s_delay_alu instid0(VALU_DEP_1) | instskip(SKIP_1) | instid1(VALU_DEP_1)
	v_add_f64_e32 v[8:9], v[8:9], v[10:11]
	s_wait_dscnt 0x0
	v_add_f64_e32 v[8:9], v[8:9], v[20:21]
	s_delay_alu instid0(VALU_DEP_1) | instskip(SKIP_4) | instid1(VALU_DEP_1)
	v_add_f64_e32 v[32:33], v[8:9], v[22:23]
	ds_load_2addr_b64 v[8:11], v174 offset0:8 offset1:9
	ds_load_2addr_b64 v[20:23], v174 offset0:10 offset1:11
	s_wait_dscnt 0x1
	v_add_f64_e32 v[8:9], v[32:33], v[8:9]
	v_add_f64_e32 v[8:9], v[8:9], v[10:11]
	s_wait_dscnt 0x0
	s_delay_alu instid0(VALU_DEP_1) | instskip(NEXT) | instid1(VALU_DEP_1)
	v_add_f64_e32 v[8:9], v[8:9], v[20:21]
	v_add_f64_e32 v[20:21], v[8:9], v[22:23]
	ds_load_2addr_b64 v[8:11], v174 offset0:12 offset1:13
	ds_load_b64 v[22:23], v174 offset:112
	s_wait_dscnt 0x1
	v_add_f64_e32 v[8:9], v[20:21], v[8:9]
	s_delay_alu instid0(VALU_DEP_1) | instskip(SKIP_4) | instid1(VALU_DEP_1)
	v_add_f64_e32 v[8:9], v[8:9], v[10:11]
	ds_load_b64 v[10:11], v175
	s_wait_dscnt 0x1
	v_add_f64_e32 v[8:9], v[8:9], v[22:23]
	s_wait_dscnt 0x0
	v_add_f64_e32 v[8:9], v[8:9], v[10:11]
	v_add_nc_u32_e32 v10, s58, v170
	global_store_b64 v10, v[8:9], s[56:57] scale_offset
.LBB98_119:                             ;   in Loop: Header=BB98_69 Depth=2
	s_wait_xcnt 0x0
	s_or_b32 exec_lo, exec_lo, s59
	v_fmac_f64_e32 v[102:103], v[140:141], v[0:1]
	v_add_nc_u64_e32 v[104:105], s[20:21], v[104:105]
	v_add_nc_u64_e32 v[106:107], s[20:21], v[106:107]
	v_add_nc_u64_e32 v[108:109], s[20:21], v[108:109]
	v_add_nc_u64_e32 v[110:111], s[20:21], v[110:111]
	v_add_nc_u64_e32 v[112:113], s[20:21], v[112:113]
	v_add_nc_u64_e32 v[114:115], s[20:21], v[114:115]
	v_add_nc_u64_e32 v[116:117], s[20:21], v[116:117]
	v_add_nc_u64_e32 v[118:119], s[20:21], v[118:119]
	v_add_nc_u64_e32 v[120:121], s[20:21], v[120:121]
	v_add_nc_u64_e32 v[122:123], s[20:21], v[122:123]
	v_add_nc_u64_e32 v[124:125], s[20:21], v[124:125]
	v_add_nc_u64_e32 v[126:127], s[20:21], v[126:127]
	v_add_nc_u64_e32 v[128:129], s[20:21], v[128:129]
	v_add_nc_u64_e32 v[130:131], s[20:21], v[130:131]
	v_add_nc_u64_e32 v[132:133], s[20:21], v[132:133]
	v_add_nc_u64_e32 v[134:135], s[20:21], v[134:135]
	s_add_co_i32 s59, s66, 1
	s_add_co_i32 s66, s66, 2
	;; [unrolled: 1-line block ×3, first 2 shown]
	s_cmp_ge_u32 s66, s36
	s_wait_storecnt 0x0
	s_barrier_signal -1
	s_barrier_wait -1
	v_fmac_f64_e32 v[102:103], v[138:139], v[2:3]
	s_delay_alu instid0(VALU_DEP_1) | instskip(NEXT) | instid1(VALU_DEP_1)
	v_fmac_f64_e32 v[102:103], v[144:145], v[4:5]
	v_fmac_f64_e32 v[102:103], v[142:143], v[6:7]
	s_delay_alu instid0(VALU_DEP_1) | instskip(NEXT) | instid1(VALU_DEP_1)
	v_fmac_f64_e32 v[102:103], v[148:149], v[12:13]
	;; [unrolled: 3-line block ×7, first 2 shown]
	v_fmac_f64_e32 v[102:103], v[166:167], v[54:55]
	s_cbranch_scc1 .LBB98_121
; %bb.120:                              ;   in Loop: Header=BB98_69 Depth=2
	s_mov_b32 s66, s59
	s_delay_alu instid0(SALU_CYCLE_1)
	s_cmp_eq_u32 s63, s66
	s_cselect_b32 s67, s37, 0
	s_and_saveexec_b32 s68, s0
	s_cbranch_execnz .LBB98_66
	s_branch .LBB98_69
.LBB98_121:                             ;   in Loop: Header=BB98_4 Depth=1
	ds_store_b64 v185, v[102:103]
	s_wait_dscnt 0x0
	s_barrier_signal -1
	s_barrier_wait -1
	s_and_saveexec_b32 s58, s64
	s_cbranch_execz .LBB98_2
; %bb.122:                              ;   in Loop: Header=BB98_4 Depth=1
	ds_load_2addr_b64 v[0:3], v60 offset1:67
	s_wait_dscnt 0x0
	v_add_f64_e32 v[4:5], v[0:1], v[2:3]
	ds_load_2addr_b64 v[0:3], v60 offset0:134 offset1:201
	s_wait_dscnt 0x0
	v_add_f64_e32 v[0:1], v[4:5], v[0:1]
	s_delay_alu instid0(VALU_DEP_1)
	v_add_f64_e32 v[0:1], v[0:1], v[2:3]
	v_lshl_add_u64 v[2:3], v[62:63], 3, s[56:57]
	global_store_b64 v[2:3], v[0:1], off
	s_branch .LBB98_2
.LBB98_123:                             ;   in Loop: Header=BB98_4 Depth=1
	ds_load_b64 v[2:3], v177
	s_wait_dscnt 0x0
	ds_store_b64 v179, v[2:3]
	s_or_b32 exec_lo, exec_lo, s56
	s_and_saveexec_b32 s56, s9
	s_cbranch_execz .LBB98_24
.LBB98_124:                             ;   in Loop: Header=BB98_4 Depth=1
	ds_load_b64 v[2:3], v178
	s_wait_dscnt 0x0
	ds_store_b64 v179, v[2:3] offset:8
	s_or_b32 exec_lo, exec_lo, s56
	s_and_saveexec_b32 s56, s6
	s_cbranch_execz .LBB98_25
.LBB98_125:                             ;   in Loop: Header=BB98_4 Depth=1
	ds_load_b64 v[2:3], v178 offset:264
	s_wait_dscnt 0x0
	ds_store_b64 v179, v[2:3] offset:16
	s_or_b32 exec_lo, exec_lo, s56
	s_and_saveexec_b32 s56, s7
	s_cbranch_execnz .LBB98_26
	s_branch .LBB98_27
.LBB98_126:                             ;   in Loop: Header=BB98_4 Depth=1
	ds_load_b64 v[2:3], v177
	s_wait_dscnt 0x0
	ds_store_b64 v179, v[2:3]
	s_or_b32 exec_lo, exec_lo, s56
	s_and_saveexec_b32 s56, s9
	s_cbranch_execz .LBB98_43
.LBB98_127:                             ;   in Loop: Header=BB98_4 Depth=1
	ds_load_b64 v[2:3], v178
	s_wait_dscnt 0x0
	ds_store_b64 v179, v[2:3] offset:8
	s_or_b32 exec_lo, exec_lo, s56
	s_and_saveexec_b32 s56, s6
	s_cbranch_execz .LBB98_44
.LBB98_128:                             ;   in Loop: Header=BB98_4 Depth=1
	ds_load_b64 v[2:3], v178 offset:264
	s_wait_dscnt 0x0
	ds_store_b64 v179, v[2:3] offset:16
	s_or_b32 exec_lo, exec_lo, s56
	s_and_saveexec_b32 s56, s7
	s_cbranch_execnz .LBB98_45
	s_branch .LBB98_46
.LBB98_129:
	s_sendmsg sendmsg(MSG_DEALLOC_VGPRS)
	s_endpgm
	.section	.rodata,"a",@progbits
	.p2align	6, 0x0
	.amdhsa_kernel _ZL26rocblas_hemvn_kernel_upperILb0ELi64ELi4ELi33ELi32ELi16EldPKdPdEviT6_lT7_lT5_lS4_lS5_lS3_lT8_i
		.amdhsa_group_segment_fixed_size 9600
		.amdhsa_private_segment_fixed_size 0
		.amdhsa_kernarg_size 376
		.amdhsa_user_sgpr_count 2
		.amdhsa_user_sgpr_dispatch_ptr 0
		.amdhsa_user_sgpr_queue_ptr 0
		.amdhsa_user_sgpr_kernarg_segment_ptr 1
		.amdhsa_user_sgpr_dispatch_id 0
		.amdhsa_user_sgpr_kernarg_preload_length 0
		.amdhsa_user_sgpr_kernarg_preload_offset 0
		.amdhsa_user_sgpr_private_segment_size 0
		.amdhsa_wavefront_size32 1
		.amdhsa_uses_dynamic_stack 0
		.amdhsa_enable_private_segment 0
		.amdhsa_system_sgpr_workgroup_id_x 1
		.amdhsa_system_sgpr_workgroup_id_y 0
		.amdhsa_system_sgpr_workgroup_id_z 1
		.amdhsa_system_sgpr_workgroup_info 0
		.amdhsa_system_vgpr_workitem_id 1
		.amdhsa_next_free_vgpr 214
		.amdhsa_next_free_sgpr 72
		.amdhsa_named_barrier_count 0
		.amdhsa_reserve_vcc 1
		.amdhsa_float_round_mode_32 0
		.amdhsa_float_round_mode_16_64 0
		.amdhsa_float_denorm_mode_32 3
		.amdhsa_float_denorm_mode_16_64 3
		.amdhsa_fp16_overflow 0
		.amdhsa_memory_ordered 1
		.amdhsa_forward_progress 1
		.amdhsa_inst_pref_size 51
		.amdhsa_round_robin_scheduling 0
		.amdhsa_exception_fp_ieee_invalid_op 0
		.amdhsa_exception_fp_denorm_src 0
		.amdhsa_exception_fp_ieee_div_zero 0
		.amdhsa_exception_fp_ieee_overflow 0
		.amdhsa_exception_fp_ieee_underflow 0
		.amdhsa_exception_fp_ieee_inexact 0
		.amdhsa_exception_int_div_zero 0
	.end_amdhsa_kernel
	.section	.text._ZL26rocblas_hemvn_kernel_upperILb0ELi64ELi4ELi33ELi32ELi16EldPKdPdEviT6_lT7_lT5_lS4_lS5_lS3_lT8_i,"axG",@progbits,_ZL26rocblas_hemvn_kernel_upperILb0ELi64ELi4ELi33ELi32ELi16EldPKdPdEviT6_lT7_lT5_lS4_lS5_lS3_lT8_i,comdat
.Lfunc_end98:
	.size	_ZL26rocblas_hemvn_kernel_upperILb0ELi64ELi4ELi33ELi32ELi16EldPKdPdEviT6_lT7_lT5_lS4_lS5_lS3_lT8_i, .Lfunc_end98-_ZL26rocblas_hemvn_kernel_upperILb0ELi64ELi4ELi33ELi32ELi16EldPKdPdEviT6_lT7_lT5_lS4_lS5_lS3_lT8_i
                                        ; -- End function
	.set _ZL26rocblas_hemvn_kernel_upperILb0ELi64ELi4ELi33ELi32ELi16EldPKdPdEviT6_lT7_lT5_lS4_lS5_lS3_lT8_i.num_vgpr, 214
	.set _ZL26rocblas_hemvn_kernel_upperILb0ELi64ELi4ELi33ELi32ELi16EldPKdPdEviT6_lT7_lT5_lS4_lS5_lS3_lT8_i.num_agpr, 0
	.set _ZL26rocblas_hemvn_kernel_upperILb0ELi64ELi4ELi33ELi32ELi16EldPKdPdEviT6_lT7_lT5_lS4_lS5_lS3_lT8_i.numbered_sgpr, 72
	.set _ZL26rocblas_hemvn_kernel_upperILb0ELi64ELi4ELi33ELi32ELi16EldPKdPdEviT6_lT7_lT5_lS4_lS5_lS3_lT8_i.num_named_barrier, 0
	.set _ZL26rocblas_hemvn_kernel_upperILb0ELi64ELi4ELi33ELi32ELi16EldPKdPdEviT6_lT7_lT5_lS4_lS5_lS3_lT8_i.private_seg_size, 0
	.set _ZL26rocblas_hemvn_kernel_upperILb0ELi64ELi4ELi33ELi32ELi16EldPKdPdEviT6_lT7_lT5_lS4_lS5_lS3_lT8_i.uses_vcc, 1
	.set _ZL26rocblas_hemvn_kernel_upperILb0ELi64ELi4ELi33ELi32ELi16EldPKdPdEviT6_lT7_lT5_lS4_lS5_lS3_lT8_i.uses_flat_scratch, 0
	.set _ZL26rocblas_hemvn_kernel_upperILb0ELi64ELi4ELi33ELi32ELi16EldPKdPdEviT6_lT7_lT5_lS4_lS5_lS3_lT8_i.has_dyn_sized_stack, 0
	.set _ZL26rocblas_hemvn_kernel_upperILb0ELi64ELi4ELi33ELi32ELi16EldPKdPdEviT6_lT7_lT5_lS4_lS5_lS3_lT8_i.has_recursion, 0
	.set _ZL26rocblas_hemvn_kernel_upperILb0ELi64ELi4ELi33ELi32ELi16EldPKdPdEviT6_lT7_lT5_lS4_lS5_lS3_lT8_i.has_indirect_call, 0
	.section	.AMDGPU.csdata,"",@progbits
; Kernel info:
; codeLenInByte = 6504
; TotalNumSgprs: 74
; NumVgprs: 214
; ScratchSize: 0
; MemoryBound: 0
; FloatMode: 240
; IeeeMode: 1
; LDSByteSize: 9600 bytes/workgroup (compile time only)
; SGPRBlocks: 0
; VGPRBlocks: 13
; NumSGPRsForWavesPerEU: 74
; NumVGPRsForWavesPerEU: 214
; NamedBarCnt: 0
; Occupancy: 4
; WaveLimiterHint : 0
; COMPUTE_PGM_RSRC2:SCRATCH_EN: 0
; COMPUTE_PGM_RSRC2:USER_SGPR: 2
; COMPUTE_PGM_RSRC2:TRAP_HANDLER: 0
; COMPUTE_PGM_RSRC2:TGID_X_EN: 1
; COMPUTE_PGM_RSRC2:TGID_Y_EN: 0
; COMPUTE_PGM_RSRC2:TGID_Z_EN: 1
; COMPUTE_PGM_RSRC2:TIDIG_COMP_CNT: 1
	.section	.text._ZL36rocblas_hemvn_kernel_upper_block_sumILi64EldPddEviT1_lS1_lT2_lT0_lPT3_i,"axG",@progbits,_ZL36rocblas_hemvn_kernel_upper_block_sumILi64EldPddEviT1_lS1_lT2_lT0_lPT3_i,comdat
	.globl	_ZL36rocblas_hemvn_kernel_upper_block_sumILi64EldPddEviT1_lS1_lT2_lT0_lPT3_i ; -- Begin function _ZL36rocblas_hemvn_kernel_upper_block_sumILi64EldPddEviT1_lS1_lT2_lT0_lPT3_i
	.p2align	8
	.type	_ZL36rocblas_hemvn_kernel_upper_block_sumILi64EldPddEviT1_lS1_lT2_lT0_lPT3_i,@function
_ZL36rocblas_hemvn_kernel_upper_block_sumILi64EldPddEviT1_lS1_lT2_lT0_lPT3_i: ; @_ZL36rocblas_hemvn_kernel_upper_block_sumILi64EldPddEviT1_lS1_lT2_lT0_lPT3_i
; %bb.0:
	s_load_b32 s3, s[0:1], 0x50
	s_bfe_u32 s2, ttmp6, 0x40014
	s_lshr_b32 s4, ttmp7, 16
	s_add_co_i32 s2, s2, 1
	s_bfe_u32 s6, ttmp6, 0x40008
	s_mul_i32 s5, s4, s2
	s_getreg_b32 s2, hwreg(HW_REG_IB_STS2, 6, 4)
	s_add_co_i32 s6, s6, s5
	s_cmp_eq_u32 s2, 0
	s_mov_b32 s13, 0
	s_cselect_b32 s12, s4, s6
	s_wait_kmcnt 0x0
	s_cmp_ge_u32 s12, s3
	s_cbranch_scc1 .LBB99_25
; %bb.1:
	s_clause 0x2
	s_load_b64 s[14:15], s[0:1], 0x8
	s_load_b64 s[16:17], s[0:1], 0x18
	s_load_b256 s[4:11], s[0:1], 0x30
	s_bfe_u32 s20, ttmp6, 0x4000c
	s_and_b32 s21, ttmp6, 15
	s_add_co_i32 s20, s20, 1
	s_delay_alu instid0(SALU_CYCLE_1) | instskip(NEXT) | instid1(SALU_CYCLE_1)
	s_mul_i32 s20, ttmp9, s20
	s_add_co_i32 s21, s21, s20
	s_wait_kmcnt 0x0
	v_cmp_neq_f64_e64 s18, s[14:15], 0
	v_cmp_neq_f64_e64 s19, s[16:17], 1.0
	s_lshl_b64 s[4:5], s[4:5], 3
	s_or_b32 s18, s18, s19
	s_cmp_eq_u32 s2, 0
	v_cmp_eq_f64_e64 s19, s[16:17], 0
	s_cselect_b32 s23, ttmp9, s21
	s_clause 0x1
	s_load_b64 s[20:21], s[0:1], 0x28
	s_load_b32 s24, s[0:1], 0x0
	v_lshl_or_b32 v2, s23, 6, v0
	s_wait_xcnt 0x0
	s_add_nc_u64 s[0:1], s[0:1], 0x58
	s_delay_alu instid0(VALU_DEP_1) | instskip(NEXT) | instid1(VALU_DEP_1)
	v_ashrrev_i32_e32 v3, 31, v2
	v_mul_u64_e32 v[0:1], s[6:7], v[2:3]
	s_wait_kmcnt 0x0
	s_add_nc_u64 s[4:5], s[20:21], s[4:5]
	v_cmp_eq_f64_e64 s20, s[14:15], 0
	v_cmp_neq_f64_e64 s21, s[16:17], 0
	v_cmp_gt_i32_e64 s2, s24, v2
	s_ashr_i32 s25, s24, 31
	v_lshl_add_u64 v[2:3], v[2:3], 3, s[10:11]
	s_cmp_gt_i32 s23, -1
	s_cselect_b32 s22, -1, 0
	s_add_co_i32 s23, s23, 1
	s_lshl_b64 s[6:7], s[24:25], 3
	s_branch .LBB99_4
.LBB99_2:                               ;   in Loop: Header=BB99_4 Depth=1
	s_wait_xcnt 0x0
	s_or_b32 exec_lo, exec_lo, s25
.LBB99_3:                               ;   in Loop: Header=BB99_4 Depth=1
	s_add_co_i32 s12, s12, 0x10000
	s_delay_alu instid0(SALU_CYCLE_1)
	s_cmp_lt_u32 s12, s3
	s_cbranch_scc0 .LBB99_25
.LBB99_4:                               ; =>This Loop Header: Depth=1
                                        ;     Child Loop BB99_16 Depth 2
	s_and_not1_b32 vcc_lo, exec_lo, s18
	s_cbranch_vccnz .LBB99_3
; %bb.5:                                ;   in Loop: Header=BB99_4 Depth=1
	s_mul_u64 s[10:11], s[8:9], s[12:13]
	s_and_not1_b32 vcc_lo, exec_lo, s20
	s_lshl_b64 s[10:11], s[10:11], 3
	s_delay_alu instid0(SALU_CYCLE_1)
	s_add_nc_u64 s[10:11], s[4:5], s[10:11]
	s_cbranch_vccnz .LBB99_9
; %bb.6:                                ;   in Loop: Header=BB99_4 Depth=1
	s_mov_b32 s25, 0
	s_mov_b32 s24, 0
                                        ; implicit-def: $vgpr4_vgpr5
	s_and_saveexec_b32 s26, s2
	s_cbranch_execz .LBB99_10
; %bb.7:                                ;   in Loop: Header=BB99_4 Depth=1
	s_and_not1_b32 vcc_lo, exec_lo, s21
	s_cbranch_vccnz .LBB99_11
; %bb.8:                                ;   in Loop: Header=BB99_4 Depth=1
	v_lshl_add_u64 v[4:5], v[0:1], 3, s[10:11]
	global_load_b64 v[4:5], v[4:5], off
	s_wait_loadcnt 0x0
	s_wait_xcnt 0x0
	v_mul_f64_e32 v[4:5], s[16:17], v[4:5]
	s_branch .LBB99_12
.LBB99_9:                               ;   in Loop: Header=BB99_4 Depth=1
	s_mov_b32 s24, 0
                                        ; implicit-def: $vgpr4_vgpr5
	s_cbranch_execnz .LBB99_13
	s_branch .LBB99_23
.LBB99_10:                              ;   in Loop: Header=BB99_4 Depth=1
	s_or_b32 exec_lo, exec_lo, s26
	s_delay_alu instid0(SALU_CYCLE_1)
	s_and_b32 vcc_lo, exec_lo, s25
	s_cbranch_vccnz .LBB99_13
	s_branch .LBB99_23
.LBB99_11:                              ;   in Loop: Header=BB99_4 Depth=1
	v_mov_b64_e32 v[4:5], 0
.LBB99_12:                              ;   in Loop: Header=BB99_4 Depth=1
	s_mov_b32 s24, exec_lo
	s_or_b32 exec_lo, exec_lo, s26
	s_delay_alu instid0(SALU_CYCLE_1)
	s_and_b32 vcc_lo, exec_lo, s25
	s_cbranch_vccz .LBB99_23
.LBB99_13:                              ;   in Loop: Header=BB99_4 Depth=1
                                        ; implicit-def: $vgpr4_vgpr5
	s_and_saveexec_b32 s25, s2
	s_cbranch_execz .LBB99_22
; %bb.14:                               ;   in Loop: Header=BB99_4 Depth=1
	v_mov_b64_e32 v[6:7], 0
	s_and_not1_b32 vcc_lo, exec_lo, s22
	s_cbranch_vccnz .LBB99_17
; %bb.15:                               ;   in Loop: Header=BB99_4 Depth=1
	s_load_b32 s26, s[0:1], 0x0
	s_mov_b32 s27, s13
	v_mov_b64_e32 v[6:7], 0
	s_wait_kmcnt 0x0
	s_mul_u64 s[26:27], s[6:7], s[26:27]
	s_delay_alu instid0(SALU_CYCLE_1) | instskip(SKIP_1) | instid1(VALU_DEP_1)
	v_mad_nc_u64_u32 v[4:5], s26, s12, v[2:3]
	s_mov_b32 s26, s23
	v_mad_u32 v5, s27, s12, v5
.LBB99_16:                              ;   Parent Loop BB99_4 Depth=1
                                        ; =>  This Inner Loop Header: Depth=2
	global_load_b64 v[8:9], v[4:5], off
	s_wait_xcnt 0x0
	v_add_nc_u64_e32 v[4:5], s[6:7], v[4:5]
	s_add_co_i32 s26, s26, -1
	s_delay_alu instid0(SALU_CYCLE_1)
	s_cmp_eq_u32 s26, 0
	s_wait_loadcnt 0x0
	v_add_f64_e32 v[6:7], v[6:7], v[8:9]
	s_cbranch_scc0 .LBB99_16
.LBB99_17:                              ;   in Loop: Header=BB99_4 Depth=1
	s_and_b32 vcc_lo, exec_lo, s19
	s_mov_b32 s26, -1
                                        ; implicit-def: $vgpr4_vgpr5
	s_cbranch_vccz .LBB99_19
; %bb.18:                               ;   in Loop: Header=BB99_4 Depth=1
	s_delay_alu instid0(VALU_DEP_1)
	v_mul_f64_e32 v[4:5], s[14:15], v[6:7]
	s_mov_b32 s26, 0
.LBB99_19:                              ;   in Loop: Header=BB99_4 Depth=1
	s_delay_alu instid0(SALU_CYCLE_1)
	s_and_not1_b32 vcc_lo, exec_lo, s26
	s_cbranch_vccnz .LBB99_21
; %bb.20:                               ;   in Loop: Header=BB99_4 Depth=1
	v_lshl_add_u64 v[4:5], v[0:1], 3, s[10:11]
	global_load_b64 v[4:5], v[4:5], off
	s_wait_loadcnt 0x0
	s_wait_xcnt 0x0
	v_mul_f64_e32 v[4:5], s[16:17], v[4:5]
	s_delay_alu instid0(VALU_DEP_1)
	v_fmac_f64_e32 v[4:5], s[14:15], v[6:7]
.LBB99_21:                              ;   in Loop: Header=BB99_4 Depth=1
	s_or_b32 s24, s24, exec_lo
.LBB99_22:                              ;   in Loop: Header=BB99_4 Depth=1
	s_or_b32 exec_lo, exec_lo, s25
.LBB99_23:                              ;   in Loop: Header=BB99_4 Depth=1
	s_and_saveexec_b32 s25, s24
	s_cbranch_execz .LBB99_2
; %bb.24:                               ;   in Loop: Header=BB99_4 Depth=1
	v_lshl_add_u64 v[6:7], v[0:1], 3, s[10:11]
	global_store_b64 v[6:7], v[4:5], off
	s_branch .LBB99_2
.LBB99_25:
	s_endpgm
	.section	.rodata,"a",@progbits
	.p2align	6, 0x0
	.amdhsa_kernel _ZL36rocblas_hemvn_kernel_upper_block_sumILi64EldPddEviT1_lS1_lT2_lT0_lPT3_i
		.amdhsa_group_segment_fixed_size 0
		.amdhsa_private_segment_fixed_size 0
		.amdhsa_kernarg_size 344
		.amdhsa_user_sgpr_count 2
		.amdhsa_user_sgpr_dispatch_ptr 0
		.amdhsa_user_sgpr_queue_ptr 0
		.amdhsa_user_sgpr_kernarg_segment_ptr 1
		.amdhsa_user_sgpr_dispatch_id 0
		.amdhsa_user_sgpr_kernarg_preload_length 0
		.amdhsa_user_sgpr_kernarg_preload_offset 0
		.amdhsa_user_sgpr_private_segment_size 0
		.amdhsa_wavefront_size32 1
		.amdhsa_uses_dynamic_stack 0
		.amdhsa_enable_private_segment 0
		.amdhsa_system_sgpr_workgroup_id_x 1
		.amdhsa_system_sgpr_workgroup_id_y 0
		.amdhsa_system_sgpr_workgroup_id_z 1
		.amdhsa_system_sgpr_workgroup_info 0
		.amdhsa_system_vgpr_workitem_id 0
		.amdhsa_next_free_vgpr 10
		.amdhsa_next_free_sgpr 28
		.amdhsa_named_barrier_count 0
		.amdhsa_reserve_vcc 1
		.amdhsa_float_round_mode_32 0
		.amdhsa_float_round_mode_16_64 0
		.amdhsa_float_denorm_mode_32 3
		.amdhsa_float_denorm_mode_16_64 3
		.amdhsa_fp16_overflow 0
		.amdhsa_memory_ordered 1
		.amdhsa_forward_progress 1
		.amdhsa_inst_pref_size 6
		.amdhsa_round_robin_scheduling 0
		.amdhsa_exception_fp_ieee_invalid_op 0
		.amdhsa_exception_fp_denorm_src 0
		.amdhsa_exception_fp_ieee_div_zero 0
		.amdhsa_exception_fp_ieee_overflow 0
		.amdhsa_exception_fp_ieee_underflow 0
		.amdhsa_exception_fp_ieee_inexact 0
		.amdhsa_exception_int_div_zero 0
	.end_amdhsa_kernel
	.section	.text._ZL36rocblas_hemvn_kernel_upper_block_sumILi64EldPddEviT1_lS1_lT2_lT0_lPT3_i,"axG",@progbits,_ZL36rocblas_hemvn_kernel_upper_block_sumILi64EldPddEviT1_lS1_lT2_lT0_lPT3_i,comdat
.Lfunc_end99:
	.size	_ZL36rocblas_hemvn_kernel_upper_block_sumILi64EldPddEviT1_lS1_lT2_lT0_lPT3_i, .Lfunc_end99-_ZL36rocblas_hemvn_kernel_upper_block_sumILi64EldPddEviT1_lS1_lT2_lT0_lPT3_i
                                        ; -- End function
	.set _ZL36rocblas_hemvn_kernel_upper_block_sumILi64EldPddEviT1_lS1_lT2_lT0_lPT3_i.num_vgpr, 10
	.set _ZL36rocblas_hemvn_kernel_upper_block_sumILi64EldPddEviT1_lS1_lT2_lT0_lPT3_i.num_agpr, 0
	.set _ZL36rocblas_hemvn_kernel_upper_block_sumILi64EldPddEviT1_lS1_lT2_lT0_lPT3_i.numbered_sgpr, 28
	.set _ZL36rocblas_hemvn_kernel_upper_block_sumILi64EldPddEviT1_lS1_lT2_lT0_lPT3_i.num_named_barrier, 0
	.set _ZL36rocblas_hemvn_kernel_upper_block_sumILi64EldPddEviT1_lS1_lT2_lT0_lPT3_i.private_seg_size, 0
	.set _ZL36rocblas_hemvn_kernel_upper_block_sumILi64EldPddEviT1_lS1_lT2_lT0_lPT3_i.uses_vcc, 1
	.set _ZL36rocblas_hemvn_kernel_upper_block_sumILi64EldPddEviT1_lS1_lT2_lT0_lPT3_i.uses_flat_scratch, 0
	.set _ZL36rocblas_hemvn_kernel_upper_block_sumILi64EldPddEviT1_lS1_lT2_lT0_lPT3_i.has_dyn_sized_stack, 0
	.set _ZL36rocblas_hemvn_kernel_upper_block_sumILi64EldPddEviT1_lS1_lT2_lT0_lPT3_i.has_recursion, 0
	.set _ZL36rocblas_hemvn_kernel_upper_block_sumILi64EldPddEviT1_lS1_lT2_lT0_lPT3_i.has_indirect_call, 0
	.section	.AMDGPU.csdata,"",@progbits
; Kernel info:
; codeLenInByte = 692
; TotalNumSgprs: 30
; NumVgprs: 10
; ScratchSize: 0
; MemoryBound: 0
; FloatMode: 240
; IeeeMode: 1
; LDSByteSize: 0 bytes/workgroup (compile time only)
; SGPRBlocks: 0
; VGPRBlocks: 0
; NumSGPRsForWavesPerEU: 30
; NumVGPRsForWavesPerEU: 10
; NamedBarCnt: 0
; Occupancy: 16
; WaveLimiterHint : 0
; COMPUTE_PGM_RSRC2:SCRATCH_EN: 0
; COMPUTE_PGM_RSRC2:USER_SGPR: 2
; COMPUTE_PGM_RSRC2:TRAP_HANDLER: 0
; COMPUTE_PGM_RSRC2:TGID_X_EN: 1
; COMPUTE_PGM_RSRC2:TGID_Y_EN: 0
; COMPUTE_PGM_RSRC2:TGID_Z_EN: 1
; COMPUTE_PGM_RSRC2:TIDIG_COMP_CNT: 0
	.section	.text._ZL26rocblas_hemvn_kernel_upperILb0ELi64ELi4ELi33ELi32ELi16EidPKdPdEviT6_lT7_lT5_lS4_lS5_lS3_lT8_i,"axG",@progbits,_ZL26rocblas_hemvn_kernel_upperILb0ELi64ELi4ELi33ELi32ELi16EidPKdPdEviT6_lT7_lT5_lS4_lS5_lS3_lT8_i,comdat
	.globl	_ZL26rocblas_hemvn_kernel_upperILb0ELi64ELi4ELi33ELi32ELi16EidPKdPdEviT6_lT7_lT5_lS4_lS5_lS3_lT8_i ; -- Begin function _ZL26rocblas_hemvn_kernel_upperILb0ELi64ELi4ELi33ELi32ELi16EidPKdPdEviT6_lT7_lT5_lS4_lS5_lS3_lT8_i
	.p2align	8
	.type	_ZL26rocblas_hemvn_kernel_upperILb0ELi64ELi4ELi33ELi32ELi16EidPKdPdEviT6_lT7_lT5_lS4_lS5_lS3_lT8_i,@function
_ZL26rocblas_hemvn_kernel_upperILb0ELi64ELi4ELi33ELi32ELi16EidPKdPdEviT6_lT7_lT5_lS4_lS5_lS3_lT8_i: ; @_ZL26rocblas_hemvn_kernel_upperILb0ELi64ELi4ELi33ELi32ELi16EidPKdPdEviT6_lT7_lT5_lS4_lS5_lS3_lT8_i
; %bb.0:
	s_clause 0x1
	s_load_b64 s[2:3], s[0:1], 0x84
	s_load_b32 s33, s[0:1], 0x70
	s_bfe_u32 s4, ttmp6, 0x40014
	s_lshr_b32 s5, ttmp7, 16
	s_add_co_i32 s4, s4, 1
	s_bfe_u32 s6, ttmp6, 0x40008
	s_mul_i32 s4, s5, s4
	s_getreg_b32 s11, hwreg(HW_REG_IB_STS2, 6, 4)
	s_add_co_i32 s6, s6, s4
	s_mov_b32 s29, 0
	s_wait_kmcnt 0x0
	s_lshr_b32 s4, s2, 16
	s_and_b32 s2, s2, 0xffff
	s_and_b32 s3, s3, 0xffff
	s_mul_i32 s2, s4, s2
	s_cmp_eq_u32 s11, 0
	s_mul_i32 s2, s2, s3
	s_cselect_b32 s28, s5, s6
	s_cmp_lg_u32 s2, 0x100
	s_cselect_b32 s2, -1, 0
	s_cmp_ge_u32 s28, s33
	s_cselect_b32 s3, -1, 0
	s_delay_alu instid0(SALU_CYCLE_1) | instskip(NEXT) | instid1(SALU_CYCLE_1)
	s_or_b32 s2, s2, s3
	s_and_b32 vcc_lo, exec_lo, s2
	s_cbranch_vccnz .LBB100_129
; %bb.1:
	s_clause 0x7
	s_load_b128 s[20:23], s[0:1], 0x50
	s_load_b64 s[12:13], s[0:1], 0x8
	s_load_b32 s2, s[0:1], 0x0
	s_load_b128 s[4:7], s[0:1], 0x18
	s_load_b32 s70, s[0:1], 0x28
	s_load_b128 s[24:27], s[0:1], 0x30
	s_load_b96 s[16:18], s[0:1], 0x40
	s_load_b64 s[8:9], s[0:1], 0x68
	v_and_b32_e32 v172, 0x3ff, v0
	v_bfe_u32 v1, v0, 10, 10
	s_add_nc_u64 s[14:15], s[0:1], 0x78
	s_wait_xcnt 0x0
	s_bfe_u32 s0, ttmp6, 0x4000c
	v_dual_mov_b32 v57, 0 :: v_dual_bitop2_b32 v56, 31, v0 bitop3:0x40
	v_lshl_add_u32 v6, v1, 6, v172
	s_add_co_i32 s0, s0, 1
	v_lshlrev_b32_e32 v173, 3, v172
	s_and_b32 s3, ttmp6, 15
	s_load_b32 s30, s[14:15], 0x0
	v_lshrrev_b32_e32 v7, 5, v6
	s_mov_b32 s31, s29
	v_lshlrev_b32_e32 v8, 3, v56
	v_and_b32_e32 v12, 0x7fe0, v6
	v_lshl_add_u32 v183, v1, 5, 0x2180
	s_wait_kmcnt 0x0
	v_cmp_neq_f64_e64 s1, s[22:23], 1.0
	v_cmp_neq_f64_e64 s10, s[12:13], 0
	s_mul_i32 s12, ttmp9, s0
	s_ashr_i32 s71, s70, 31
	s_add_co_i32 s12, s3, s12
	s_ashr_i32 s3, s2, 31
	s_cmp_eq_u32 s11, 0
	v_mad_u32 v2, s70, v7, v56
	s_cselect_b32 s22, ttmp9, s12
	s_lshr_b32 s14, s3, 26
	s_lshl_b32 s46, s22, 6
	s_add_co_i32 s14, s2, s14
	v_add_nc_u32_e32 v60, s46, v172
	s_and_not1_b32 s14, s14, 63
	s_add_co_i32 s11, s30, -1
	s_mul_u64 s[34:35], s[30:31], s[2:3]
	s_lshl_b64 s[12:13], s[16:17], 3
	s_lshl_b64 s[6:7], s[6:7], 3
	v_ashrrev_i32_e32 v3, 31, v2
	v_mul_lo_u32 v4, s18, v60
	s_sub_co_i32 s31, s2, s14
	s_add_nc_u64 s[12:13], s[26:27], s[12:13]
	s_add_nc_u64 s[4:5], s[4:5], s[6:7]
	v_lshlrev_b64_e32 v[2:3], 3, v[2:3]
	s_mul_i32 s6, s70, s46
	v_add_nc_u32_e32 v9, 8, v7
	v_lshl_or_b32 v176, v56, 8, v8
	v_mul_u32_u24_e32 v10, 0x108, v7
	v_mul_u32_u24_e32 v14, 0x420, v7
	v_dual_lshlrev_b32 v17, 3, v7 :: v_dual_ashrrev_i32 v5, 31, v4
	v_cmp_eq_u32_e64 s16, 1, v7
	v_mul_i32_i24_e32 v181, 0xffffffe8, v7
	s_or_b32 s88, s10, s1
	s_cmp_eq_u32 s22, s11
	v_lshl_add_u64 v[62:63], v[4:5], 3, s[12:13]
	s_cselect_b32 s26, s31, 0
	v_cndmask_b32_e64 v175, 0, 1, s10
	s_cmp_lg_u32 s26, 0
	v_cmp_gt_i32_e32 vcc_lo, s26, v172
	s_cselect_b32 s89, -1, 0
	s_cmp_eq_u32 s26, 0
	v_cmp_eq_u32_e64 s0, 0, v1
	s_cselect_b32 s12, -1, 0
	s_ashr_i32 s47, s46, 31
	s_ashr_i32 s7, s6, 31
	s_lshl_b64 s[10:11], s[46:47], 3
	s_sub_co_i32 s15, s26, 32
	s_add_nc_u64 s[4:5], s[4:5], s[10:11]
	s_ashr_i32 s23, s22, 31
	v_add_nc_u64_e32 v[4:5], s[4:5], v[2:3]
	s_mul_u64 s[2:3], s[2:3], s[22:23]
	s_or_b32 s23, s12, vcc_lo
	s_lshl_b64 s[2:3], s[2:3], 3
	v_cmp_gt_i32_e64 s12, s15, v7
	v_lshlrev_b32_e32 v11, 2, v7
	s_add_nc_u64 s[36:37], s[8:9], s[2:3]
	v_lshl_add_u64 v[64:65], s[6:7], 3, v[4:5]
	v_dual_add_nc_u32 v5, 24, v7 :: v_dual_add_nc_u32 v4, 16, v7
	s_delay_alu instid0(VALU_DEP_3) | instskip(SKIP_2) | instid1(VALU_DEP_4)
	v_dual_lshlrev_b32 v180, 2, v1 :: v_dual_bitop2_b32 v15, 2, v11 bitop3:0x54
	v_cmp_gt_i32_e64 s2, s26, v7
	v_cmp_gt_i32_e64 s3, s26, v9
	;; [unrolled: 1-line block ×4, first 2 shown]
	v_mad_u32 v4, s70, v180, v172
	v_cmp_gt_u32_e64 s6, v11, v56
	v_dual_add_nc_u32 v177, v176, v12 :: v_dual_bitop2_b32 v13, 1, v11 bitop3:0x54
	v_cmp_ge_u32_e64 s7, v11, v56
	v_dual_lshrrev_b32 v7, 4, v6 :: v_dual_bitop2_b32 v11, 3, v11 bitop3:0x54
	v_cmp_gt_i32_e64 s13, s15, v9
	v_and_b32_e32 v9, 15, v0
	v_dual_add_nc_u32 v202, v8, v10 :: v_dual_bitop2_b32 v0, 48, v0 bitop3:0x40
	v_cmp_gt_i32_e64 s5, s26, v5
	v_cmp_gt_u32_e64 s9, v11, v56
	v_or_b32_e32 v11, 32, v56
	v_cmp_gt_i32_e64 s15, s15, v5
	v_dual_ashrrev_i32 v5, 31, v4 :: v_dual_add_nc_u32 v200, v176, v17
	v_dual_lshlrev_b32 v0, 3, v0 :: v_dual_add_nc_u32 v203, v8, v14
	s_lshl_b32 s44, s70, 5
	v_cmp_gt_i32_e64 s11, s26, v11
	s_ashr_i32 s45, s44, 31
	v_lshlrev_b32_e32 v11, 5, v7
	v_mad_u32_u24 v184, 0x860, v1, v173
	v_mad_u32_u24 v186, 0x218, v9, v0
	v_mad_u32_u24 v199, 0x218, v1, v173
	v_add_nc_u64_e32 v[0:1], s[44:45], v[4:5]
	s_lshl_b32 s40, s70, 4
	v_cmp_gt_u32_e64 s10, 32, v6
	v_mad_u32_u24 v185, 0x218, v9, v11
	v_mul_i32_i24_e32 v11, 0xffffffe8, v7
	v_cmp_gt_u32_e64 s17, 64, v6
	v_lshlrev_b64_e32 v[6:7], 3, v[4:5]
	v_lshlrev_b64_e32 v[0:1], 3, v[0:1]
	s_ashr_i32 s41, s40, 31
	s_lshl_b32 s38, s70, 3
	s_add_nc_u64 s[86:87], s[70:71], s[40:41]
	s_add_nc_u64 s[60:61], s[44:45], s[40:41]
	s_mul_i32 s42, s70, 24
	s_mul_i32 s46, s18, s46
	v_mad_nc_u64_u32 v[74:75], s86, 24, v[0:1]
	v_sub_nc_u64_e32 v[66:67], 0, v[2:3]
	v_sub_nc_u64_e32 v[68:69], v[6:7], v[2:3]
	v_add_nc_u64_e32 v[2:3], s[60:61], v[4:5]
	s_add_co_i32 s19, s22, 1
	s_ashr_i32 s27, s26, 31
	s_ashr_i32 s39, s38, 31
	;; [unrolled: 1-line block ×4, first 2 shown]
	v_mad_nc_i64_i32 v[80:81], s40, 24, v[0:1]
	s_cmp_lt_u32 s19, s30
	s_mul_u64 s[76:77], s[70:71], 24
	s_cselect_b32 s90, -1, 0
	s_lshl_b64 s[84:85], s[40:41], 4
	s_lshl_b32 s56, s70, 1
	s_mul_i32 s58, s70, 3
	v_add_nc_u64_e32 v[70:71], s[76:77], v[0:1]
	v_lshl_add_u64 v[72:73], v[2:3], 3, s[76:77]
	s_add_nc_u64 s[76:77], s[76:77], s[84:85]
	s_ashr_i32 s57, s56, 31
	s_ashr_i32 s59, s58, 31
	s_lshl_b64 s[74:75], s[70:71], 4
	s_lshl_b64 s[72:73], s[44:45], 3
	v_add_nc_u64_e32 v[76:77], s[76:77], v[0:1]
	s_mul_u64 s[76:77], s[40:41], 24
	v_mad_u32 v75, s87, 24, v75
	v_mul_u32_u24_e32 v13, 0x108, v13
	v_mul_u32_u24_e32 v16, 33, v56
	v_add_nc_u32_e32 v178, 0x2380, v12
	v_or_b32_e32 v12, 0x78, v173
	s_lshl_b64 s[78:79], s[70:71], 3
	s_add_nc_u64 s[52:53], s[74:75], s[72:73]
	s_lshl_b64 s[80:81], s[56:57], 3
	s_lshl_b64 s[82:83], s[58:59], 3
	s_add_nc_u64 s[74:75], s[76:77], s[74:75]
	v_sub_nc_u64_e32 v[58:59], 0, v[56:57]
	v_add_nc_u64_e32 v[78:79], s[74:75], v[0:1]
	v_add_nc_u64_e32 v[82:83], s[78:79], v[80:81]
	;; [unrolled: 1-line block ×4, first 2 shown]
	s_lshl_b64 s[68:69], s[40:41], 3
	v_add_nc_u32_e32 v174, 0x2380, v173
	v_cmp_gt_i32_e64 s1, s26, v56
	v_cmp_gt_u32_e64 s8, v15, v56
	v_lshl_add_u32 v179, v16, 3, v17
	v_add_nc_u32_e32 v182, 0x2180, v173
	v_mad_u32_u24 v187, 0x218, v9, v12
	v_dual_add_nc_u32 v191, 16, v180 :: v_dual_bitop2_b32 v188, 1, v180 bitop3:0x54
	v_dual_add_nc_u32 v192, 17, v180 :: v_dual_bitop2_b32 v189, 2, v180 bitop3:0x54
	;; [unrolled: 1-line block ×3, first 2 shown]
	v_dual_add_nc_u32 v194, 19, v180 :: v_dual_add_nc_u32 v195, 32, v180
	v_dual_add_nc_u32 v196, 33, v180 :: v_dual_add_nc_u32 v197, 34, v180
	;; [unrolled: 1-line block ×3, first 2 shown]
	v_dual_ashrrev_i32 v61, 31, v60 :: v_dual_add_nc_u32 v205, v185, v11
	v_add_nc_u32_e32 v201, 0x2380, v17
	v_lshlrev_b32_e32 v56, 3, v56
	v_dual_add_nc_u32 v206, 48, v180 :: v_dual_add_nc_u32 v207, 49, v180
	v_dual_add_nc_u32 v208, 50, v180 :: v_dual_add_nc_u32 v209, 51, v180
	v_add_nc_u32_e32 v210, 64, v60
	s_lshl_b32 s92, s18, 6
	s_lshl_b64 s[50:51], s[70:71], 6
	s_mul_i32 s18, s18, s19
	s_add_nc_u64 s[54:55], s[78:79], s[72:73]
	s_add_nc_u64 s[60:61], s[72:73], s[68:69]
	;; [unrolled: 1-line block ×3, first 2 shown]
	s_sub_nc_u64 s[46:47], 0, s[46:47]
	s_add_co_i32 s91, s30, -2
	s_and_b32 s93, s0, s23
	s_sub_nc_u64 s[48:49], 0, s[26:27]
	s_lshl_b32 s94, s18, 6
	s_lshl_b64 s[18:19], s[40:41], 5
	s_add_nc_u64 s[56:57], s[72:73], s[80:81]
	s_add_nc_u64 s[58:59], s[72:73], s[82:83]
	;; [unrolled: 1-line block ×7, first 2 shown]
	s_mov_b64 s[74:75], 0xffffffffffffff00
	s_mov_b64 s[76:77], 0xfffffffffffffef8
	s_add_nc_u64 s[78:79], s[70:71], s[80:81]
	s_add_nc_u64 s[80:81], s[70:71], s[82:83]
	;; [unrolled: 1-line block ×3, first 2 shown]
	s_branch .LBB100_4
.LBB100_2:                              ;   in Loop: Header=BB100_4 Depth=1
	s_wait_xcnt 0x0
	s_or_b32 exec_lo, exec_lo, s86
.LBB100_3:                              ;   in Loop: Header=BB100_4 Depth=1
	s_add_co_i32 s28, s28, 0x10000
	s_delay_alu instid0(SALU_CYCLE_1)
	s_cmp_lt_u32 s28, s33
	s_cbranch_scc0 .LBB100_129
.LBB100_4:                              ; =>This Loop Header: Depth=1
                                        ;     Child Loop BB100_69 Depth 2
	s_and_not1_b32 vcc_lo, exec_lo, s88
	s_cbranch_vccnz .LBB100_3
; %bb.5:                                ;   in Loop: Header=BB100_4 Depth=1
	v_cmp_ne_u32_e32 vcc_lo, 1, v175
	s_cbranch_vccnz .LBB100_3
; %bb.6:                                ;   in Loop: Header=BB100_4 Depth=1
	s_mul_u64 s[84:85], s[20:21], s[28:29]
	s_delay_alu instid0(SALU_CYCLE_1)
	v_lshl_add_u64 v[12:13], s[84:85], 3, v[62:63]
	s_and_saveexec_b32 s84, s0
	s_cbranch_execz .LBB100_10
; %bb.7:                                ;   in Loop: Header=BB100_4 Depth=1
	v_mov_b64_e32 v[0:1], 0
	s_and_saveexec_b32 s85, s23
	s_cbranch_execz .LBB100_9
; %bb.8:                                ;   in Loop: Header=BB100_4 Depth=1
	global_load_b64 v[0:1], v[12:13], off
.LBB100_9:                              ;   in Loop: Header=BB100_4 Depth=1
	s_wait_xcnt 0x0
	s_or_b32 exec_lo, exec_lo, s85
	s_wait_loadcnt 0x0
	ds_store_b64 v174, v[0:1]
.LBB100_10:                             ;   in Loop: Header=BB100_4 Depth=1
	s_or_b32 exec_lo, exec_lo, s84
	s_mul_u64 s[84:85], s[24:25], s[28:29]
	s_and_b32 vcc_lo, exec_lo, s89
	v_lshl_add_u64 v[2:3], s[84:85], 3, v[64:65]
	s_mov_b32 s84, -1
                                        ; implicit-def: $vgpr0_vgpr1
	s_cbranch_vccz .LBB100_20
; %bb.11:                               ;   in Loop: Header=BB100_4 Depth=1
	s_delay_alu instid0(VALU_DEP_1) | instskip(SKIP_2) | instid1(VALU_DEP_3)
	v_lshl_add_u64 v[0:1], v[58:59], 3, v[2:3]
	v_mov_b64_e32 v[6:7], 0
	v_mov_b64_e32 v[4:5], 0
	v_lshl_add_u64 v[0:1], s[26:27], 3, v[0:1]
	s_delay_alu instid0(VALU_DEP_1) | instskip(NEXT) | instid1(VALU_DEP_1)
	v_add_nc_u64_e32 v[0:1], -8, v[0:1]
	v_dual_cndmask_b32 v1, v1, v3, s1 :: v_dual_cndmask_b32 v0, v0, v2, s1
	s_and_saveexec_b32 s84, s2
	s_cbranch_execz .LBB100_13
; %bb.12:                               ;   in Loop: Header=BB100_4 Depth=1
	global_load_b64 v[4:5], v[0:1], off
.LBB100_13:                             ;   in Loop: Header=BB100_4 Depth=1
	s_wait_xcnt 0x0
	s_or_b32 exec_lo, exec_lo, s84
	s_wait_loadcnt 0x0
	ds_store_b64 v202, v[4:5]
	s_and_saveexec_b32 s84, s3
	s_cbranch_execz .LBB100_15
; %bb.14:                               ;   in Loop: Header=BB100_4 Depth=1
	v_lshl_add_u64 v[4:5], s[38:39], 3, v[0:1]
	global_load_b64 v[6:7], v[4:5], off
.LBB100_15:                             ;   in Loop: Header=BB100_4 Depth=1
	s_wait_xcnt 0x0
	s_or_b32 exec_lo, exec_lo, s84
	v_mov_b64_e32 v[4:5], 0
	v_mov_b64_e32 v[8:9], 0
	s_wait_loadcnt 0x0
	ds_store_b64 v202, v[6:7] offset:2112
	s_and_saveexec_b32 s84, s4
	s_cbranch_execz .LBB100_17
; %bb.16:                               ;   in Loop: Header=BB100_4 Depth=1
	v_lshl_add_u64 v[6:7], s[40:41], 3, v[0:1]
	global_load_b64 v[8:9], v[6:7], off
.LBB100_17:                             ;   in Loop: Header=BB100_4 Depth=1
	s_wait_xcnt 0x0
	s_or_b32 exec_lo, exec_lo, s84
	s_wait_loadcnt 0x0
	ds_store_b64 v202, v[8:9] offset:4224
	s_and_saveexec_b32 s84, s5
	s_cbranch_execz .LBB100_19
; %bb.18:                               ;   in Loop: Header=BB100_4 Depth=1
	v_lshl_add_u64 v[4:5], s[42:43], 3, v[0:1]
	global_load_b64 v[4:5], v[4:5], off
.LBB100_19:                             ;   in Loop: Header=BB100_4 Depth=1
	s_wait_xcnt 0x0
	s_or_b32 exec_lo, exec_lo, s84
	v_add_nc_u64_e32 v[0:1], v[0:1], v[56:57]
	s_mov_b32 s84, 0
	s_wait_loadcnt 0x0
	ds_store_b64 v202, v[4:5] offset:6336
	v_lshl_add_u64 v[0:1], s[48:49], 3, v[0:1]
	s_delay_alu instid0(VALU_DEP_1) | instskip(NEXT) | instid1(VALU_DEP_1)
	v_add_nc_u64_e32 v[0:1], 8, v[0:1]
	v_dual_cndmask_b32 v1, v1, v3, s1 :: v_dual_cndmask_b32 v0, v0, v2, s1
.LBB100_20:                             ;   in Loop: Header=BB100_4 Depth=1
	s_and_b32 vcc_lo, exec_lo, s84
	s_cbranch_vccz .LBB100_22
; %bb.21:                               ;   in Loop: Header=BB100_4 Depth=1
	global_load_b64 v[0:1], v[2:3], off
	s_wait_loadcnt 0x0
	ds_store_b64 v202, v[0:1]
	v_lshl_add_u64 v[0:1], s[38:39], 3, v[2:3]
	global_load_b64 v[4:5], v[0:1], off
	s_wait_xcnt 0x0
	v_add_nc_u64_e32 v[0:1], s[50:51], v[0:1]
	s_wait_loadcnt 0x0
	ds_store_b64 v202, v[4:5] offset:2112
	global_load_b64 v[4:5], v[0:1], off
	s_wait_xcnt 0x0
	v_add_nc_u64_e32 v[0:1], s[50:51], v[0:1]
	global_load_b64 v[0:1], v[0:1], off
	s_wait_loadcnt 0x1
	ds_store_b64 v202, v[4:5] offset:4224
	s_wait_loadcnt 0x0
	ds_store_b64 v202, v[0:1] offset:6336
	s_wait_xcnt 0x0
	v_mov_b64_e32 v[0:1], v[2:3]
.LBB100_22:                             ;   in Loop: Header=BB100_4 Depth=1
	s_wait_dscnt 0x0
	s_barrier_signal -1
	s_barrier_wait -1
	s_and_saveexec_b32 s84, s6
	s_cbranch_execnz .LBB100_123
; %bb.23:                               ;   in Loop: Header=BB100_4 Depth=1
	s_or_b32 exec_lo, exec_lo, s84
	s_and_saveexec_b32 s84, s7
	s_cbranch_execnz .LBB100_124
.LBB100_24:                             ;   in Loop: Header=BB100_4 Depth=1
	s_or_b32 exec_lo, exec_lo, s84
	s_and_saveexec_b32 s84, s8
	s_cbranch_execnz .LBB100_125
.LBB100_25:                             ;   in Loop: Header=BB100_4 Depth=1
	s_or_b32 exec_lo, exec_lo, s84
	s_and_saveexec_b32 s84, s9
	s_cbranch_execz .LBB100_27
.LBB100_26:                             ;   in Loop: Header=BB100_4 Depth=1
	ds_load_b64 v[2:3], v204 offset:528
	s_wait_dscnt 0x0
	ds_store_b64 v177, v[2:3] offset:24
.LBB100_27:                             ;   in Loop: Header=BB100_4 Depth=1
	s_or_b32 exec_lo, exec_lo, s84
	s_wait_dscnt 0x0
	s_barrier_signal -1
	s_barrier_wait -1
	ds_load_b64 v[10:11], v203
	ds_load_b128 v[2:5], v178
	ds_load_b128 v[6:9], v178 offset:16
	ds_load_b64 v[18:19], v204 offset:528
	ds_load_2addr_b64 v[14:17], v204 offset1:33
	v_mov_b64_e32 v[88:89], 0
	s_wait_dscnt 0x0
	s_barrier_signal -1
	s_barrier_wait -1
	v_fma_f64 v[2:3], v[10:11], v[2:3], 0
	s_delay_alu instid0(VALU_DEP_1) | instskip(NEXT) | instid1(VALU_DEP_1)
	v_fmac_f64_e32 v[2:3], v[14:15], v[4:5]
	v_fmac_f64_e32 v[2:3], v[16:17], v[6:7]
	s_delay_alu instid0(VALU_DEP_1)
	v_fmac_f64_e32 v[2:3], v[18:19], v[8:9]
	ds_store_b64 v179, v[2:3]
	s_wait_dscnt 0x0
	s_barrier_signal -1
	s_barrier_wait -1
	s_and_saveexec_b32 s84, s10
	s_cbranch_execz .LBB100_29
; %bb.28:                               ;   in Loop: Header=BB100_4 Depth=1
	ds_load_2addr_b64 v[2:5], v176 offset1:1
	ds_load_2addr_b64 v[6:9], v176 offset0:2 offset1:3
	s_wait_dscnt 0x1
	v_add_f64_e32 v[2:3], v[2:3], v[4:5]
	s_wait_dscnt 0x0
	s_delay_alu instid0(VALU_DEP_1) | instskip(NEXT) | instid1(VALU_DEP_1)
	v_add_f64_e32 v[2:3], v[2:3], v[6:7]
	v_add_f64_e32 v[10:11], v[2:3], v[8:9]
	ds_load_2addr_b64 v[2:5], v176 offset0:4 offset1:5
	ds_load_2addr_b64 v[6:9], v176 offset0:6 offset1:7
	s_wait_dscnt 0x1
	v_add_f64_e32 v[2:3], v[10:11], v[2:3]
	s_delay_alu instid0(VALU_DEP_1) | instskip(SKIP_1) | instid1(VALU_DEP_1)
	v_add_f64_e32 v[2:3], v[2:3], v[4:5]
	s_wait_dscnt 0x0
	v_add_f64_e32 v[2:3], v[2:3], v[6:7]
	s_delay_alu instid0(VALU_DEP_1)
	v_add_f64_e32 v[88:89], v[2:3], v[8:9]
.LBB100_29:                             ;   in Loop: Header=BB100_4 Depth=1
	s_or_b32 exec_lo, exec_lo, s84
	v_lshl_add_u64 v[4:5], s[44:45], 3, v[0:1]
	s_and_b32 vcc_lo, exec_lo, s89
	s_mov_b32 s84, -1
	s_barrier_signal -1
	s_delay_alu instid0(VALU_DEP_1)
	v_add_nc_u64_e32 v[2:3], 0x100, v[4:5]
	s_barrier_wait -1
                                        ; implicit-def: $vgpr0_vgpr1
	s_cbranch_vccz .LBB100_39
; %bb.30:                               ;   in Loop: Header=BB100_4 Depth=1
	v_lshl_add_u64 v[0:1], v[58:59], 3, v[4:5]
	v_mov_b64_e32 v[8:9], 0
	v_mov_b64_e32 v[6:7], 0
	s_delay_alu instid0(VALU_DEP_3) | instskip(NEXT) | instid1(VALU_DEP_1)
	v_lshl_add_u64 v[0:1], s[26:27], 3, v[0:1]
	v_add_nc_u64_e32 v[0:1], -8, v[0:1]
	s_delay_alu instid0(VALU_DEP_1)
	v_dual_cndmask_b32 v1, v1, v3, s11 :: v_dual_cndmask_b32 v0, v0, v2, s11
	s_and_saveexec_b32 s84, s12
	s_cbranch_execz .LBB100_32
; %bb.31:                               ;   in Loop: Header=BB100_4 Depth=1
	global_load_b64 v[6:7], v[0:1], off
.LBB100_32:                             ;   in Loop: Header=BB100_4 Depth=1
	s_wait_xcnt 0x0
	s_or_b32 exec_lo, exec_lo, s84
	s_wait_loadcnt 0x0
	ds_store_b64 v202, v[6:7]
	s_and_saveexec_b32 s84, s13
	s_cbranch_execz .LBB100_34
; %bb.33:                               ;   in Loop: Header=BB100_4 Depth=1
	v_lshl_add_u64 v[6:7], s[38:39], 3, v[0:1]
	global_load_b64 v[8:9], v[6:7], off
.LBB100_34:                             ;   in Loop: Header=BB100_4 Depth=1
	s_wait_xcnt 0x0
	s_or_b32 exec_lo, exec_lo, s84
	v_mov_b64_e32 v[6:7], 0
	v_mov_b64_e32 v[10:11], 0
	s_wait_loadcnt 0x0
	ds_store_b64 v202, v[8:9] offset:2112
	s_and_saveexec_b32 s84, s14
	s_cbranch_execz .LBB100_36
; %bb.35:                               ;   in Loop: Header=BB100_4 Depth=1
	v_lshl_add_u64 v[8:9], s[40:41], 3, v[0:1]
	global_load_b64 v[10:11], v[8:9], off
.LBB100_36:                             ;   in Loop: Header=BB100_4 Depth=1
	s_wait_xcnt 0x0
	s_or_b32 exec_lo, exec_lo, s84
	s_wait_loadcnt 0x0
	ds_store_b64 v202, v[10:11] offset:4224
	s_and_saveexec_b32 s84, s15
	s_cbranch_execz .LBB100_38
; %bb.37:                               ;   in Loop: Header=BB100_4 Depth=1
	v_lshl_add_u64 v[6:7], s[42:43], 3, v[0:1]
	global_load_b64 v[6:7], v[6:7], off
.LBB100_38:                             ;   in Loop: Header=BB100_4 Depth=1
	s_wait_xcnt 0x0
	s_or_b32 exec_lo, exec_lo, s84
	v_add_nc_u64_e32 v[0:1], v[0:1], v[56:57]
	s_mov_b32 s84, 0
	s_wait_loadcnt 0x0
	ds_store_b64 v202, v[6:7] offset:6336
	v_lshl_add_u64 v[0:1], s[48:49], 3, v[0:1]
	s_delay_alu instid0(VALU_DEP_1) | instskip(NEXT) | instid1(VALU_DEP_1)
	v_add_nc_u64_e32 v[0:1], 0x108, v[0:1]
	v_dual_cndmask_b32 v1, v1, v3, s11 :: v_dual_cndmask_b32 v0, v0, v2, s11
.LBB100_39:                             ;   in Loop: Header=BB100_4 Depth=1
	s_and_b32 vcc_lo, exec_lo, s84
	s_cbranch_vccz .LBB100_41
; %bb.40:                               ;   in Loop: Header=BB100_4 Depth=1
	v_lshl_add_u64 v[0:1], s[38:39], 3, v[4:5]
	s_delay_alu instid0(VALU_DEP_1) | instskip(NEXT) | instid1(VALU_DEP_1)
	v_add_nc_u64_e32 v[6:7], s[50:51], v[0:1]
	v_add_nc_u64_e32 v[8:9], s[50:51], v[6:7]
	s_clause 0x3
	global_load_b64 v[4:5], v[4:5], off offset:256
	global_load_b64 v[10:11], v[0:1], off offset:256
	;; [unrolled: 1-line block ×4, first 2 shown]
	s_wait_xcnt 0x2
	v_mov_b64_e32 v[0:1], v[2:3]
	s_wait_loadcnt 0x3
	ds_store_b64 v202, v[4:5]
	s_wait_loadcnt 0x2
	ds_store_b64 v202, v[10:11] offset:2112
	s_wait_loadcnt 0x1
	ds_store_b64 v202, v[6:7] offset:4224
	;; [unrolled: 2-line block ×3, first 2 shown]
.LBB100_41:                             ;   in Loop: Header=BB100_4 Depth=1
	s_wait_dscnt 0x0
	s_barrier_signal -1
	s_barrier_wait -1
	s_wait_xcnt 0x0
	s_and_saveexec_b32 s84, s6
	s_cbranch_execnz .LBB100_126
; %bb.42:                               ;   in Loop: Header=BB100_4 Depth=1
	s_or_b32 exec_lo, exec_lo, s84
	s_and_saveexec_b32 s84, s7
	s_cbranch_execnz .LBB100_127
.LBB100_43:                             ;   in Loop: Header=BB100_4 Depth=1
	s_or_b32 exec_lo, exec_lo, s84
	s_and_saveexec_b32 s84, s8
	s_cbranch_execnz .LBB100_128
.LBB100_44:                             ;   in Loop: Header=BB100_4 Depth=1
	s_or_b32 exec_lo, exec_lo, s84
	s_and_saveexec_b32 s84, s9
	s_cbranch_execz .LBB100_46
.LBB100_45:                             ;   in Loop: Header=BB100_4 Depth=1
	ds_load_b64 v[2:3], v204 offset:528
	s_wait_dscnt 0x0
	ds_store_b64 v177, v[2:3] offset:24
.LBB100_46:                             ;   in Loop: Header=BB100_4 Depth=1
	s_or_b32 exec_lo, exec_lo, s84
	s_wait_dscnt 0x0
	s_barrier_signal -1
	s_barrier_wait -1
	ds_load_b64 v[10:11], v203
	ds_load_b128 v[2:5], v178 offset:256
	ds_load_b128 v[6:9], v178 offset:272
	ds_load_b64 v[18:19], v204 offset:528
	ds_load_2addr_b64 v[14:17], v204 offset1:33
	s_wait_dscnt 0x0
	s_barrier_signal -1
	s_barrier_wait -1
	v_fma_f64 v[2:3], v[10:11], v[2:3], 0
	s_delay_alu instid0(VALU_DEP_1) | instskip(NEXT) | instid1(VALU_DEP_1)
	v_fmac_f64_e32 v[2:3], v[14:15], v[4:5]
	v_fmac_f64_e32 v[2:3], v[16:17], v[6:7]
	s_delay_alu instid0(VALU_DEP_1)
	v_fmac_f64_e32 v[2:3], v[18:19], v[8:9]
	ds_store_b64 v179, v[2:3]
	s_wait_dscnt 0x0
	s_barrier_signal -1
	s_barrier_wait -1
	s_and_saveexec_b32 s84, s16
	s_cbranch_execz .LBB100_48
; %bb.47:                               ;   in Loop: Header=BB100_4 Depth=1
	ds_load_2addr_b64 v[2:5], v176 offset1:1
	ds_load_2addr_b64 v[6:9], v176 offset0:2 offset1:3
	s_wait_dscnt 0x1
	v_add_f64_e32 v[2:3], v[2:3], v[4:5]
	s_wait_dscnt 0x0
	s_delay_alu instid0(VALU_DEP_1) | instskip(NEXT) | instid1(VALU_DEP_1)
	v_add_f64_e32 v[2:3], v[2:3], v[6:7]
	v_add_f64_e32 v[10:11], v[2:3], v[8:9]
	ds_load_2addr_b64 v[2:5], v176 offset0:4 offset1:5
	ds_load_2addr_b64 v[6:9], v176 offset0:6 offset1:7
	s_wait_dscnt 0x1
	v_add_f64_e32 v[2:3], v[10:11], v[2:3]
	s_delay_alu instid0(VALU_DEP_1) | instskip(SKIP_1) | instid1(VALU_DEP_1)
	v_add_f64_e32 v[2:3], v[2:3], v[4:5]
	s_wait_dscnt 0x0
	v_add_f64_e32 v[2:3], v[2:3], v[6:7]
	s_delay_alu instid0(VALU_DEP_1)
	v_add_f64_e32 v[88:89], v[2:3], v[8:9]
.LBB100_48:                             ;   in Loop: Header=BB100_4 Depth=1
	s_or_b32 exec_lo, exec_lo, s84
	v_add_nc_u64_e32 v[2:3], s[74:75], v[0:1]
	s_and_b32 vcc_lo, exec_lo, s89
	s_mov_b32 s84, -1
	s_barrier_signal -1
	s_barrier_wait -1
                                        ; implicit-def: $vgpr14_vgpr15
	s_cbranch_vccz .LBB100_58
; %bb.49:                               ;   in Loop: Header=BB100_4 Depth=1
	v_lshl_add_u64 v[4:5], v[58:59], 3, v[0:1]
	v_mov_b64_e32 v[8:9], 0
	v_mov_b64_e32 v[6:7], 0
	s_delay_alu instid0(VALU_DEP_3) | instskip(NEXT) | instid1(VALU_DEP_1)
	v_lshl_add_u64 v[4:5], s[26:27], 3, v[4:5]
	v_add_nc_u64_e32 v[4:5], s[76:77], v[4:5]
	s_delay_alu instid0(VALU_DEP_1)
	v_dual_cndmask_b32 v5, v5, v3, s1 :: v_dual_cndmask_b32 v4, v4, v2, s1
	s_and_saveexec_b32 s84, s12
	s_cbranch_execz .LBB100_51
; %bb.50:                               ;   in Loop: Header=BB100_4 Depth=1
	global_load_b64 v[6:7], v[4:5], off
.LBB100_51:                             ;   in Loop: Header=BB100_4 Depth=1
	s_wait_xcnt 0x0
	s_or_b32 exec_lo, exec_lo, s84
	s_wait_loadcnt 0x0
	ds_store_b64 v202, v[6:7]
	s_and_saveexec_b32 s84, s13
	s_cbranch_execz .LBB100_53
; %bb.52:                               ;   in Loop: Header=BB100_4 Depth=1
	v_lshl_add_u64 v[6:7], s[38:39], 3, v[4:5]
	global_load_b64 v[8:9], v[6:7], off
.LBB100_53:                             ;   in Loop: Header=BB100_4 Depth=1
	s_wait_xcnt 0x0
	s_or_b32 exec_lo, exec_lo, s84
	v_mov_b64_e32 v[6:7], 0
	v_mov_b64_e32 v[10:11], 0
	s_wait_loadcnt 0x0
	ds_store_b64 v202, v[8:9] offset:2112
	s_and_saveexec_b32 s84, s14
	s_cbranch_execz .LBB100_55
; %bb.54:                               ;   in Loop: Header=BB100_4 Depth=1
	v_lshl_add_u64 v[8:9], s[40:41], 3, v[4:5]
	global_load_b64 v[10:11], v[8:9], off
.LBB100_55:                             ;   in Loop: Header=BB100_4 Depth=1
	s_wait_xcnt 0x0
	s_or_b32 exec_lo, exec_lo, s84
	s_wait_loadcnt 0x0
	ds_store_b64 v202, v[10:11] offset:4224
	s_and_saveexec_b32 s84, s15
	s_cbranch_execz .LBB100_57
; %bb.56:                               ;   in Loop: Header=BB100_4 Depth=1
	v_lshl_add_u64 v[6:7], s[42:43], 3, v[4:5]
	global_load_b64 v[6:7], v[6:7], off
.LBB100_57:                             ;   in Loop: Header=BB100_4 Depth=1
	s_wait_xcnt 0x0
	s_or_b32 exec_lo, exec_lo, s84
	v_add_nc_u64_e32 v[4:5], v[4:5], v[56:57]
	s_mov_b32 s84, 0
	s_wait_loadcnt 0x0
	ds_store_b64 v202, v[6:7] offset:6336
	v_lshl_add_u64 v[4:5], s[48:49], 3, v[4:5]
	s_delay_alu instid0(VALU_DEP_1) | instskip(NEXT) | instid1(VALU_DEP_1)
	v_add_nc_u64_e32 v[4:5], 8, v[4:5]
	v_dual_cndmask_b32 v15, v5, v3, s1 :: v_dual_cndmask_b32 v14, v4, v2, s1
.LBB100_58:                             ;   in Loop: Header=BB100_4 Depth=1
	s_and_b32 vcc_lo, exec_lo, s84
	s_cbranch_vccz .LBB100_60
; %bb.59:                               ;   in Loop: Header=BB100_4 Depth=1
	v_lshl_add_u64 v[4:5], s[38:39], 3, v[0:1]
	v_mov_b64_e32 v[14:15], v[2:3]
	s_delay_alu instid0(VALU_DEP_2) | instskip(NEXT) | instid1(VALU_DEP_1)
	v_add_nc_u64_e32 v[6:7], s[50:51], v[4:5]
	v_add_nc_u64_e32 v[8:9], s[50:51], v[6:7]
	s_clause 0x3
	global_load_b64 v[0:1], v[0:1], off offset:-256
	global_load_b64 v[4:5], v[4:5], off offset:-256
	global_load_b64 v[6:7], v[6:7], off offset:-256
	global_load_b64 v[8:9], v[8:9], off offset:-256
	s_wait_loadcnt 0x3
	ds_store_b64 v202, v[0:1]
	s_wait_loadcnt 0x2
	ds_store_b64 v202, v[4:5] offset:2112
	s_wait_loadcnt 0x1
	ds_store_b64 v202, v[6:7] offset:4224
	;; [unrolled: 2-line block ×3, first 2 shown]
.LBB100_60:                             ;   in Loop: Header=BB100_4 Depth=1
	s_wait_xcnt 0x3
	v_dual_add_nc_u32 v0, v177, v181 :: v_dual_add_nc_u32 v2, v178, v181
	s_wait_dscnt 0x0
	s_barrier_signal -1
	s_barrier_wait -1
	ds_load_b64 v[0:1], v0
	ds_load_b64 v[2:3], v2
	s_wait_xcnt 0x0
	ds_load_b64 v[8:9], v201 offset:192
	s_wait_dscnt 0x1
	v_fma_f64 v[20:21], v[0:1], v[2:3], 0
	ds_load_2addr_b64 v[0:3], v200 offset0:8 offset1:16
	ds_load_2addr_b64 v[4:7], v201 offset0:8 offset1:16
	s_wait_dscnt 0x0
	v_fmac_f64_e32 v[20:21], v[0:1], v[4:5]
	ds_load_b64 v[0:1], v200 offset:192
	v_fmac_f64_e32 v[20:21], v[2:3], v[6:7]
	s_wait_dscnt 0x0
	s_delay_alu instid0(VALU_DEP_1)
	v_fmac_f64_e32 v[20:21], v[0:1], v[8:9]
	ds_load_b128 v[8:11], v178 offset:256
	ds_load_b128 v[0:3], v178 offset:272
	ds_load_2addr_b64 v[4:7], v204 offset1:33
	ds_load_b64 v[18:19], v203
	ds_load_b64 v[16:17], v204 offset:528
	s_wait_dscnt 0x0
	s_barrier_signal -1
	s_barrier_wait -1
	ds_store_b64 v179, v[20:21]
	s_wait_dscnt 0x0
	s_barrier_signal -1
	s_barrier_wait -1
	s_and_saveexec_b32 s84, s16
	s_cbranch_execz .LBB100_62
; %bb.61:                               ;   in Loop: Header=BB100_4 Depth=1
	ds_load_2addr_b64 v[20:23], v176 offset1:1
	ds_load_2addr_b64 v[24:27], v176 offset0:2 offset1:3
	s_wait_dscnt 0x1
	v_add_f64_e32 v[20:21], v[88:89], v[20:21]
	s_delay_alu instid0(VALU_DEP_1) | instskip(SKIP_1) | instid1(VALU_DEP_1)
	v_add_f64_e32 v[20:21], v[20:21], v[22:23]
	s_wait_dscnt 0x0
	v_add_f64_e32 v[20:21], v[20:21], v[24:25]
	s_delay_alu instid0(VALU_DEP_1) | instskip(SKIP_4) | instid1(VALU_DEP_1)
	v_add_f64_e32 v[28:29], v[20:21], v[26:27]
	ds_load_2addr_b64 v[20:23], v176 offset0:4 offset1:5
	ds_load_2addr_b64 v[24:27], v176 offset0:6 offset1:7
	s_wait_dscnt 0x1
	v_add_f64_e32 v[20:21], v[28:29], v[20:21]
	v_add_f64_e32 v[20:21], v[20:21], v[22:23]
	s_wait_dscnt 0x0
	s_delay_alu instid0(VALU_DEP_1) | instskip(NEXT) | instid1(VALU_DEP_1)
	v_add_f64_e32 v[20:21], v[20:21], v[24:25]
	v_add_f64_e32 v[88:89], v[20:21], v[26:27]
.LBB100_62:                             ;   in Loop: Header=BB100_4 Depth=1
	s_or_b32 exec_lo, exec_lo, s84
	v_fma_f64 v[8:9], v[18:19], v[8:9], 0
	s_barrier_signal -1
	s_barrier_wait -1
	s_delay_alu instid0(VALU_DEP_1) | instskip(NEXT) | instid1(VALU_DEP_1)
	v_fmac_f64_e32 v[8:9], v[4:5], v[10:11]
	v_fmac_f64_e32 v[8:9], v[6:7], v[0:1]
	s_delay_alu instid0(VALU_DEP_1)
	v_fmac_f64_e32 v[8:9], v[16:17], v[2:3]
	ds_store_b64 v179, v[8:9]
	s_wait_dscnt 0x0
	s_barrier_signal -1
	s_barrier_wait -1
	s_and_saveexec_b32 s84, s10
	s_cbranch_execz .LBB100_64
; %bb.63:                               ;   in Loop: Header=BB100_4 Depth=1
	ds_load_2addr_b64 v[0:3], v176 offset1:1
	ds_load_2addr_b64 v[4:7], v176 offset0:2 offset1:3
	s_wait_dscnt 0x1
	v_add_f64_e32 v[0:1], v[88:89], v[0:1]
	s_delay_alu instid0(VALU_DEP_1) | instskip(SKIP_1) | instid1(VALU_DEP_1)
	v_add_f64_e32 v[0:1], v[0:1], v[2:3]
	s_wait_dscnt 0x0
	v_add_f64_e32 v[0:1], v[0:1], v[4:5]
	s_delay_alu instid0(VALU_DEP_1) | instskip(SKIP_4) | instid1(VALU_DEP_1)
	v_add_f64_e32 v[8:9], v[0:1], v[6:7]
	ds_load_2addr_b64 v[0:3], v176 offset0:4 offset1:5
	ds_load_2addr_b64 v[4:7], v176 offset0:6 offset1:7
	s_wait_dscnt 0x1
	v_add_f64_e32 v[0:1], v[8:9], v[0:1]
	v_add_f64_e32 v[0:1], v[0:1], v[2:3]
	s_wait_dscnt 0x0
	s_delay_alu instid0(VALU_DEP_1) | instskip(NEXT) | instid1(VALU_DEP_1)
	v_add_f64_e32 v[0:1], v[0:1], v[4:5]
	v_add_f64_e32 v[88:89], v[0:1], v[6:7]
.LBB100_64:                             ;   in Loop: Header=BB100_4 Depth=1
	s_or_b32 exec_lo, exec_lo, s84
	s_mul_u64 s[84:85], s[34:35], s[28:29]
	s_and_not1_b32 vcc_lo, exec_lo, s90
	s_lshl_b64 s[84:85], s[84:85], 3
	s_delay_alu instid0(SALU_CYCLE_1)
	s_add_nc_u64 s[84:85], s[36:37], s[84:85]
	s_barrier_signal -1
	s_barrier_wait -1
	s_cbranch_vccnz .LBB100_121
; %bb.65:                               ;   in Loop: Header=BB100_4 Depth=1
	v_add_nc_u64_e32 v[92:93], s[52:53], v[14:15]
	v_add_nc_u64_e32 v[94:95], v[14:15], v[70:71]
	v_add_nc_u64_e32 v[96:97], s[54:55], v[14:15]
	v_add_nc_u64_e32 v[98:99], s[56:57], v[14:15]
	v_add_nc_u64_e32 v[100:101], s[58:59], v[14:15]
	v_add_nc_u64_e32 v[102:103], s[60:61], v[14:15]
	v_add_nc_u64_e32 v[104:105], s[62:63], v[14:15]
	v_add_nc_u64_e32 v[106:107], s[64:65], v[14:15]
	v_add_nc_u64_e32 v[108:109], s[66:67], v[14:15]
	v_add_nc_u64_e32 v[110:111], s[68:69], v[14:15]
	v_add_nc_u64_e32 v[112:113], v[14:15], v[72:73]
	v_add_nc_u64_e32 v[114:115], s[70:71], v[14:15]
	v_add_nc_u64_e32 v[116:117], s[72:73], v[14:15]
	v_add_nc_u64_e32 v[118:119], s[78:79], v[14:15]
	v_add_nc_u64_e32 v[120:121], s[80:81], v[14:15]
	v_add_nc_u64_e32 v[122:123], s[82:83], v[14:15]
	v_add_nc_u64_e32 v[124:125], v[14:15], v[76:77]
	v_add_nc_u64_e32 v[126:127], v[14:15], v[80:81]
	v_add_nc_u64_e32 v[128:129], v[14:15], v[82:83]
	v_add_nc_u64_e32 v[130:131], v[14:15], v[84:85]
	v_add_nc_u64_e32 v[132:133], v[14:15], v[86:87]
	v_add_nc_u64_e32 v[134:135], v[14:15], v[78:79]
	v_add_nc_u64_e32 v[136:137], v[14:15], v[74:75]
	v_lshl_add_u64 v[90:91], s[46:47], 3, v[12:13]
	v_lshl_add_u64 v[138:139], s[44:45], 3, v[14:15]
	v_mov_b32_e32 v211, v210
	s_mov_b32 s86, s94
	s_mov_b32 s95, s22
	s_delay_alu instid0(SALU_CYCLE_1)
	s_cmp_eq_u32 s91, s95
	s_cselect_b32 s96, s31, 0
	s_and_saveexec_b32 s97, s0
	s_cbranch_execz .LBB100_69
.LBB100_66:                             ;   in Loop: Header=BB100_4 Depth=1
	v_cmp_gt_i32_e32 vcc_lo, s96, v172
	v_mov_b64_e32 v[0:1], 0
	s_cmp_eq_u32 s96, 0
	s_cselect_b32 s87, -1, 0
	s_delay_alu instid0(SALU_CYCLE_1) | instskip(NEXT) | instid1(SALU_CYCLE_1)
	s_or_b32 s87, s87, vcc_lo
	s_and_saveexec_b32 s98, s87
	s_cbranch_execz .LBB100_68
; %bb.67:                               ;   in Loop: Header=BB100_4 Depth=1
	s_ashr_i32 s87, s86, 31
	s_delay_alu instid0(SALU_CYCLE_1)
	v_lshl_add_u64 v[0:1], s[86:87], 3, v[90:91]
	global_load_b64 v[0:1], v[0:1], off
.LBB100_68:                             ;   in Loop: Header=BB100_4 Depth=1
	s_wait_xcnt 0x0
	s_or_b32 exec_lo, exec_lo, s98
	s_wait_loadcnt 0x0
	ds_store_b64 v182, v[0:1]
.LBB100_69:                             ;   Parent Loop BB100_4 Depth=1
                                        ; =>  This Inner Loop Header: Depth=2
	s_or_b32 exec_lo, exec_lo, s97
	s_cmp_eq_u32 s96, 0
	v_add_nc_u64_e32 v[0:1], v[138:139], v[68:69]
	s_cselect_b32 s87, -1, 0
	s_cmp_lg_u32 s96, 0
	s_mov_b32 s98, -1
	s_cselect_b32 s97, -1, 0
	s_wait_dscnt 0x0
	s_and_b32 vcc_lo, exec_lo, s97
	s_barrier_signal -1
	s_barrier_wait -1
                                        ; implicit-def: $vgpr144_vgpr145
                                        ; implicit-def: $vgpr146_vgpr147
                                        ; implicit-def: $vgpr140_vgpr141
                                        ; implicit-def: $vgpr142_vgpr143
	s_cbranch_vccz .LBB100_79
; %bb.70:                               ;   in Loop: Header=BB100_69 Depth=2
	v_mov_b64_e32 v[140:141], 0
	v_mov_b64_e32 v[142:143], 0
	s_mov_b32 s98, exec_lo
	v_cmpx_gt_i32_e64 s96, v180
	s_cbranch_execz .LBB100_72
; %bb.71:                               ;   in Loop: Header=BB100_69 Depth=2
	global_load_b64 v[142:143], v[0:1], off
.LBB100_72:                             ;   in Loop: Header=BB100_69 Depth=2
	s_wait_xcnt 0x0
	s_or_b32 exec_lo, exec_lo, s98
	s_delay_alu instid0(SALU_CYCLE_1)
	s_mov_b32 s98, exec_lo
	v_cmpx_gt_i32_e64 s96, v188
	s_cbranch_execz .LBB100_74
; %bb.73:                               ;   in Loop: Header=BB100_69 Depth=2
	v_add_nc_u64_e32 v[2:3], v[96:97], v[68:69]
	global_load_b64 v[140:141], v[2:3], off
.LBB100_74:                             ;   in Loop: Header=BB100_69 Depth=2
	s_wait_xcnt 0x0
	s_or_b32 exec_lo, exec_lo, s98
	v_mov_b64_e32 v[144:145], 0
	v_mov_b64_e32 v[146:147], 0
	s_mov_b32 s98, exec_lo
	v_cmpx_gt_i32_e64 s96, v189
	s_cbranch_execz .LBB100_76
; %bb.75:                               ;   in Loop: Header=BB100_69 Depth=2
	v_add_nc_u64_e32 v[2:3], v[98:99], v[68:69]
	global_load_b64 v[146:147], v[2:3], off
.LBB100_76:                             ;   in Loop: Header=BB100_69 Depth=2
	s_wait_xcnt 0x0
	s_or_b32 exec_lo, exec_lo, s98
	s_delay_alu instid0(SALU_CYCLE_1)
	s_mov_b32 s98, exec_lo
	v_cmpx_gt_i32_e64 s96, v190
	s_cbranch_execz .LBB100_78
; %bb.77:                               ;   in Loop: Header=BB100_69 Depth=2
	v_add_nc_u64_e32 v[2:3], v[100:101], v[68:69]
	global_load_b64 v[144:145], v[2:3], off
.LBB100_78:                             ;   in Loop: Header=BB100_69 Depth=2
	s_wait_xcnt 0x0
	s_or_b32 exec_lo, exec_lo, s98
	s_mov_b32 s98, 0
.LBB100_79:                             ;   in Loop: Header=BB100_69 Depth=2
	s_delay_alu instid0(SALU_CYCLE_1)
	s_and_b32 vcc_lo, exec_lo, s98
	s_cbranch_vccz .LBB100_81
; %bb.80:                               ;   in Loop: Header=BB100_69 Depth=2
	v_add_nc_u64_e32 v[2:3], v[96:97], v[68:69]
	v_add_nc_u64_e32 v[4:5], v[92:93], v[68:69]
	;; [unrolled: 1-line block ×3, first 2 shown]
	s_wait_loadcnt 0x0
	global_load_b64 v[142:143], v[0:1], off
	global_load_b64 v[140:141], v[2:3], off
	;; [unrolled: 1-line block ×4, first 2 shown]
.LBB100_81:                             ;   in Loop: Header=BB100_69 Depth=2
	s_wait_xcnt 0x1
	ds_load_b64 v[4:5], v174
	ds_load_b128 v[0:3], v183
	v_cndmask_b32_e64 v44, 0, 1, s97
	s_and_not1_b32 vcc_lo, exec_lo, s97
	s_mov_b32 s97, -1
                                        ; implicit-def: $vgpr152_vgpr153
                                        ; implicit-def: $vgpr154_vgpr155
                                        ; implicit-def: $vgpr148_vgpr149
                                        ; implicit-def: $vgpr150_vgpr151
	s_wait_loadcnt_dscnt 0x1
	v_mul_f64_e32 v[8:9], v[142:143], v[4:5]
	v_mul_f64_e32 v[10:11], v[140:141], v[4:5]
	;; [unrolled: 1-line block ×4, first 2 shown]
	s_wait_xcnt 0x0
	ds_load_b128 v[4:7], v183 offset:16
	ds_store_2addr_b64 v184, v[8:9], v[10:11] offset1:67
	ds_store_2addr_b64 v184, v[12:13], v[14:15] offset0:134 offset1:201
	s_wait_dscnt 0x0
	s_barrier_signal -1
	s_barrier_wait -1
	ds_load_2addr_b64 v[16:19], v185 offset1:1
	ds_load_2addr_b64 v[8:11], v185 offset0:2 offset1:3
	v_add_nc_u64_e32 v[12:13], v[102:103], v[68:69]
	s_wait_dscnt 0x0
	s_barrier_signal -1
	s_barrier_wait -1
	s_cbranch_vccnz .LBB100_91
; %bb.82:                               ;   in Loop: Header=BB100_69 Depth=2
	v_mov_b64_e32 v[148:149], 0
	v_mov_b64_e32 v[150:151], 0
	s_mov_b32 s97, exec_lo
	v_cmpx_gt_i32_e64 s96, v191
	s_cbranch_execz .LBB100_84
; %bb.83:                               ;   in Loop: Header=BB100_69 Depth=2
	global_load_b64 v[150:151], v[12:13], off
.LBB100_84:                             ;   in Loop: Header=BB100_69 Depth=2
	s_wait_xcnt 0x0
	s_or_b32 exec_lo, exec_lo, s97
	s_delay_alu instid0(SALU_CYCLE_1)
	s_mov_b32 s97, exec_lo
	v_cmpx_gt_i32_e64 s96, v192
	s_cbranch_execz .LBB100_86
; %bb.85:                               ;   in Loop: Header=BB100_69 Depth=2
	v_add_nc_u64_e32 v[14:15], v[104:105], v[68:69]
	global_load_b64 v[148:149], v[14:15], off
.LBB100_86:                             ;   in Loop: Header=BB100_69 Depth=2
	s_wait_xcnt 0x0
	s_or_b32 exec_lo, exec_lo, s97
	v_mov_b64_e32 v[152:153], 0
	v_mov_b64_e32 v[154:155], 0
	s_mov_b32 s97, exec_lo
	v_cmpx_gt_i32_e64 s96, v193
	s_cbranch_execz .LBB100_88
; %bb.87:                               ;   in Loop: Header=BB100_69 Depth=2
	v_add_nc_u64_e32 v[14:15], v[106:107], v[68:69]
	global_load_b64 v[154:155], v[14:15], off
.LBB100_88:                             ;   in Loop: Header=BB100_69 Depth=2
	s_wait_xcnt 0x0
	s_or_b32 exec_lo, exec_lo, s97
	s_delay_alu instid0(SALU_CYCLE_1)
	s_mov_b32 s97, exec_lo
	v_cmpx_gt_i32_e64 s96, v194
	s_cbranch_execz .LBB100_90
; %bb.89:                               ;   in Loop: Header=BB100_69 Depth=2
	v_add_nc_u64_e32 v[14:15], v[108:109], v[68:69]
	global_load_b64 v[152:153], v[14:15], off
.LBB100_90:                             ;   in Loop: Header=BB100_69 Depth=2
	s_wait_xcnt 0x0
	s_or_b32 exec_lo, exec_lo, s97
	s_mov_b32 s97, 0
.LBB100_91:                             ;   in Loop: Header=BB100_69 Depth=2
	s_delay_alu instid0(SALU_CYCLE_1)
	s_and_b32 vcc_lo, exec_lo, s97
	s_cbranch_vccz .LBB100_93
; %bb.92:                               ;   in Loop: Header=BB100_69 Depth=2
	v_add_nc_u64_e32 v[14:15], v[104:105], v[68:69]
	v_add_nc_u64_e32 v[20:21], v[110:111], v[68:69]
	v_add_nc_u64_e32 v[22:23], v[112:113], v[66:67]
	s_wait_loadcnt 0x0
	global_load_b64 v[150:151], v[12:13], off
	global_load_b64 v[148:149], v[14:15], off
	;; [unrolled: 1-line block ×4, first 2 shown]
.LBB100_93:                             ;   in Loop: Header=BB100_69 Depth=2
	s_wait_xcnt 0x1
	ds_load_b64 v[20:21], v174
	ds_load_b128 v[12:15], v183 offset:128
	v_cmp_ne_u32_e32 vcc_lo, 1, v44
	s_mov_b32 s97, -1
                                        ; implicit-def: $vgpr160_vgpr161
                                        ; implicit-def: $vgpr162_vgpr163
                                        ; implicit-def: $vgpr156_vgpr157
                                        ; implicit-def: $vgpr158_vgpr159
	s_and_b32 vcc_lo, exec_lo, vcc_lo
	s_wait_loadcnt_dscnt 0x1
	v_mul_f64_e32 v[24:25], v[150:151], v[20:21]
	v_mul_f64_e32 v[26:27], v[148:149], v[20:21]
	;; [unrolled: 1-line block ×4, first 2 shown]
	s_wait_xcnt 0x0
	ds_load_b128 v[20:23], v183 offset:144
	ds_store_2addr_b64 v184, v[24:25], v[26:27] offset1:67
	ds_store_2addr_b64 v184, v[28:29], v[30:31] offset0:134 offset1:201
	s_wait_dscnt 0x0
	s_barrier_signal -1
	s_barrier_wait -1
	ds_load_2addr_b64 v[36:39], v185 offset1:1
	ds_load_2addr_b64 v[32:35], v185 offset0:2 offset1:3
	v_add_nc_u64_e32 v[24:25], v[114:115], v[68:69]
	s_wait_dscnt 0x0
	s_barrier_signal -1
	s_barrier_wait -1
	s_cbranch_vccnz .LBB100_103
; %bb.94:                               ;   in Loop: Header=BB100_69 Depth=2
	v_mov_b64_e32 v[156:157], 0
	v_mov_b64_e32 v[158:159], 0
	s_mov_b32 s97, exec_lo
	v_cmpx_gt_i32_e64 s96, v195
	s_cbranch_execz .LBB100_96
; %bb.95:                               ;   in Loop: Header=BB100_69 Depth=2
	global_load_b64 v[158:159], v[24:25], off
.LBB100_96:                             ;   in Loop: Header=BB100_69 Depth=2
	s_wait_xcnt 0x0
	s_or_b32 exec_lo, exec_lo, s97
	s_delay_alu instid0(SALU_CYCLE_1)
	s_mov_b32 s97, exec_lo
	v_cmpx_gt_i32_e64 s96, v196
	s_cbranch_execz .LBB100_98
; %bb.97:                               ;   in Loop: Header=BB100_69 Depth=2
	v_add_nc_u64_e32 v[26:27], v[116:117], v[68:69]
	global_load_b64 v[156:157], v[26:27], off
.LBB100_98:                             ;   in Loop: Header=BB100_69 Depth=2
	s_wait_xcnt 0x0
	s_or_b32 exec_lo, exec_lo, s97
	v_mov_b64_e32 v[160:161], 0
	v_mov_b64_e32 v[162:163], 0
	s_mov_b32 s97, exec_lo
	v_cmpx_gt_i32_e64 s96, v197
	s_cbranch_execz .LBB100_100
; %bb.99:                               ;   in Loop: Header=BB100_69 Depth=2
	v_add_nc_u64_e32 v[26:27], v[118:119], v[68:69]
	global_load_b64 v[162:163], v[26:27], off
.LBB100_100:                            ;   in Loop: Header=BB100_69 Depth=2
	s_wait_xcnt 0x0
	s_or_b32 exec_lo, exec_lo, s97
	s_delay_alu instid0(SALU_CYCLE_1)
	s_mov_b32 s97, exec_lo
	v_cmpx_gt_i32_e64 s96, v198
	s_cbranch_execz .LBB100_102
; %bb.101:                              ;   in Loop: Header=BB100_69 Depth=2
	v_add_nc_u64_e32 v[26:27], v[120:121], v[68:69]
	global_load_b64 v[160:161], v[26:27], off
.LBB100_102:                            ;   in Loop: Header=BB100_69 Depth=2
	s_wait_xcnt 0x0
	s_or_b32 exec_lo, exec_lo, s97
	s_mov_b32 s97, 0
.LBB100_103:                            ;   in Loop: Header=BB100_69 Depth=2
	s_delay_alu instid0(SALU_CYCLE_1)
	s_and_b32 vcc_lo, exec_lo, s97
	s_cbranch_vccz .LBB100_105
; %bb.104:                              ;   in Loop: Header=BB100_69 Depth=2
	v_add_nc_u64_e32 v[26:27], v[116:117], v[68:69]
	v_add_nc_u64_e32 v[28:29], v[122:123], v[68:69]
	;; [unrolled: 1-line block ×3, first 2 shown]
	s_wait_loadcnt 0x0
	global_load_b64 v[158:159], v[24:25], off
	global_load_b64 v[156:157], v[26:27], off
	;; [unrolled: 1-line block ×4, first 2 shown]
.LBB100_105:                            ;   in Loop: Header=BB100_69 Depth=2
	s_wait_xcnt 0x3
	ds_load_b64 v[24:25], v174
	v_cmp_ne_u32_e32 vcc_lo, 1, v44
	v_add_nc_u64_e32 v[44:45], v[126:127], v[66:67]
	s_mov_b32 s97, -1
                                        ; implicit-def: $vgpr168_vgpr169
                                        ; implicit-def: $vgpr170_vgpr171
                                        ; implicit-def: $vgpr164_vgpr165
                                        ; implicit-def: $vgpr166_vgpr167
	s_and_b32 vcc_lo, exec_lo, vcc_lo
	s_wait_loadcnt_dscnt 0x0
	v_mul_f64_e32 v[40:41], v[158:159], v[24:25]
	v_mul_f64_e32 v[42:43], v[156:157], v[24:25]
	;; [unrolled: 1-line block ×4, first 2 shown]
	s_wait_xcnt 0x0
	ds_load_b128 v[28:31], v183 offset:256
	ds_load_b128 v[24:27], v183 offset:272
	ds_store_2addr_b64 v184, v[40:41], v[42:43] offset1:67
	ds_store_2addr_b64 v184, v[46:47], v[48:49] offset0:134 offset1:201
	s_wait_dscnt 0x0
	s_barrier_signal -1
	s_barrier_wait -1
	ds_load_2addr_b64 v[52:55], v185 offset1:1
	ds_load_2addr_b64 v[40:43], v185 offset0:2 offset1:3
	s_wait_dscnt 0x0
	s_barrier_signal -1
	s_barrier_wait -1
	s_cbranch_vccnz .LBB100_115
; %bb.106:                              ;   in Loop: Header=BB100_69 Depth=2
	v_mov_b64_e32 v[164:165], 0
	v_mov_b64_e32 v[166:167], 0
	s_mov_b32 s97, exec_lo
	v_cmpx_gt_i32_e64 s96, v206
	s_cbranch_execz .LBB100_108
; %bb.107:                              ;   in Loop: Header=BB100_69 Depth=2
	global_load_b64 v[166:167], v[44:45], off
.LBB100_108:                            ;   in Loop: Header=BB100_69 Depth=2
	s_wait_xcnt 0x0
	s_or_b32 exec_lo, exec_lo, s97
	s_delay_alu instid0(SALU_CYCLE_1)
	s_mov_b32 s97, exec_lo
	v_cmpx_gt_i32_e64 s96, v207
	s_cbranch_execz .LBB100_110
; %bb.109:                              ;   in Loop: Header=BB100_69 Depth=2
	v_add_nc_u64_e32 v[46:47], v[128:129], v[66:67]
	global_load_b64 v[164:165], v[46:47], off
.LBB100_110:                            ;   in Loop: Header=BB100_69 Depth=2
	s_wait_xcnt 0x0
	s_or_b32 exec_lo, exec_lo, s97
	v_mov_b64_e32 v[168:169], 0
	v_mov_b64_e32 v[170:171], 0
	s_mov_b32 s97, exec_lo
	v_cmpx_gt_i32_e64 s96, v208
	s_cbranch_execz .LBB100_112
; %bb.111:                              ;   in Loop: Header=BB100_69 Depth=2
	v_add_nc_u64_e32 v[46:47], v[130:131], v[66:67]
	global_load_b64 v[170:171], v[46:47], off
.LBB100_112:                            ;   in Loop: Header=BB100_69 Depth=2
	s_wait_xcnt 0x0
	s_or_b32 exec_lo, exec_lo, s97
	s_delay_alu instid0(SALU_CYCLE_1)
	s_mov_b32 s97, exec_lo
	v_cmpx_gt_i32_e64 s96, v209
	s_cbranch_execz .LBB100_114
; %bb.113:                              ;   in Loop: Header=BB100_69 Depth=2
	v_add_nc_u64_e32 v[46:47], v[132:133], v[66:67]
	global_load_b64 v[168:169], v[46:47], off
.LBB100_114:                            ;   in Loop: Header=BB100_69 Depth=2
	s_wait_xcnt 0x0
	s_or_b32 exec_lo, exec_lo, s97
	s_mov_b32 s97, 0
.LBB100_115:                            ;   in Loop: Header=BB100_69 Depth=2
	s_delay_alu instid0(SALU_CYCLE_1)
	s_and_b32 vcc_lo, exec_lo, s97
	s_cbranch_vccz .LBB100_117
; %bb.116:                              ;   in Loop: Header=BB100_69 Depth=2
	v_add_nc_u64_e32 v[46:47], v[128:129], v[66:67]
	v_add_nc_u64_e32 v[48:49], v[134:135], v[66:67]
	;; [unrolled: 1-line block ×3, first 2 shown]
	s_wait_loadcnt 0x0
	global_load_b64 v[166:167], v[44:45], off
	global_load_b64 v[164:165], v[46:47], off
	;; [unrolled: 1-line block ×4, first 2 shown]
.LBB100_117:                            ;   in Loop: Header=BB100_69 Depth=2
	s_wait_xcnt 0x1
	ds_load_b64 v[48:49], v174
	ds_load_b128 v[44:47], v183 offset:384
	v_add_f64_e32 v[36:37], 0, v[36:37]
	v_add_f64_e32 v[16:17], 0, v[16:17]
	v_add_f64_e32 v[52:53], 0, v[52:53]
	v_cmp_gt_i32_e32 vcc_lo, s96, v172
	s_or_b32 s87, s87, vcc_lo
	s_delay_alu instid0(SALU_CYCLE_1)
	s_and_b32 s96, s17, s87
	s_wait_loadcnt_dscnt 0x1
	v_mul_f64_e32 v[212:213], v[166:167], v[48:49]
	v_mul_f64_e32 v[214:215], v[164:165], v[48:49]
	;; [unrolled: 1-line block ×4, first 2 shown]
	s_wait_xcnt 0x0
	ds_load_b128 v[48:51], v183 offset:400
	ds_store_2addr_b64 v184, v[212:213], v[214:215] offset1:67
	ds_store_2addr_b64 v184, v[216:217], v[218:219] offset0:134 offset1:201
	s_wait_dscnt 0x0
	s_barrier_signal -1
	s_barrier_wait -1
	ds_load_2addr_b64 v[212:215], v185 offset1:1
	ds_load_2addr_b64 v[216:219], v185 offset0:2 offset1:3
	v_add_f64_e32 v[36:37], v[36:37], v[38:39]
	v_add_f64_e32 v[16:17], v[16:17], v[18:19]
	;; [unrolled: 1-line block ×3, first 2 shown]
	s_wait_dscnt 0x0
	s_barrier_signal -1
	s_barrier_wait -1
	v_add_f64_e32 v[212:213], 0, v[212:213]
	s_delay_alu instid0(VALU_DEP_4) | instskip(NEXT) | instid1(VALU_DEP_4)
	v_add_f64_e32 v[32:33], v[36:37], v[32:33]
	v_add_f64_e32 v[8:9], v[16:17], v[8:9]
	s_delay_alu instid0(VALU_DEP_4) | instskip(NEXT) | instid1(VALU_DEP_4)
	v_add_f64_e32 v[38:39], v[52:53], v[40:41]
	;; [unrolled: 3-line block ×3, first 2 shown]
	v_add_f64_e32 v[8:9], v[8:9], v[10:11]
	s_delay_alu instid0(VALU_DEP_3) | instskip(SKIP_1) | instid1(VALU_DEP_2)
	v_add_f64_e32 v[16:17], v[18:19], v[216:217]
	v_add_f64_e32 v[18:19], v[38:39], v[42:43]
	;; [unrolled: 1-line block ×3, first 2 shown]
	ds_store_2addr_b64 v205, v[8:9], v[32:33] offset1:16
	ds_store_2addr_b64 v205, v[18:19], v[10:11] offset0:32 offset1:48
	s_wait_dscnt 0x0
	s_barrier_signal -1
	s_barrier_wait -1
	s_and_saveexec_b32 s87, s96
	s_cbranch_execz .LBB100_119
; %bb.118:                              ;   in Loop: Header=BB100_69 Depth=2
	ds_load_2addr_b64 v[8:11], v186 offset1:1
	ds_load_2addr_b64 v[16:19], v186 offset0:2 offset1:3
	s_wait_dscnt 0x1
	v_add_f64_e32 v[8:9], v[8:9], v[10:11]
	s_wait_dscnt 0x0
	s_delay_alu instid0(VALU_DEP_1) | instskip(NEXT) | instid1(VALU_DEP_1)
	v_add_f64_e32 v[8:9], v[8:9], v[16:17]
	v_add_f64_e32 v[32:33], v[8:9], v[18:19]
	ds_load_2addr_b64 v[8:11], v186 offset0:4 offset1:5
	ds_load_2addr_b64 v[16:19], v186 offset0:6 offset1:7
	s_wait_dscnt 0x1
	v_add_f64_e32 v[8:9], v[32:33], v[8:9]
	s_delay_alu instid0(VALU_DEP_1) | instskip(SKIP_1) | instid1(VALU_DEP_1)
	v_add_f64_e32 v[8:9], v[8:9], v[10:11]
	s_wait_dscnt 0x0
	v_add_f64_e32 v[8:9], v[8:9], v[16:17]
	s_delay_alu instid0(VALU_DEP_1) | instskip(SKIP_4) | instid1(VALU_DEP_1)
	v_add_f64_e32 v[32:33], v[8:9], v[18:19]
	ds_load_2addr_b64 v[8:11], v186 offset0:8 offset1:9
	ds_load_2addr_b64 v[16:19], v186 offset0:10 offset1:11
	s_wait_dscnt 0x1
	v_add_f64_e32 v[8:9], v[32:33], v[8:9]
	v_add_f64_e32 v[8:9], v[8:9], v[10:11]
	s_wait_dscnt 0x0
	s_delay_alu instid0(VALU_DEP_1) | instskip(NEXT) | instid1(VALU_DEP_1)
	v_add_f64_e32 v[8:9], v[8:9], v[16:17]
	v_add_f64_e32 v[16:17], v[8:9], v[18:19]
	ds_load_2addr_b64 v[8:11], v186 offset0:12 offset1:13
	ds_load_b64 v[18:19], v186 offset:112
	s_wait_dscnt 0x1
	v_add_f64_e32 v[8:9], v[16:17], v[8:9]
	s_delay_alu instid0(VALU_DEP_1) | instskip(SKIP_4) | instid1(VALU_DEP_1)
	v_add_f64_e32 v[8:9], v[8:9], v[10:11]
	ds_load_b64 v[10:11], v187
	s_wait_dscnt 0x1
	v_add_f64_e32 v[8:9], v[8:9], v[18:19]
	s_wait_dscnt 0x0
	v_add_f64_e32 v[8:9], v[8:9], v[10:11]
	global_store_b64 v211, v[8:9], s[84:85] scale_offset
.LBB100_119:                            ;   in Loop: Header=BB100_69 Depth=2
	s_wait_xcnt 0x0
	s_or_b32 exec_lo, exec_lo, s87
	v_fmac_f64_e32 v[88:89], v[142:143], v[0:1]
	v_add_nc_u64_e32 v[138:139], s[18:19], v[138:139]
	v_add_nc_u64_e32 v[92:93], s[18:19], v[92:93]
	;; [unrolled: 1-line block ×24, first 2 shown]
	v_add_nc_u32_e32 v211, 64, v211
	s_add_co_i32 s87, s95, 1
	s_add_co_i32 s95, s95, 2
	;; [unrolled: 1-line block ×3, first 2 shown]
	s_cmp_ge_u32 s95, s30
	s_wait_storecnt 0x0
	s_barrier_signal -1
	v_fmac_f64_e32 v[88:89], v[140:141], v[2:3]
	s_barrier_wait -1
	s_delay_alu instid0(VALU_DEP_1) | instskip(NEXT) | instid1(VALU_DEP_1)
	v_fmac_f64_e32 v[88:89], v[146:147], v[4:5]
	v_fmac_f64_e32 v[88:89], v[144:145], v[6:7]
	s_delay_alu instid0(VALU_DEP_1) | instskip(NEXT) | instid1(VALU_DEP_1)
	v_fmac_f64_e32 v[88:89], v[150:151], v[12:13]
	v_fmac_f64_e32 v[88:89], v[148:149], v[14:15]
	;; [unrolled: 3-line block ×7, first 2 shown]
	s_cbranch_scc1 .LBB100_121
; %bb.120:                              ;   in Loop: Header=BB100_69 Depth=2
	s_mov_b32 s95, s87
	s_delay_alu instid0(SALU_CYCLE_1)
	s_cmp_eq_u32 s91, s95
	s_cselect_b32 s96, s31, 0
	s_and_saveexec_b32 s97, s0
	s_cbranch_execnz .LBB100_66
	s_branch .LBB100_69
.LBB100_121:                            ;   in Loop: Header=BB100_4 Depth=1
	ds_store_b64 v199, v[88:89]
	s_wait_dscnt 0x0
	s_barrier_signal -1
	s_barrier_wait -1
	s_and_saveexec_b32 s86, s93
	s_cbranch_execz .LBB100_2
; %bb.122:                              ;   in Loop: Header=BB100_4 Depth=1
	ds_load_2addr_b64 v[0:3], v173 offset1:67
	s_wait_dscnt 0x0
	v_add_f64_e32 v[4:5], v[0:1], v[2:3]
	ds_load_2addr_b64 v[0:3], v173 offset0:134 offset1:201
	s_wait_dscnt 0x0
	v_add_f64_e32 v[0:1], v[4:5], v[0:1]
	s_delay_alu instid0(VALU_DEP_1)
	v_add_f64_e32 v[0:1], v[0:1], v[2:3]
	v_lshl_add_u64 v[2:3], v[60:61], 3, s[84:85]
	global_store_b64 v[2:3], v[0:1], off
	s_branch .LBB100_2
.LBB100_123:                            ;   in Loop: Header=BB100_4 Depth=1
	ds_load_b64 v[2:3], v203
	s_wait_dscnt 0x0
	ds_store_b64 v177, v[2:3]
	s_or_b32 exec_lo, exec_lo, s84
	s_and_saveexec_b32 s84, s7
	s_cbranch_execz .LBB100_24
.LBB100_124:                            ;   in Loop: Header=BB100_4 Depth=1
	ds_load_b64 v[2:3], v204
	s_wait_dscnt 0x0
	ds_store_b64 v177, v[2:3] offset:8
	s_or_b32 exec_lo, exec_lo, s84
	s_and_saveexec_b32 s84, s8
	s_cbranch_execz .LBB100_25
.LBB100_125:                            ;   in Loop: Header=BB100_4 Depth=1
	ds_load_b64 v[2:3], v204 offset:264
	s_wait_dscnt 0x0
	ds_store_b64 v177, v[2:3] offset:16
	s_or_b32 exec_lo, exec_lo, s84
	s_and_saveexec_b32 s84, s9
	s_cbranch_execnz .LBB100_26
	s_branch .LBB100_27
.LBB100_126:                            ;   in Loop: Header=BB100_4 Depth=1
	ds_load_b64 v[2:3], v203
	s_wait_dscnt 0x0
	ds_store_b64 v177, v[2:3]
	s_or_b32 exec_lo, exec_lo, s84
	s_and_saveexec_b32 s84, s7
	s_cbranch_execz .LBB100_43
.LBB100_127:                            ;   in Loop: Header=BB100_4 Depth=1
	ds_load_b64 v[2:3], v204
	s_wait_dscnt 0x0
	ds_store_b64 v177, v[2:3] offset:8
	s_or_b32 exec_lo, exec_lo, s84
	s_and_saveexec_b32 s84, s8
	s_cbranch_execz .LBB100_44
.LBB100_128:                            ;   in Loop: Header=BB100_4 Depth=1
	ds_load_b64 v[2:3], v204 offset:264
	s_wait_dscnt 0x0
	ds_store_b64 v177, v[2:3] offset:16
	s_or_b32 exec_lo, exec_lo, s84
	s_and_saveexec_b32 s84, s9
	s_cbranch_execnz .LBB100_45
	s_branch .LBB100_46
.LBB100_129:
	s_sendmsg sendmsg(MSG_DEALLOC_VGPRS)
	s_endpgm
	.section	.rodata,"a",@progbits
	.p2align	6, 0x0
	.amdhsa_kernel _ZL26rocblas_hemvn_kernel_upperILb0ELi64ELi4ELi33ELi32ELi16EidPKdPdEviT6_lT7_lT5_lS4_lS5_lS3_lT8_i
		.amdhsa_group_segment_fixed_size 9600
		.amdhsa_private_segment_fixed_size 0
		.amdhsa_kernarg_size 376
		.amdhsa_user_sgpr_count 2
		.amdhsa_user_sgpr_dispatch_ptr 0
		.amdhsa_user_sgpr_queue_ptr 0
		.amdhsa_user_sgpr_kernarg_segment_ptr 1
		.amdhsa_user_sgpr_dispatch_id 0
		.amdhsa_user_sgpr_kernarg_preload_length 0
		.amdhsa_user_sgpr_kernarg_preload_offset 0
		.amdhsa_user_sgpr_private_segment_size 0
		.amdhsa_wavefront_size32 1
		.amdhsa_uses_dynamic_stack 0
		.amdhsa_enable_private_segment 0
		.amdhsa_system_sgpr_workgroup_id_x 1
		.amdhsa_system_sgpr_workgroup_id_y 0
		.amdhsa_system_sgpr_workgroup_id_z 1
		.amdhsa_system_sgpr_workgroup_info 0
		.amdhsa_system_vgpr_workitem_id 1
		.amdhsa_next_free_vgpr 220
		.amdhsa_next_free_sgpr 99
		.amdhsa_named_barrier_count 0
		.amdhsa_reserve_vcc 1
		.amdhsa_float_round_mode_32 0
		.amdhsa_float_round_mode_16_64 0
		.amdhsa_float_denorm_mode_32 3
		.amdhsa_float_denorm_mode_16_64 3
		.amdhsa_fp16_overflow 0
		.amdhsa_memory_ordered 1
		.amdhsa_forward_progress 1
		.amdhsa_inst_pref_size 52
		.amdhsa_round_robin_scheduling 0
		.amdhsa_exception_fp_ieee_invalid_op 0
		.amdhsa_exception_fp_denorm_src 0
		.amdhsa_exception_fp_ieee_div_zero 0
		.amdhsa_exception_fp_ieee_overflow 0
		.amdhsa_exception_fp_ieee_underflow 0
		.amdhsa_exception_fp_ieee_inexact 0
		.amdhsa_exception_int_div_zero 0
	.end_amdhsa_kernel
	.section	.text._ZL26rocblas_hemvn_kernel_upperILb0ELi64ELi4ELi33ELi32ELi16EidPKdPdEviT6_lT7_lT5_lS4_lS5_lS3_lT8_i,"axG",@progbits,_ZL26rocblas_hemvn_kernel_upperILb0ELi64ELi4ELi33ELi32ELi16EidPKdPdEviT6_lT7_lT5_lS4_lS5_lS3_lT8_i,comdat
.Lfunc_end100:
	.size	_ZL26rocblas_hemvn_kernel_upperILb0ELi64ELi4ELi33ELi32ELi16EidPKdPdEviT6_lT7_lT5_lS4_lS5_lS3_lT8_i, .Lfunc_end100-_ZL26rocblas_hemvn_kernel_upperILb0ELi64ELi4ELi33ELi32ELi16EidPKdPdEviT6_lT7_lT5_lS4_lS5_lS3_lT8_i
                                        ; -- End function
	.set _ZL26rocblas_hemvn_kernel_upperILb0ELi64ELi4ELi33ELi32ELi16EidPKdPdEviT6_lT7_lT5_lS4_lS5_lS3_lT8_i.num_vgpr, 220
	.set _ZL26rocblas_hemvn_kernel_upperILb0ELi64ELi4ELi33ELi32ELi16EidPKdPdEviT6_lT7_lT5_lS4_lS5_lS3_lT8_i.num_agpr, 0
	.set _ZL26rocblas_hemvn_kernel_upperILb0ELi64ELi4ELi33ELi32ELi16EidPKdPdEviT6_lT7_lT5_lS4_lS5_lS3_lT8_i.numbered_sgpr, 99
	.set _ZL26rocblas_hemvn_kernel_upperILb0ELi64ELi4ELi33ELi32ELi16EidPKdPdEviT6_lT7_lT5_lS4_lS5_lS3_lT8_i.num_named_barrier, 0
	.set _ZL26rocblas_hemvn_kernel_upperILb0ELi64ELi4ELi33ELi32ELi16EidPKdPdEviT6_lT7_lT5_lS4_lS5_lS3_lT8_i.private_seg_size, 0
	.set _ZL26rocblas_hemvn_kernel_upperILb0ELi64ELi4ELi33ELi32ELi16EidPKdPdEviT6_lT7_lT5_lS4_lS5_lS3_lT8_i.uses_vcc, 1
	.set _ZL26rocblas_hemvn_kernel_upperILb0ELi64ELi4ELi33ELi32ELi16EidPKdPdEviT6_lT7_lT5_lS4_lS5_lS3_lT8_i.uses_flat_scratch, 0
	.set _ZL26rocblas_hemvn_kernel_upperILb0ELi64ELi4ELi33ELi32ELi16EidPKdPdEviT6_lT7_lT5_lS4_lS5_lS3_lT8_i.has_dyn_sized_stack, 0
	.set _ZL26rocblas_hemvn_kernel_upperILb0ELi64ELi4ELi33ELi32ELi16EidPKdPdEviT6_lT7_lT5_lS4_lS5_lS3_lT8_i.has_recursion, 0
	.set _ZL26rocblas_hemvn_kernel_upperILb0ELi64ELi4ELi33ELi32ELi16EidPKdPdEviT6_lT7_lT5_lS4_lS5_lS3_lT8_i.has_indirect_call, 0
	.section	.AMDGPU.csdata,"",@progbits
; Kernel info:
; codeLenInByte = 6612
; TotalNumSgprs: 101
; NumVgprs: 220
; ScratchSize: 0
; MemoryBound: 0
; FloatMode: 240
; IeeeMode: 1
; LDSByteSize: 9600 bytes/workgroup (compile time only)
; SGPRBlocks: 0
; VGPRBlocks: 13
; NumSGPRsForWavesPerEU: 101
; NumVGPRsForWavesPerEU: 220
; NamedBarCnt: 0
; Occupancy: 4
; WaveLimiterHint : 0
; COMPUTE_PGM_RSRC2:SCRATCH_EN: 0
; COMPUTE_PGM_RSRC2:USER_SGPR: 2
; COMPUTE_PGM_RSRC2:TRAP_HANDLER: 0
; COMPUTE_PGM_RSRC2:TGID_X_EN: 1
; COMPUTE_PGM_RSRC2:TGID_Y_EN: 0
; COMPUTE_PGM_RSRC2:TGID_Z_EN: 1
; COMPUTE_PGM_RSRC2:TIDIG_COMP_CNT: 1
	.section	.text._ZL36rocblas_hemvn_kernel_upper_block_sumILi64EidPddEviT1_lS1_lT2_lT0_lPT3_i,"axG",@progbits,_ZL36rocblas_hemvn_kernel_upper_block_sumILi64EidPddEviT1_lS1_lT2_lT0_lPT3_i,comdat
	.globl	_ZL36rocblas_hemvn_kernel_upper_block_sumILi64EidPddEviT1_lS1_lT2_lT0_lPT3_i ; -- Begin function _ZL36rocblas_hemvn_kernel_upper_block_sumILi64EidPddEviT1_lS1_lT2_lT0_lPT3_i
	.p2align	8
	.type	_ZL36rocblas_hemvn_kernel_upper_block_sumILi64EidPddEviT1_lS1_lT2_lT0_lPT3_i,@function
_ZL36rocblas_hemvn_kernel_upper_block_sumILi64EidPddEviT1_lS1_lT2_lT0_lPT3_i: ; @_ZL36rocblas_hemvn_kernel_upper_block_sumILi64EidPddEviT1_lS1_lT2_lT0_lPT3_i
; %bb.0:
	s_load_b32 s3, s[0:1], 0x50
	s_bfe_u32 s2, ttmp6, 0x40014
	s_lshr_b32 s4, ttmp7, 16
	s_add_co_i32 s2, s2, 1
	s_bfe_u32 s6, ttmp6, 0x40008
	s_mul_i32 s5, s4, s2
	s_getreg_b32 s2, hwreg(HW_REG_IB_STS2, 6, 4)
	s_add_co_i32 s6, s6, s5
	s_cmp_eq_u32 s2, 0
	s_mov_b32 s9, 0
	s_cselect_b32 s8, s4, s6
	s_wait_kmcnt 0x0
	s_cmp_ge_u32 s8, s3
	s_cbranch_scc1 .LBB101_25
; %bb.1:
	s_clause 0x4
	s_load_b64 s[10:11], s[0:1], 0x8
	s_load_b64 s[12:13], s[0:1], 0x18
	s_load_b128 s[24:27], s[0:1], 0x28
	s_load_b32 s20, s[0:1], 0x38
	s_load_b32 s16, s[0:1], 0x0
	s_bfe_u32 s14, ttmp6, 0x4000c
	s_and_b32 s15, ttmp6, 15
	s_add_co_i32 s14, s14, 1
	s_load_b128 s[4:7], s[0:1], 0x40
	s_mul_i32 s14, ttmp9, s14
	s_wait_xcnt 0x0
	s_add_nc_u64 s[0:1], s[0:1], 0x58
	s_add_co_i32 s21, s15, s14
	s_wait_kmcnt 0x0
	s_lshl_b64 s[14:15], s[26:27], 3
	v_cmp_neq_f64_e64 s17, s[10:11], 0
	v_cmp_neq_f64_e64 s19, s[12:13], 1.0
	v_cmp_eq_f64_e64 s18, s[12:13], 0
	s_add_nc_u64 s[14:15], s[24:25], s[14:15]
	s_or_b32 s19, s17, s19
	s_cmp_eq_u32 s2, 0
	s_cselect_b32 s23, ttmp9, s21
	v_cmp_neq_f64_e64 s21, s[12:13], 0
	v_lshl_or_b32 v2, s23, 6, v0
	s_ashr_i32 s17, s16, 31
	s_cmp_gt_i32 s23, -1
	s_cselect_b32 s22, -1, 0
	s_delay_alu instid0(VALU_DEP_1)
	v_mul_lo_u32 v0, s20, v2
	v_cmp_eq_f64_e64 s20, s[10:11], 0
	v_ashrrev_i32_e32 v3, 31, v2
	v_cmp_gt_i32_e64 s2, s16, v2
	s_add_co_i32 s23, s23, 1
	v_ashrrev_i32_e32 v1, 31, v0
	v_lshl_add_u64 v[2:3], v[2:3], 3, s[6:7]
	s_lshl_b64 s[6:7], s[16:17], 3
	s_branch .LBB101_4
.LBB101_2:                              ;   in Loop: Header=BB101_4 Depth=1
	s_wait_xcnt 0x0
	s_or_b32 exec_lo, exec_lo, s25
.LBB101_3:                              ;   in Loop: Header=BB101_4 Depth=1
	s_add_co_i32 s8, s8, 0x10000
	s_delay_alu instid0(SALU_CYCLE_1)
	s_cmp_lt_u32 s8, s3
	s_cbranch_scc0 .LBB101_25
.LBB101_4:                              ; =>This Loop Header: Depth=1
                                        ;     Child Loop BB101_16 Depth 2
	s_and_not1_b32 vcc_lo, exec_lo, s19
	s_cbranch_vccnz .LBB101_3
; %bb.5:                                ;   in Loop: Header=BB101_4 Depth=1
	s_mul_u64 s[16:17], s[4:5], s[8:9]
	s_and_not1_b32 vcc_lo, exec_lo, s20
	s_lshl_b64 s[16:17], s[16:17], 3
	s_delay_alu instid0(SALU_CYCLE_1)
	s_add_nc_u64 s[16:17], s[14:15], s[16:17]
	s_cbranch_vccnz .LBB101_9
; %bb.6:                                ;   in Loop: Header=BB101_4 Depth=1
	s_mov_b32 s25, 0
	s_mov_b32 s24, 0
                                        ; implicit-def: $vgpr4_vgpr5
	s_and_saveexec_b32 s26, s2
	s_cbranch_execz .LBB101_10
; %bb.7:                                ;   in Loop: Header=BB101_4 Depth=1
	s_and_not1_b32 vcc_lo, exec_lo, s21
	s_cbranch_vccnz .LBB101_11
; %bb.8:                                ;   in Loop: Header=BB101_4 Depth=1
	v_lshl_add_u64 v[4:5], v[0:1], 3, s[16:17]
	global_load_b64 v[4:5], v[4:5], off
	s_wait_loadcnt 0x0
	s_wait_xcnt 0x0
	v_mul_f64_e32 v[4:5], s[12:13], v[4:5]
	s_branch .LBB101_12
.LBB101_9:                              ;   in Loop: Header=BB101_4 Depth=1
	s_mov_b32 s24, 0
                                        ; implicit-def: $vgpr4_vgpr5
	s_cbranch_execnz .LBB101_13
	s_branch .LBB101_23
.LBB101_10:                             ;   in Loop: Header=BB101_4 Depth=1
	s_or_b32 exec_lo, exec_lo, s26
	s_delay_alu instid0(SALU_CYCLE_1)
	s_and_b32 vcc_lo, exec_lo, s25
	s_cbranch_vccnz .LBB101_13
	s_branch .LBB101_23
.LBB101_11:                             ;   in Loop: Header=BB101_4 Depth=1
	v_mov_b64_e32 v[4:5], 0
.LBB101_12:                             ;   in Loop: Header=BB101_4 Depth=1
	s_mov_b32 s24, exec_lo
	s_or_b32 exec_lo, exec_lo, s26
	s_delay_alu instid0(SALU_CYCLE_1)
	s_and_b32 vcc_lo, exec_lo, s25
	s_cbranch_vccz .LBB101_23
.LBB101_13:                             ;   in Loop: Header=BB101_4 Depth=1
                                        ; implicit-def: $vgpr4_vgpr5
	s_and_saveexec_b32 s25, s2
	s_cbranch_execz .LBB101_22
; %bb.14:                               ;   in Loop: Header=BB101_4 Depth=1
	v_mov_b64_e32 v[6:7], 0
	s_and_not1_b32 vcc_lo, exec_lo, s22
	s_cbranch_vccnz .LBB101_17
; %bb.15:                               ;   in Loop: Header=BB101_4 Depth=1
	s_load_b32 s26, s[0:1], 0x0
	s_mov_b32 s27, s9
	v_mov_b64_e32 v[6:7], 0
	s_wait_kmcnt 0x0
	s_mul_u64 s[26:27], s[6:7], s[26:27]
	s_delay_alu instid0(SALU_CYCLE_1) | instskip(SKIP_1) | instid1(VALU_DEP_1)
	v_mad_nc_u64_u32 v[4:5], s26, s8, v[2:3]
	s_mov_b32 s26, s23
	v_mad_u32 v5, s27, s8, v5
.LBB101_16:                             ;   Parent Loop BB101_4 Depth=1
                                        ; =>  This Inner Loop Header: Depth=2
	global_load_b64 v[8:9], v[4:5], off
	s_wait_xcnt 0x0
	v_add_nc_u64_e32 v[4:5], s[6:7], v[4:5]
	s_add_co_i32 s26, s26, -1
	s_delay_alu instid0(SALU_CYCLE_1)
	s_cmp_eq_u32 s26, 0
	s_wait_loadcnt 0x0
	v_add_f64_e32 v[6:7], v[6:7], v[8:9]
	s_cbranch_scc0 .LBB101_16
.LBB101_17:                             ;   in Loop: Header=BB101_4 Depth=1
	s_and_b32 vcc_lo, exec_lo, s18
	s_mov_b32 s26, -1
                                        ; implicit-def: $vgpr4_vgpr5
	s_cbranch_vccz .LBB101_19
; %bb.18:                               ;   in Loop: Header=BB101_4 Depth=1
	s_delay_alu instid0(VALU_DEP_1)
	v_mul_f64_e32 v[4:5], s[10:11], v[6:7]
	s_mov_b32 s26, 0
.LBB101_19:                             ;   in Loop: Header=BB101_4 Depth=1
	s_delay_alu instid0(SALU_CYCLE_1)
	s_and_not1_b32 vcc_lo, exec_lo, s26
	s_cbranch_vccnz .LBB101_21
; %bb.20:                               ;   in Loop: Header=BB101_4 Depth=1
	v_lshl_add_u64 v[4:5], v[0:1], 3, s[16:17]
	global_load_b64 v[4:5], v[4:5], off
	s_wait_loadcnt 0x0
	s_wait_xcnt 0x0
	v_mul_f64_e32 v[4:5], s[12:13], v[4:5]
	s_delay_alu instid0(VALU_DEP_1)
	v_fmac_f64_e32 v[4:5], s[10:11], v[6:7]
.LBB101_21:                             ;   in Loop: Header=BB101_4 Depth=1
	s_or_b32 s24, s24, exec_lo
.LBB101_22:                             ;   in Loop: Header=BB101_4 Depth=1
	s_or_b32 exec_lo, exec_lo, s25
.LBB101_23:                             ;   in Loop: Header=BB101_4 Depth=1
	s_and_saveexec_b32 s25, s24
	s_cbranch_execz .LBB101_2
; %bb.24:                               ;   in Loop: Header=BB101_4 Depth=1
	v_lshl_add_u64 v[6:7], v[0:1], 3, s[16:17]
	global_store_b64 v[6:7], v[4:5], off
	s_branch .LBB101_2
.LBB101_25:
	s_endpgm
	.section	.rodata,"a",@progbits
	.p2align	6, 0x0
	.amdhsa_kernel _ZL36rocblas_hemvn_kernel_upper_block_sumILi64EidPddEviT1_lS1_lT2_lT0_lPT3_i
		.amdhsa_group_segment_fixed_size 0
		.amdhsa_private_segment_fixed_size 0
		.amdhsa_kernarg_size 344
		.amdhsa_user_sgpr_count 2
		.amdhsa_user_sgpr_dispatch_ptr 0
		.amdhsa_user_sgpr_queue_ptr 0
		.amdhsa_user_sgpr_kernarg_segment_ptr 1
		.amdhsa_user_sgpr_dispatch_id 0
		.amdhsa_user_sgpr_kernarg_preload_length 0
		.amdhsa_user_sgpr_kernarg_preload_offset 0
		.amdhsa_user_sgpr_private_segment_size 0
		.amdhsa_wavefront_size32 1
		.amdhsa_uses_dynamic_stack 0
		.amdhsa_enable_private_segment 0
		.amdhsa_system_sgpr_workgroup_id_x 1
		.amdhsa_system_sgpr_workgroup_id_y 0
		.amdhsa_system_sgpr_workgroup_id_z 1
		.amdhsa_system_sgpr_workgroup_info 0
		.amdhsa_system_vgpr_workitem_id 0
		.amdhsa_next_free_vgpr 10
		.amdhsa_next_free_sgpr 28
		.amdhsa_named_barrier_count 0
		.amdhsa_reserve_vcc 1
		.amdhsa_float_round_mode_32 0
		.amdhsa_float_round_mode_16_64 0
		.amdhsa_float_denorm_mode_32 3
		.amdhsa_float_denorm_mode_16_64 3
		.amdhsa_fp16_overflow 0
		.amdhsa_memory_ordered 1
		.amdhsa_forward_progress 1
		.amdhsa_inst_pref_size 6
		.amdhsa_round_robin_scheduling 0
		.amdhsa_exception_fp_ieee_invalid_op 0
		.amdhsa_exception_fp_denorm_src 0
		.amdhsa_exception_fp_ieee_div_zero 0
		.amdhsa_exception_fp_ieee_overflow 0
		.amdhsa_exception_fp_ieee_underflow 0
		.amdhsa_exception_fp_ieee_inexact 0
		.amdhsa_exception_int_div_zero 0
	.end_amdhsa_kernel
	.section	.text._ZL36rocblas_hemvn_kernel_upper_block_sumILi64EidPddEviT1_lS1_lT2_lT0_lPT3_i,"axG",@progbits,_ZL36rocblas_hemvn_kernel_upper_block_sumILi64EidPddEviT1_lS1_lT2_lT0_lPT3_i,comdat
.Lfunc_end101:
	.size	_ZL36rocblas_hemvn_kernel_upper_block_sumILi64EidPddEviT1_lS1_lT2_lT0_lPT3_i, .Lfunc_end101-_ZL36rocblas_hemvn_kernel_upper_block_sumILi64EidPddEviT1_lS1_lT2_lT0_lPT3_i
                                        ; -- End function
	.set _ZL36rocblas_hemvn_kernel_upper_block_sumILi64EidPddEviT1_lS1_lT2_lT0_lPT3_i.num_vgpr, 10
	.set _ZL36rocblas_hemvn_kernel_upper_block_sumILi64EidPddEviT1_lS1_lT2_lT0_lPT3_i.num_agpr, 0
	.set _ZL36rocblas_hemvn_kernel_upper_block_sumILi64EidPddEviT1_lS1_lT2_lT0_lPT3_i.numbered_sgpr, 28
	.set _ZL36rocblas_hemvn_kernel_upper_block_sumILi64EidPddEviT1_lS1_lT2_lT0_lPT3_i.num_named_barrier, 0
	.set _ZL36rocblas_hemvn_kernel_upper_block_sumILi64EidPddEviT1_lS1_lT2_lT0_lPT3_i.private_seg_size, 0
	.set _ZL36rocblas_hemvn_kernel_upper_block_sumILi64EidPddEviT1_lS1_lT2_lT0_lPT3_i.uses_vcc, 1
	.set _ZL36rocblas_hemvn_kernel_upper_block_sumILi64EidPddEviT1_lS1_lT2_lT0_lPT3_i.uses_flat_scratch, 0
	.set _ZL36rocblas_hemvn_kernel_upper_block_sumILi64EidPddEviT1_lS1_lT2_lT0_lPT3_i.has_dyn_sized_stack, 0
	.set _ZL36rocblas_hemvn_kernel_upper_block_sumILi64EidPddEviT1_lS1_lT2_lT0_lPT3_i.has_recursion, 0
	.set _ZL36rocblas_hemvn_kernel_upper_block_sumILi64EidPddEviT1_lS1_lT2_lT0_lPT3_i.has_indirect_call, 0
	.section	.AMDGPU.csdata,"",@progbits
; Kernel info:
; codeLenInByte = 696
; TotalNumSgprs: 30
; NumVgprs: 10
; ScratchSize: 0
; MemoryBound: 0
; FloatMode: 240
; IeeeMode: 1
; LDSByteSize: 0 bytes/workgroup (compile time only)
; SGPRBlocks: 0
; VGPRBlocks: 0
; NumSGPRsForWavesPerEU: 30
; NumVGPRsForWavesPerEU: 10
; NamedBarCnt: 0
; Occupancy: 16
; WaveLimiterHint : 0
; COMPUTE_PGM_RSRC2:SCRATCH_EN: 0
; COMPUTE_PGM_RSRC2:USER_SGPR: 2
; COMPUTE_PGM_RSRC2:TRAP_HANDLER: 0
; COMPUTE_PGM_RSRC2:TGID_X_EN: 1
; COMPUTE_PGM_RSRC2:TGID_Y_EN: 0
; COMPUTE_PGM_RSRC2:TGID_Z_EN: 1
; COMPUTE_PGM_RSRC2:TIDIG_COMP_CNT: 0
	.section	.text._ZL50rocblas_symv_kernel_lower_double_buffered_diagonalILi32ELi4E24rocblas_internal_val_ptrIdEPKdPdEvbiT1_lT2_lllS6_lllS5_lT3_llli,"axG",@progbits,_ZL50rocblas_symv_kernel_lower_double_buffered_diagonalILi32ELi4E24rocblas_internal_val_ptrIdEPKdPdEvbiT1_lT2_lllS6_lllS5_lT3_llli,comdat
	.globl	_ZL50rocblas_symv_kernel_lower_double_buffered_diagonalILi32ELi4E24rocblas_internal_val_ptrIdEPKdPdEvbiT1_lT2_lllS6_lllS5_lT3_llli ; -- Begin function _ZL50rocblas_symv_kernel_lower_double_buffered_diagonalILi32ELi4E24rocblas_internal_val_ptrIdEPKdPdEvbiT1_lT2_lllS6_lllS5_lT3_llli
	.p2align	8
	.type	_ZL50rocblas_symv_kernel_lower_double_buffered_diagonalILi32ELi4E24rocblas_internal_val_ptrIdEPKdPdEvbiT1_lT2_lllS6_lllS5_lT3_llli,@function
_ZL50rocblas_symv_kernel_lower_double_buffered_diagonalILi32ELi4E24rocblas_internal_val_ptrIdEPKdPdEvbiT1_lT2_lllS6_lllS5_lT3_llli: ; @_ZL50rocblas_symv_kernel_lower_double_buffered_diagonalILi32ELi4E24rocblas_internal_val_ptrIdEPKdPdEvbiT1_lT2_lllS6_lllS5_lT3_llli
; %bb.0:
	s_load_b64 s[4:5], s[0:1], 0x4
	s_clause 0x1
	s_load_b512 s[8:23], s[2:3], 0x8
	s_load_b256 s[24:31], s[2:3], 0x48
	v_bfe_u32 v6, v0, 10, 10
	s_load_b32 s33, s[2:3], 0x88
	v_and_b32_e32 v8, 0x3ff, v0
	v_bfe_u32 v0, v0, 20, 10
	s_wait_xcnt 0x0
	s_bfe_u32 s1, ttmp6, 0x40014
	s_lshr_b32 s0, ttmp7, 16
	s_add_co_i32 s1, s1, 1
	s_wait_kmcnt 0x0
	v_mul_u32_u24_e32 v1, s5, v6
	s_lshr_b32 s4, s4, 16
	v_dual_mov_b32 v2, s8 :: v_dual_mov_b32 v3, s9
	s_mul_i32 s4, s4, s5
	s_bfe_u32 s5, ttmp6, 0x40008
	v_mad_u32_u24 v1, s4, v8, v1
	s_mul_i32 s4, s0, s1
	s_getreg_b32 s1, hwreg(HW_REG_IB_STS2, 6, 4)
	s_add_co_i32 s5, s5, s4
	s_cmp_eq_u32 s1, 0
	v_add_lshl_u32 v0, v1, v0, 3
	v_dual_mov_b32 v4, s28 :: v_dual_mov_b32 v5, s29
	s_cselect_b32 s28, s0, s5
	s_mov_b32 s29, 0
	s_delay_alu instid0(VALU_DEP_2)
	v_add_nc_u32_e32 v1, 0x100, v0
	s_cmp_ge_u32 s28, s33
	ds_store_2addr_stride64_b64 v1, v[4:5], v[2:3] offset0:20 offset1:22
	s_cbranch_scc1 .LBB102_42
; %bb.1:
	s_load_b32 s37, s[2:3], 0x0
	v_dual_mov_b32 v9, 0 :: v_dual_add_nc_u32 v14, 0x2d00, v0
	s_clause 0x2
	s_load_b64 s[8:9], s[2:3], 0x68
	s_load_b128 s[4:7], s[2:3], 0x70
	s_load_b64 s[34:35], s[2:3], 0x80
	v_add_nc_u32_e32 v15, 0x2900, v0
	v_dual_mov_b32 v7, v9 :: v_dual_lshlrev_b32 v10, 3, v8
	v_mul_u64_e32 v[4:5], s[24:25], v[8:9]
	s_wait_xcnt 0x0
	s_add_nc_u64 s[2:3], s[16:17], 1
	v_sub_co_u32 v17, s36, v8, v6
	v_mul_u64_e32 v[2:3], s[16:17], v[6:7]
	v_dual_lshlrev_b32 v7, 8, v6 :: v_dual_mov_b32 v11, v9
	v_lshl_add_u32 v20, v6, 5, v8
	v_cmp_eq_u32_e64 s0, 0, v6
	v_add_nc_u32_e32 v16, 0x2800, v10
	s_delay_alu instid0(VALU_DEP_4)
	v_add_nc_u32_e32 v24, 0xc00, v7
	v_or_b32_e32 v21, 0x2000, v10
	v_lshlrev_b32_e32 v6, 3, v6
	s_wait_kmcnt 0x0
	s_bitcmp1_b32 s37, 0
	v_lshl_add_u32 v20, v20, 3, 0x2000
	s_cselect_b32 s37, -1, 0
	s_lshl_b64 s[38:39], s[22:23], 3
	s_bfe_u32 s22, ttmp6, 0x4000c
	s_and_b32 s23, ttmp6, 15
	s_add_co_i32 s22, s22, 1
	s_lshl_b64 s[14:15], s[14:15], 3
	s_mul_i32 s40, ttmp9, s22
	s_lshl_b64 s[4:5], s[4:5], 3
	s_xor_b32 s22, s37, -1
	s_add_co_i32 s23, s23, s40
	s_cmp_eq_u32 s1, 0
	v_mul_u64_e32 v[0:1], s[6:7], v[8:9]
	s_cselect_b32 s1, ttmp9, s23
	s_add_nc_u64 s[12:13], s[12:13], s[14:15]
	s_lshl_b32 s40, s1, 5
	s_add_nc_u64 s[14:15], s[20:21], s[38:39]
	s_ashr_i32 s41, s40, 31
	s_add_nc_u64 s[20:21], s[8:9], s[4:5]
	s_mul_u64 s[2:3], s[2:3], s[40:41]
	s_mul_u64 s[4:5], s[24:25], s[40:41]
	s_lshl_b64 s[2:3], s[2:3], 3
	v_sub_nc_u32_e32 v9, 0, v17
	s_add_nc_u64 s[2:3], s[12:13], s[2:3]
	s_lshl_b64 s[4:5], s[4:5], 3
	v_lshl_add_u64 v[12:13], v[2:3], 3, s[2:3]
	s_add_nc_u64 s[4:5], s[14:15], s[4:5]
	v_dual_add_nc_u32 v17, v10, v7 :: v_dual_max_i32 v9, v17, v9
	v_lshl_add_u64 v[2:3], v[4:5], 3, s[4:5]
	s_delay_alu instid0(VALU_DEP_3)
	v_add_nc_u64_e32 v[4:5], v[12:13], v[10:11]
	v_mul_u32_u24_e32 v13, 0xf8, v8
	s_mul_u64 s[2:3], s[6:7], s[40:41]
	v_add_nc_u32_e32 v11, 0x400, v7
	s_lshl_b64 s[12:13], s[2:3], 3
	v_add_nc_u32_e32 v12, 0x800, v7
	v_cmp_lt_u32_e64 s1, 15, v8
	v_add3_u32 v18, v10, v13, v6
	v_cmp_gt_u32_e64 s2, 4, v9
	v_cmp_gt_u32_e64 s3, 8, v9
	;; [unrolled: 1-line block ×7, first 2 shown]
	v_add_nc_u32_e32 v8, 0x1c00, v7
	v_add_nc_u32_e32 v19, 0x2800, v6
	v_add_nc_u32_e32 v6, 0x1000, v7
	v_add_nc_u32_e32 v9, 0x1400, v7
	v_add_nc_u32_e32 v7, 0x1800, v7
	v_dual_add_nc_u32 v22, v10, v11 :: v_dual_add_nc_u32 v23, v10, v12
	s_delay_alu instid0(VALU_DEP_4) | instskip(NEXT) | instid1(VALU_DEP_4)
	v_dual_add_nc_u32 v24, v10, v24 :: v_dual_add_nc_u32 v26, v10, v6
	v_dual_add_nc_u32 v25, v10, v8 :: v_dual_add_nc_u32 v27, v10, v9
	s_delay_alu instid0(VALU_DEP_4)
	v_add_nc_u32_e32 v28, v10, v7
	s_add_nc_u64 s[12:13], s[20:21], s[12:13]
	s_lshl_b64 s[14:15], s[16:17], 2
	s_lshl_b64 s[16:17], s[16:17], 5
	s_branch .LBB102_4
.LBB102_2:                              ;   in Loop: Header=BB102_4 Depth=1
	s_wait_xcnt 0x0
	s_or_b32 exec_lo, exec_lo, s23
.LBB102_3:                              ;   in Loop: Header=BB102_4 Depth=1
	s_delay_alu instid0(SALU_CYCLE_1) | instskip(SKIP_1) | instid1(SALU_CYCLE_1)
	s_or_b32 exec_lo, exec_lo, s9
	s_add_co_i32 s28, s28, 0x10000
	s_cmp_lt_u32 s28, s33
	s_cbranch_scc0 .LBB102_42
.LBB102_4:                              ; =>This Inner Loop Header: Depth=1
	s_and_b32 vcc_lo, exec_lo, s22
	s_mov_b32 s9, -1
                                        ; implicit-def: $vgpr6_vgpr7
	s_cbranch_vccnz .LBB102_32
; %bb.5:                                ;   in Loop: Header=BB102_4 Depth=1
	s_and_not1_b32 vcc_lo, exec_lo, s9
	s_cbranch_vccz .LBB102_33
.LBB102_6:                              ;   in Loop: Header=BB102_4 Depth=1
	s_and_b32 vcc_lo, exec_lo, s22
	s_mov_b32 s9, -1
                                        ; implicit-def: $vgpr8_vgpr9
	s_cbranch_vccnz .LBB102_34
.LBB102_7:                              ;   in Loop: Header=BB102_4 Depth=1
	s_and_not1_b32 vcc_lo, exec_lo, s9
	s_cbranch_vccnz .LBB102_9
.LBB102_8:                              ;   in Loop: Header=BB102_4 Depth=1
	s_wait_loadcnt_dscnt 0x0
	s_wait_xcnt 0x0
	ds_load_b64 v[8:9], v15
.LBB102_9:                              ;   in Loop: Header=BB102_4 Depth=1
	s_wait_loadcnt_dscnt 0x0
	v_cmp_neq_f64_e32 vcc_lo, 0, v[6:7]
	v_cmp_neq_f64_e64 s9, 1.0, v[8:9]
	s_or_b32 s20, vcc_lo, s9
	s_wait_xcnt 0x0
	s_and_saveexec_b32 s9, s20
	s_cbranch_execz .LBB102_3
; %bb.10:                               ;   in Loop: Header=BB102_4 Depth=1
	s_mul_u64 s[20:21], s[34:35], s[28:29]
	s_mov_b32 s23, exec_lo
	s_lshl_b64 s[20:21], s[20:21], 3
	s_delay_alu instid0(SALU_CYCLE_1)
	s_add_nc_u64 s[20:21], s[12:13], s[20:21]
	v_cmpx_eq_f64_e32 0, v[6:7]
	s_xor_b32 s23, exec_lo, s23
	s_cbranch_execz .LBB102_14
; %bb.11:                               ;   in Loop: Header=BB102_4 Depth=1
	s_and_saveexec_b32 s24, s0
	s_cbranch_execz .LBB102_13
; %bb.12:                               ;   in Loop: Header=BB102_4 Depth=1
	v_lshl_add_u64 v[6:7], v[0:1], 3, s[20:21]
	global_load_b64 v[10:11], v[6:7], off
	s_wait_loadcnt 0x0
	v_mul_f64_e32 v[8:9], v[8:9], v[10:11]
	global_store_b64 v[6:7], v[8:9], off
.LBB102_13:                             ;   in Loop: Header=BB102_4 Depth=1
	s_wait_xcnt 0x0
	s_or_b32 exec_lo, exec_lo, s24
                                        ; implicit-def: $vgpr6_vgpr7
                                        ; implicit-def: $vgpr8_vgpr9
.LBB102_14:                             ;   in Loop: Header=BB102_4 Depth=1
	s_and_not1_saveexec_b32 s23, s23
	s_cbranch_execz .LBB102_3
; %bb.15:                               ;   in Loop: Header=BB102_4 Depth=1
	v_mov_b64_e32 v[10:11], 0
	s_and_saveexec_b32 s23, s0
	s_cbranch_execz .LBB102_19
; %bb.16:                               ;   in Loop: Header=BB102_4 Depth=1
	v_mov_b64_e32 v[10:11], 0
	s_mov_b32 s24, exec_lo
	v_cmpx_neq_f64_e32 0, v[8:9]
	s_cbranch_execz .LBB102_18
; %bb.17:                               ;   in Loop: Header=BB102_4 Depth=1
	v_lshl_add_u64 v[10:11], v[0:1], 3, s[20:21]
	global_load_b64 v[10:11], v[10:11], off
	s_wait_loadcnt 0x0
	v_mul_f64_e32 v[10:11], v[8:9], v[10:11]
.LBB102_18:                             ;   in Loop: Header=BB102_4 Depth=1
	s_or_b32 exec_lo, exec_lo, s24
	s_mul_u64 s[24:25], s[26:27], s[28:29]
	s_delay_alu instid0(SALU_CYCLE_1)
	v_lshl_add_u64 v[12:13], s[24:25], 3, v[2:3]
	global_load_b64 v[12:13], v[12:13], off
	s_wait_loadcnt 0x0
	ds_store_b64 v16, v[12:13]
.LBB102_19:                             ;   in Loop: Header=BB102_4 Depth=1
	s_wait_xcnt 0x0
	s_or_b32 exec_lo, exec_lo, s23
	s_mul_u64 s[24:25], s[18:19], s[28:29]
	s_delay_alu instid0(SALU_CYCLE_1) | instskip(NEXT) | instid1(VALU_DEP_1)
	v_lshl_add_u64 v[30:31], s[24:25], 3, v[4:5]
	v_lshl_add_u64 v[32:33], s[14:15], 3, v[30:31]
	s_delay_alu instid0(VALU_DEP_1) | instskip(NEXT) | instid1(VALU_DEP_1)
	v_add_nc_u64_e32 v[34:35], s[16:17], v[32:33]
	v_add_nc_u64_e32 v[12:13], s[16:17], v[34:35]
	s_clause 0x3
	global_load_b64 v[36:37], v[30:31], off
	global_load_b64 v[38:39], v[32:33], off
	;; [unrolled: 1-line block ×4, first 2 shown]
	s_wait_loadcnt 0x3
	ds_store_b64 v17, v[36:37]
	s_wait_loadcnt 0x2
	ds_store_b64 v22, v[38:39]
	;; [unrolled: 2-line block ×4, first 2 shown]
	s_wait_xcnt 0x0
	s_and_saveexec_b32 s23, s1
	s_cbranch_execz .LBB102_21
; %bb.20:                               ;   in Loop: Header=BB102_4 Depth=1
	v_add_nc_u64_e32 v[12:13], s[16:17], v[12:13]
	s_delay_alu instid0(VALU_DEP_1) | instskip(NEXT) | instid1(VALU_DEP_1)
	v_lshl_add_u64 v[30:31], s[14:15], 3, v[12:13]
	v_add_nc_u64_e32 v[32:33], s[16:17], v[30:31]
	s_delay_alu instid0(VALU_DEP_1)
	v_add_nc_u64_e32 v[34:35], s[16:17], v[32:33]
	s_clause 0x1
	global_load_b64 v[36:37], v[12:13], off
	global_load_b64 v[38:39], v[30:31], off
	;; [unrolled: 1-line block ×4, first 2 shown]
	s_wait_loadcnt 0x2
	ds_store_2addr_stride64_b64 v17, v[36:37], v[38:39] offset0:8 offset1:10
	s_wait_loadcnt 0x0
	ds_store_2addr_stride64_b64 v17, v[40:41], v[42:43] offset0:12 offset1:14
.LBB102_21:                             ;   in Loop: Header=BB102_4 Depth=1
	s_wait_xcnt 0x0
	s_or_b32 exec_lo, exec_lo, s23
	s_wait_storecnt_dscnt 0x0
	s_barrier_signal -1
	s_barrier_wait -1
	s_and_saveexec_b32 s23, s36
	s_cbranch_execnz .LBB102_35
; %bb.22:                               ;   in Loop: Header=BB102_4 Depth=1
	s_or_b32 exec_lo, exec_lo, s23
	s_and_saveexec_b32 s23, s2
	s_cbranch_execnz .LBB102_36
.LBB102_23:                             ;   in Loop: Header=BB102_4 Depth=1
	s_or_b32 exec_lo, exec_lo, s23
	s_and_saveexec_b32 s23, s3
	s_cbranch_execnz .LBB102_37
.LBB102_24:                             ;   in Loop: Header=BB102_4 Depth=1
	s_or_b32 exec_lo, exec_lo, s23
	s_and_saveexec_b32 s23, s4
	s_cbranch_execnz .LBB102_38
.LBB102_25:                             ;   in Loop: Header=BB102_4 Depth=1
	s_or_b32 exec_lo, exec_lo, s23
	s_and_saveexec_b32 s23, s5
	s_cbranch_execnz .LBB102_39
.LBB102_26:                             ;   in Loop: Header=BB102_4 Depth=1
	s_or_b32 exec_lo, exec_lo, s23
	s_and_saveexec_b32 s23, s6
	s_cbranch_execnz .LBB102_40
.LBB102_27:                             ;   in Loop: Header=BB102_4 Depth=1
	s_or_b32 exec_lo, exec_lo, s23
	s_and_saveexec_b32 s23, s7
	s_cbranch_execnz .LBB102_41
.LBB102_28:                             ;   in Loop: Header=BB102_4 Depth=1
	s_or_b32 exec_lo, exec_lo, s23
	s_and_saveexec_b32 s23, s8
	s_cbranch_execz .LBB102_30
.LBB102_29:                             ;   in Loop: Header=BB102_4 Depth=1
	ds_load_b64 v[12:13], v18 offset:224
	s_wait_dscnt 0x0
	ds_store_b64 v25, v[12:13]
.LBB102_30:                             ;   in Loop: Header=BB102_4 Depth=1
	s_or_b32 exec_lo, exec_lo, s23
	s_wait_dscnt 0x0
	s_barrier_signal -1
	s_barrier_wait -1
	ds_load_2addr_b64 v[30:33], v19 offset1:4
	ds_load_b64 v[12:13], v17
	ds_load_b64 v[34:35], v22
	ds_load_b64 v[36:37], v23
	ds_load_b64 v[38:39], v24
	s_wait_dscnt 0x3
	v_fma_f64 v[12:13], v[12:13], v[30:31], 0
	s_wait_dscnt 0x2
	s_delay_alu instid0(VALU_DEP_1) | instskip(SKIP_3) | instid1(VALU_DEP_1)
	v_fmac_f64_e32 v[12:13], v[34:35], v[32:33]
	ds_load_2addr_b64 v[30:33], v19 offset0:8 offset1:12
	s_wait_dscnt 0x0
	v_fmac_f64_e32 v[12:13], v[36:37], v[30:31]
	v_fmac_f64_e32 v[12:13], v[38:39], v[32:33]
	ds_load_2addr_b64 v[30:33], v19 offset0:16 offset1:20
	ds_load_b64 v[34:35], v26
	ds_load_b64 v[36:37], v27
	ds_load_b64 v[38:39], v28
	ds_load_b64 v[40:41], v25
	s_wait_dscnt 0x3
	v_fmac_f64_e32 v[12:13], v[34:35], v[30:31]
	s_wait_dscnt 0x2
	s_delay_alu instid0(VALU_DEP_1) | instskip(SKIP_3) | instid1(VALU_DEP_1)
	v_fmac_f64_e32 v[12:13], v[36:37], v[32:33]
	ds_load_2addr_b64 v[30:33], v19 offset0:24 offset1:28
	s_wait_dscnt 0x0
	v_fmac_f64_e32 v[12:13], v[38:39], v[30:31]
	v_fmac_f64_e32 v[12:13], v[40:41], v[32:33]
	ds_store_b64 v20, v[12:13]
	s_wait_dscnt 0x0
	s_barrier_signal -1
	s_barrier_wait -1
	s_and_saveexec_b32 s23, s0
	s_cbranch_execz .LBB102_2
; %bb.31:                               ;   in Loop: Header=BB102_4 Depth=1
	ds_load_2addr_b64 v[30:33], v21 offset1:32
	v_cmp_neq_f64_e32 vcc_lo, 0, v[8:9]
	v_lshl_add_u64 v[8:9], v[0:1], 3, s[20:21]
	s_wait_dscnt 0x0
	v_add_f64_e32 v[12:13], 0, v[30:31]
	s_delay_alu instid0(VALU_DEP_1) | instskip(SKIP_3) | instid1(VALU_DEP_1)
	v_add_f64_e32 v[12:13], v[12:13], v[32:33]
	ds_load_2addr_b64 v[30:33], v21 offset0:64 offset1:96
	s_wait_dscnt 0x0
	v_add_f64_e32 v[12:13], v[12:13], v[30:31]
	v_add_f64_e32 v[12:13], v[12:13], v[32:33]
	s_delay_alu instid0(VALU_DEP_1) | instskip(SKIP_1) | instid1(VALU_DEP_1)
	v_mul_f64_e32 v[30:31], v[6:7], v[12:13]
	v_fmac_f64_e32 v[10:11], v[6:7], v[12:13]
	v_dual_cndmask_b32 v7, v31, v11 :: v_dual_cndmask_b32 v6, v30, v10
	global_store_b64 v[8:9], v[6:7], off
	s_branch .LBB102_2
.LBB102_32:                             ;   in Loop: Header=BB102_4 Depth=1
	ds_load_b64 v[6:7], v14
	s_mul_u64 s[20:21], s[10:11], s[28:29]
	s_wait_dscnt 0x0
	v_lshl_add_u64 v[6:7], s[20:21], 3, v[6:7]
	flat_load_b64 v[6:7], v[6:7]
	s_cbranch_execnz .LBB102_6
.LBB102_33:                             ;   in Loop: Header=BB102_4 Depth=1
	s_wait_loadcnt_dscnt 0x0
	s_wait_xcnt 0x0
	ds_load_b64 v[6:7], v14
	s_and_b32 vcc_lo, exec_lo, s22
	s_mov_b32 s9, -1
                                        ; implicit-def: $vgpr8_vgpr9
	s_cbranch_vccz .LBB102_7
.LBB102_34:                             ;   in Loop: Header=BB102_4 Depth=1
	ds_load_b64 v[8:9], v15
	s_mul_u64 s[20:21], s[30:31], s[28:29]
	s_wait_dscnt 0x0
	v_lshl_add_u64 v[8:9], s[20:21], 3, v[8:9]
	flat_load_b64 v[8:9], v[8:9]
	s_cbranch_execz .LBB102_8
	s_branch .LBB102_9
.LBB102_35:                             ;   in Loop: Header=BB102_4 Depth=1
	ds_load_b64 v[12:13], v18
	s_wait_dscnt 0x0
	ds_store_b64 v17, v[12:13]
	s_or_b32 exec_lo, exec_lo, s23
	s_and_saveexec_b32 s23, s2
	s_cbranch_execz .LBB102_23
.LBB102_36:                             ;   in Loop: Header=BB102_4 Depth=1
	ds_load_b64 v[12:13], v18 offset:32
	s_wait_dscnt 0x0
	ds_store_b64 v22, v[12:13]
	s_or_b32 exec_lo, exec_lo, s23
	s_and_saveexec_b32 s23, s3
	s_cbranch_execz .LBB102_24
.LBB102_37:                             ;   in Loop: Header=BB102_4 Depth=1
	ds_load_b64 v[12:13], v18 offset:64
	s_wait_dscnt 0x0
	ds_store_b64 v23, v[12:13]
	s_or_b32 exec_lo, exec_lo, s23
	s_and_saveexec_b32 s23, s4
	s_cbranch_execz .LBB102_25
.LBB102_38:                             ;   in Loop: Header=BB102_4 Depth=1
	ds_load_b64 v[12:13], v18 offset:96
	s_wait_dscnt 0x0
	ds_store_b64 v24, v[12:13]
	s_or_b32 exec_lo, exec_lo, s23
	s_and_saveexec_b32 s23, s5
	s_cbranch_execz .LBB102_26
.LBB102_39:                             ;   in Loop: Header=BB102_4 Depth=1
	ds_load_b64 v[12:13], v18 offset:128
	s_wait_dscnt 0x0
	ds_store_b64 v17, v[12:13] offset:4096
	s_or_b32 exec_lo, exec_lo, s23
	s_and_saveexec_b32 s23, s6
	s_cbranch_execz .LBB102_27
.LBB102_40:                             ;   in Loop: Header=BB102_4 Depth=1
	ds_load_b64 v[12:13], v18 offset:160
	s_wait_dscnt 0x0
	ds_store_b64 v17, v[12:13] offset:5120
	s_or_b32 exec_lo, exec_lo, s23
	s_and_saveexec_b32 s23, s7
	s_cbranch_execz .LBB102_28
.LBB102_41:                             ;   in Loop: Header=BB102_4 Depth=1
	ds_load_b64 v[12:13], v18 offset:192
	s_wait_dscnt 0x0
	ds_store_b64 v17, v[12:13] offset:6144
	s_or_b32 exec_lo, exec_lo, s23
	s_and_saveexec_b32 s23, s8
	s_cbranch_execnz .LBB102_29
	s_branch .LBB102_30
.LBB102_42:
	s_endpgm
	.section	.rodata,"a",@progbits
	.p2align	6, 0x0
	.amdhsa_kernel _ZL50rocblas_symv_kernel_lower_double_buffered_diagonalILi32ELi4E24rocblas_internal_val_ptrIdEPKdPdEvbiT1_lT2_lllS6_lllS5_lT3_llli
		.amdhsa_group_segment_fixed_size 12544
		.amdhsa_private_segment_fixed_size 0
		.amdhsa_kernarg_size 140
		.amdhsa_user_sgpr_count 4
		.amdhsa_user_sgpr_dispatch_ptr 1
		.amdhsa_user_sgpr_queue_ptr 0
		.amdhsa_user_sgpr_kernarg_segment_ptr 1
		.amdhsa_user_sgpr_dispatch_id 0
		.amdhsa_user_sgpr_kernarg_preload_length 0
		.amdhsa_user_sgpr_kernarg_preload_offset 0
		.amdhsa_user_sgpr_private_segment_size 0
		.amdhsa_wavefront_size32 1
		.amdhsa_uses_dynamic_stack 0
		.amdhsa_enable_private_segment 0
		.amdhsa_system_sgpr_workgroup_id_x 1
		.amdhsa_system_sgpr_workgroup_id_y 0
		.amdhsa_system_sgpr_workgroup_id_z 1
		.amdhsa_system_sgpr_workgroup_info 0
		.amdhsa_system_vgpr_workitem_id 2
		.amdhsa_next_free_vgpr 44
		.amdhsa_next_free_sgpr 42
		.amdhsa_named_barrier_count 0
		.amdhsa_reserve_vcc 1
		.amdhsa_float_round_mode_32 0
		.amdhsa_float_round_mode_16_64 0
		.amdhsa_float_denorm_mode_32 3
		.amdhsa_float_denorm_mode_16_64 3
		.amdhsa_fp16_overflow 0
		.amdhsa_memory_ordered 1
		.amdhsa_forward_progress 1
		.amdhsa_inst_pref_size 17
		.amdhsa_round_robin_scheduling 0
		.amdhsa_exception_fp_ieee_invalid_op 0
		.amdhsa_exception_fp_denorm_src 0
		.amdhsa_exception_fp_ieee_div_zero 0
		.amdhsa_exception_fp_ieee_overflow 0
		.amdhsa_exception_fp_ieee_underflow 0
		.amdhsa_exception_fp_ieee_inexact 0
		.amdhsa_exception_int_div_zero 0
	.end_amdhsa_kernel
	.section	.text._ZL50rocblas_symv_kernel_lower_double_buffered_diagonalILi32ELi4E24rocblas_internal_val_ptrIdEPKdPdEvbiT1_lT2_lllS6_lllS5_lT3_llli,"axG",@progbits,_ZL50rocblas_symv_kernel_lower_double_buffered_diagonalILi32ELi4E24rocblas_internal_val_ptrIdEPKdPdEvbiT1_lT2_lllS6_lllS5_lT3_llli,comdat
.Lfunc_end102:
	.size	_ZL50rocblas_symv_kernel_lower_double_buffered_diagonalILi32ELi4E24rocblas_internal_val_ptrIdEPKdPdEvbiT1_lT2_lllS6_lllS5_lT3_llli, .Lfunc_end102-_ZL50rocblas_symv_kernel_lower_double_buffered_diagonalILi32ELi4E24rocblas_internal_val_ptrIdEPKdPdEvbiT1_lT2_lllS6_lllS5_lT3_llli
                                        ; -- End function
	.set _ZL50rocblas_symv_kernel_lower_double_buffered_diagonalILi32ELi4E24rocblas_internal_val_ptrIdEPKdPdEvbiT1_lT2_lllS6_lllS5_lT3_llli.num_vgpr, 44
	.set _ZL50rocblas_symv_kernel_lower_double_buffered_diagonalILi32ELi4E24rocblas_internal_val_ptrIdEPKdPdEvbiT1_lT2_lllS6_lllS5_lT3_llli.num_agpr, 0
	.set _ZL50rocblas_symv_kernel_lower_double_buffered_diagonalILi32ELi4E24rocblas_internal_val_ptrIdEPKdPdEvbiT1_lT2_lllS6_lllS5_lT3_llli.numbered_sgpr, 42
	.set _ZL50rocblas_symv_kernel_lower_double_buffered_diagonalILi32ELi4E24rocblas_internal_val_ptrIdEPKdPdEvbiT1_lT2_lllS6_lllS5_lT3_llli.num_named_barrier, 0
	.set _ZL50rocblas_symv_kernel_lower_double_buffered_diagonalILi32ELi4E24rocblas_internal_val_ptrIdEPKdPdEvbiT1_lT2_lllS6_lllS5_lT3_llli.private_seg_size, 0
	.set _ZL50rocblas_symv_kernel_lower_double_buffered_diagonalILi32ELi4E24rocblas_internal_val_ptrIdEPKdPdEvbiT1_lT2_lllS6_lllS5_lT3_llli.uses_vcc, 1
	.set _ZL50rocblas_symv_kernel_lower_double_buffered_diagonalILi32ELi4E24rocblas_internal_val_ptrIdEPKdPdEvbiT1_lT2_lllS6_lllS5_lT3_llli.uses_flat_scratch, 0
	.set _ZL50rocblas_symv_kernel_lower_double_buffered_diagonalILi32ELi4E24rocblas_internal_val_ptrIdEPKdPdEvbiT1_lT2_lllS6_lllS5_lT3_llli.has_dyn_sized_stack, 0
	.set _ZL50rocblas_symv_kernel_lower_double_buffered_diagonalILi32ELi4E24rocblas_internal_val_ptrIdEPKdPdEvbiT1_lT2_lllS6_lllS5_lT3_llli.has_recursion, 0
	.set _ZL50rocblas_symv_kernel_lower_double_buffered_diagonalILi32ELi4E24rocblas_internal_val_ptrIdEPKdPdEvbiT1_lT2_lllS6_lllS5_lT3_llli.has_indirect_call, 0
	.section	.AMDGPU.csdata,"",@progbits
; Kernel info:
; codeLenInByte = 2056
; TotalNumSgprs: 44
; NumVgprs: 44
; ScratchSize: 0
; MemoryBound: 0
; FloatMode: 240
; IeeeMode: 1
; LDSByteSize: 12544 bytes/workgroup (compile time only)
; SGPRBlocks: 0
; VGPRBlocks: 2
; NumSGPRsForWavesPerEU: 44
; NumVGPRsForWavesPerEU: 44
; NamedBarCnt: 0
; Occupancy: 16
; WaveLimiterHint : 1
; COMPUTE_PGM_RSRC2:SCRATCH_EN: 0
; COMPUTE_PGM_RSRC2:USER_SGPR: 4
; COMPUTE_PGM_RSRC2:TRAP_HANDLER: 0
; COMPUTE_PGM_RSRC2:TGID_X_EN: 1
; COMPUTE_PGM_RSRC2:TGID_Y_EN: 0
; COMPUTE_PGM_RSRC2:TGID_Z_EN: 1
; COMPUTE_PGM_RSRC2:TIDIG_COMP_CNT: 2
	.section	.text._ZL54rocblas_symv_kernel_lower_double_buffered_non_diagonalILi32ELi4ELi4E24rocblas_internal_val_ptrIdEPKdPdEvbiT2_lT3_lllS6_lllT4_llli,"axG",@progbits,_ZL54rocblas_symv_kernel_lower_double_buffered_non_diagonalILi32ELi4ELi4E24rocblas_internal_val_ptrIdEPKdPdEvbiT2_lT3_lllS6_lllT4_llli,comdat
	.globl	_ZL54rocblas_symv_kernel_lower_double_buffered_non_diagonalILi32ELi4ELi4E24rocblas_internal_val_ptrIdEPKdPdEvbiT2_lT3_lllS6_lllT4_llli ; -- Begin function _ZL54rocblas_symv_kernel_lower_double_buffered_non_diagonalILi32ELi4ELi4E24rocblas_internal_val_ptrIdEPKdPdEvbiT2_lT3_lllS6_lllT4_llli
	.p2align	8
	.type	_ZL54rocblas_symv_kernel_lower_double_buffered_non_diagonalILi32ELi4ELi4E24rocblas_internal_val_ptrIdEPKdPdEvbiT2_lT3_lllS6_lllT4_llli,@function
_ZL54rocblas_symv_kernel_lower_double_buffered_non_diagonalILi32ELi4ELi4E24rocblas_internal_val_ptrIdEPKdPdEvbiT2_lT3_lllS6_lllT4_llli: ; @_ZL54rocblas_symv_kernel_lower_double_buffered_non_diagonalILi32ELi4ELi4E24rocblas_internal_val_ptrIdEPKdPdEvbiT2_lT3_lllS6_lllT4_llli
; %bb.0:
	s_load_b64 s[20:21], s[0:1], 0x4
	s_load_b512 s[4:19], s[2:3], 0x8
	v_bfe_u32 v2, v0, 10, 10
	s_wait_xcnt 0x0
	s_load_b32 s1, s[2:3], 0x78
	v_and_b32_e32 v10, 0x3ff, v0
	s_bfe_u32 s0, ttmp6, 0x40014
	s_lshr_b32 s22, ttmp7, 16
	s_add_co_i32 s0, s0, 1
	v_bfe_u32 v0, v0, 20, 10
	s_wait_kmcnt 0x0
	v_mul_u32_u24_e32 v1, s21, v2
	s_lshr_b32 s20, s20, 16
	v_dual_mov_b32 v4, s4 :: v_dual_mov_b32 v5, s5
	s_mul_i32 s20, s20, s21
	s_mul_i32 s4, s22, s0
	v_mad_u32_u24 v1, s20, v10, v1
	s_bfe_u32 s5, ttmp6, 0x40008
	s_getreg_b32 s0, hwreg(HW_REG_IB_STS2, 6, 4)
	s_add_co_i32 s5, s5, s4
	s_cmp_eq_u32 s0, 0
	v_add_lshl_u32 v0, v1, v0, 3
	s_cselect_b32 s4, s22, s5
	s_mov_b32 s5, 0
	s_cmp_ge_u32 s4, s1
	ds_store_b64 v0, v[4:5] offset:6400
	s_cbranch_scc1 .LBB103_29
; %bb.1:
	v_dual_mov_b32 v11, 0 :: v_dual_add_nc_u32 v66, 0x1900, v0
	v_lshl_add_u32 v0, v2, 5, v10
	v_and_b32_e32 v4, 15, v10
	s_clause 0x2
	s_load_b32 s33, s[2:3], 0x0
	s_load_b128 s[20:23], s[2:3], 0x60
	s_load_b64 s[30:31], s[2:3], 0x58
	v_dual_add_nc_u32 v16, 4, v10 :: v_dual_add_nc_u32 v17, 5, v10
	v_lshrrev_b32_e32 v12, 4, v0
	s_clause 0x1
	s_load_b128 s[24:27], s[2:3], 0x48
	s_load_b64 s[28:29], s[2:3], 0x70
	v_dual_lshlrev_b32 v8, 3, v10 :: v_dual_lshlrev_b32 v22, 3, v4
	v_dual_add_nc_u32 v9, 1, v10 :: v_dual_lshlrev_b32 v14, 5, v12
	v_dual_lshlrev_b32 v70, 8, v12 :: v_dual_lshlrev_b32 v18, 7, v10
	s_delay_alu instid0(VALU_DEP_2) | instskip(SKIP_1) | instid1(VALU_DEP_3)
	v_dual_add_nc_u32 v15, 2, v10 :: v_dual_bitop2_b32 v13, 15, v9 bitop3:0x40
	v_dual_mov_b32 v5, v11 :: v_dual_lshlrev_b32 v6, 2, v12
	v_dual_lshlrev_b32 v24, 9, v12 :: v_dual_bitop2_b32 v72, v18, v22 bitop3:0x54
	s_delay_alu instid0(VALU_DEP_3) | instskip(NEXT) | instid1(VALU_DEP_4)
	v_lshl_or_b32 v73, v13, 3, v18
	v_dual_add_nc_u32 v13, 3, v10 :: v_dual_bitop2_b32 v15, 15, v15 bitop3:0x40
	v_add_nc_u32_e32 v19, 6, v10
	v_mad_nc_u64_u32 v[0:1], s12, v6, v[4:5]
	s_delay_alu instid0(VALU_DEP_3) | instskip(NEXT) | instid1(VALU_DEP_4)
	v_dual_add_nc_u32 v20, 9, v10 :: v_dual_bitop2_b32 v13, 15, v13 bitop3:0x40
	v_lshl_or_b32 v74, v15, 3, v18
	v_and_b32_e32 v15, 15, v16
	v_and_b32_e32 v16, 15, v17
	;; [unrolled: 1-line block ×3, first 2 shown]
	v_lshl_or_b32 v75, v13, 3, v18
	v_mov_b32_e32 v13, v11
	s_wait_kmcnt 0x0
	s_bitcmp1_b32 s33, 0
	v_lshl_or_b32 v77, v16, 3, v18
	v_lshl_or_b32 v78, v17, 3, v18
	s_cselect_b32 s33, -1, 0
	v_mul_u64_e32 v[16:17], s[12:13], v[12:13]
	s_bfe_u32 s36, ttmp6, 0x40010
	s_bfe_u32 s40, ttmp6, 0x4000c
	v_add_nc_u32_e32 v19, 7, v10
	s_and_b32 s38, ttmp7, 0xffff
	s_add_co_i32 s36, s36, 1
	s_add_co_i32 s40, s40, 1
	s_bfe_u32 s37, ttmp6, 0x40004
	s_and_b32 s39, ttmp6, 15
	s_mul_i32 s36, s38, s36
	s_mul_i32 s40, ttmp9, s40
	v_mad_u32 v1, s13, v6, v1
	v_dual_mov_b32 v7, v11 :: v_dual_bitop2_b32 v6, 16, v4 bitop3:0x54
	v_lshl_or_b32 v76, v15, 3, v18
	v_dual_add_nc_u32 v21, 10, v10 :: v_dual_bitop2_b32 v15, 15, v19 bitop3:0x40
	v_bitop3_b32 v19, v10, 8, 15 bitop3:0x6c
	v_dual_add_nc_u32 v12, 11, v10 :: v_dual_bitop2_b32 v13, 15, v20 bitop3:0x40
	s_lshl_b64 s[44:45], s[10:11], 3
	s_lshl_b64 s[10:11], s[18:19], 3
	;; [unrolled: 1-line block ×3, first 2 shown]
	s_xor_b32 s33, s33, -1
	s_add_co_i32 s41, s37, s36
	s_add_co_i32 s39, s39, s40
	s_cmp_eq_u32 s0, 0
	v_cmp_eq_u32_e64 s0, 0, v2
	s_cselect_b32 s62, ttmp9, s39
	v_mul_u64_e32 v[2:3], s[24:25], v[10:11]
	v_add_nc_u32_e32 v67, 0x1800, v8
	v_mul_u64_e32 v[4:5], s[24:25], v[4:5]
	v_mul_u64_e32 v[6:7], s[24:25], v[6:7]
	v_add_nc_u32_e32 v71, 0x1000, v8
	v_mul_u64_e32 v[8:9], s[22:23], v[10:11]
	v_lshl_or_b32 v79, v15, 3, v18
	v_lshl_or_b32 v80, v19, 3, v18
	v_dual_add_nc_u32 v19, 12, v10 :: v_dual_bitop2_b32 v15, 15, v21 bitop3:0x40
	v_dual_add_nc_u32 v20, 13, v10 :: v_dual_bitop2_b32 v12, 15, v12 bitop3:0x40
	s_cselect_b32 s63, s38, s41
	s_lshl_b32 s40, s62, 5
	s_add_nc_u64 s[34:35], s[12:13], 1
	s_ashr_i32 s41, s40, 31
	s_add_nc_u64 s[38:39], s[30:31], s[20:21]
	s_mul_u64 s[20:21], s[34:35], s[40:41]
	s_mul_u64 s[30:31], s[24:25], s[40:41]
	;; [unrolled: 1-line block ×3, first 2 shown]
	v_lshl_or_b32 v83, v12, 3, v18
	v_dual_add_nc_u32 v12, 14, v10 :: v_dual_bitop2_b32 v19, 15, v19 bitop3:0x40
	v_dual_add_nc_u32 v10, -1, v10 :: v_dual_bitop2_b32 v20, 15, v20 bitop3:0x40
	v_dual_mov_b32 v23, v11 :: v_dual_bitop2_b32 v25, 16, v14 bitop3:0x54
	v_dual_add_nc_u32 v88, v22, v24 :: v_dual_bitop2_b32 v27, 8, v14 bitop3:0x54
	s_lshl_b64 s[40:41], s[40:41], 3
	v_or_b32_e32 v26, 24, v14
	v_add_nc_u32_e32 v69, 0x1800, v14
	v_lshl_or_b32 v81, v13, 3, v18
	v_lshl_or_b32 v82, v15, 3, v18
	v_and_b32_e32 v21, 15, v12
	v_and_b32_e32 v28, 15, v10
	v_mad_nc_u64_u32 v[10:11], s12, v25, v[22:23]
	v_mad_nc_u64_u32 v[14:15], s12, v27, v[22:23]
	v_lshl_or_b32 v84, v19, 3, v18
	v_mov_b32_e32 v19, s41
	v_mad_nc_u64_u32 v[12:13], s12, v26, v[22:23]
	v_lshl_or_b32 v85, v20, 3, v18
	v_lshl_or_b32 v86, v21, 3, v18
	v_lshlrev_b64_e32 v[20:21], 5, v[16:17]
	v_lshl_or_b32 v87, v28, 3, v18
	v_or_b32_e32 v18, s40, v22
	s_add_nc_u64 s[36:37], s[8:9], s[44:45]
	v_mad_u32 v11, s13, v25, v11
	v_mad_u32 v15, s13, v27, v15
	s_lshl_b64 s[46:47], s[20:21], 3
	v_add_nc_u64_e32 v[16:17], 0x100, v[18:19]
	v_mad_u32 v13, s13, v26, v13
	v_add_nc_u64_e32 v[18:19], 0x180, v[18:19]
	v_add_nc_u64_e32 v[20:21], v[20:21], v[22:23]
	v_or_b32_e32 v68, 0x1000, v22
	s_add_nc_u64 s[10:11], s[16:17], s[10:11]
	s_add_nc_u64 s[20:21], s[36:37], s[46:47]
	s_lshl_b64 s[30:31], s[30:31], 3
	s_lshl_b64 s[34:35], s[34:35], 3
	s_add_nc_u64 s[46:47], s[46:47], s[44:45]
	s_add_nc_u64 s[2:3], s[2:3], 0x80
	s_not_b32 s64, s62
	s_lshl_b32 s65, s63, 5
	s_add_nc_u64 s[30:31], s[10:11], s[30:31]
	s_add_nc_u64 s[34:35], s[38:39], s[34:35]
	s_lshl_b64 s[36:37], s[24:25], 8
	s_lshl_b64 s[38:39], s[22:23], 8
	;; [unrolled: 1-line block ×4, first 2 shown]
	s_add_nc_u64 s[8:9], s[8:9], s[46:47]
	s_lshl_b64 s[46:47], s[14:15], 3
	s_branch .LBB103_3
.LBB103_2:                              ;   in Loop: Header=BB103_3 Depth=1
	s_wait_xcnt 0x0
	s_or_b32 exec_lo, exec_lo, s66
	s_add_co_i32 s4, s4, 0x10000
	s_delay_alu instid0(SALU_CYCLE_1)
	s_cmp_lt_u32 s4, s1
	s_cbranch_scc0 .LBB103_29
.LBB103_3:                              ; =>This Loop Header: Depth=1
                                        ;     Child Loop BB103_17 Depth 2
	s_and_b32 vcc_lo, exec_lo, s33
	s_mov_b32 s48, -1
                                        ; implicit-def: $vgpr22_vgpr23
	s_cbranch_vccz .LBB103_5
; %bb.4:                                ;   in Loop: Header=BB103_3 Depth=1
	ds_load_b64 v[22:23], v66
	s_mul_u64 s[48:49], s[6:7], s[4:5]
	s_wait_dscnt 0x0
	v_lshl_add_u64 v[22:23], s[48:49], 3, v[22:23]
	s_mov_b32 s48, 0
	flat_load_b64 v[22:23], v[22:23]
.LBB103_5:                              ;   in Loop: Header=BB103_3 Depth=1
	s_and_not1_b32 vcc_lo, exec_lo, s48
	s_cbranch_vccnz .LBB103_7
; %bb.6:                                ;   in Loop: Header=BB103_3 Depth=1
	s_wait_loadcnt_dscnt 0x0
	s_wait_xcnt 0x0
	ds_load_b64 v[22:23], v66
.LBB103_7:                              ;   in Loop: Header=BB103_3 Depth=1
	s_mov_b32 s66, exec_lo
	s_wait_loadcnt_dscnt 0x0
	s_wait_xcnt 0x0
	v_cmpx_neq_f64_e32 0, v[22:23]
	s_cbranch_execz .LBB103_2
; %bb.8:                                ;   in Loop: Header=BB103_3 Depth=1
	s_load_b64 s[48:49], s[2:3], 0x0
	s_wait_kmcnt 0x0
	s_add_co_i32 s50, s48, -1
	s_delay_alu instid0(SALU_CYCLE_1)
	s_cmp_eq_u32 s62, s50
	s_cbranch_scc1 .LBB103_2
; %bb.9:                                ;   in Loop: Header=BB103_3 Depth=1
	s_mul_u64 s[52:53], s[26:27], s[4:5]
	s_delay_alu instid0(SALU_CYCLE_1) | instskip(NEXT) | instid1(SALU_CYCLE_1)
	s_lshl_b64 s[50:51], s[52:53], 3
	s_add_nc_u64 s[54:55], s[30:31], s[50:51]
	s_and_saveexec_b32 s50, s0
	s_cbranch_execz .LBB103_11
; %bb.10:                               ;   in Loop: Header=BB103_3 Depth=1
	v_lshl_add_u64 v[24:25], v[2:3], 3, s[54:55]
	global_load_b64 v[24:25], v[24:25], off
	s_wait_loadcnt 0x0
	ds_store_b64 v67, v[24:25]
.LBB103_11:                             ;   in Loop: Header=BB103_3 Depth=1
	s_wait_xcnt 0x0
	s_or_b32 exec_lo, exec_lo, s50
	s_cvt_f32_u32 s50, s49
	s_sub_co_i32 s51, 0, s49
	s_add_co_i32 s48, s48, s64
	s_delay_alu instid0(SALU_CYCLE_1) | instskip(SKIP_1) | instid1(TRANS32_DEP_1)
	v_rcp_iflag_f32_e32 v24, s50
	v_nop
	v_readfirstlane_b32 s50, v24
	s_mul_f32 s50, s50, 0x4f7ffffe
	s_delay_alu instid0(SALU_CYCLE_3) | instskip(NEXT) | instid1(SALU_CYCLE_3)
	s_cvt_u32_f32 s50, s50
	s_mul_i32 s51, s51, s50
	s_delay_alu instid0(SALU_CYCLE_1) | instskip(NEXT) | instid1(SALU_CYCLE_1)
	s_mul_hi_u32 s51, s50, s51
	s_add_co_i32 s50, s50, s51
	s_delay_alu instid0(SALU_CYCLE_1) | instskip(NEXT) | instid1(SALU_CYCLE_1)
	s_mul_hi_u32 s50, s48, s50
	s_mul_i32 s51, s50, s49
	s_add_co_i32 s56, s50, 1
	s_sub_co_i32 s51, s48, s51
	s_delay_alu instid0(SALU_CYCLE_1)
	s_sub_co_i32 s57, s51, s49
	s_cmp_ge_u32 s51, s49
	s_cselect_b32 s50, s56, s50
	s_cselect_b32 s51, s57, s51
	s_add_co_i32 s56, s50, 1
	s_cmp_ge_u32 s51, s49
	s_cselect_b32 s50, s56, s50
	s_add_co_i32 s51, s49, -1
	s_mov_b32 s67, s50
	s_cmp_lg_u32 s63, s51
	s_cbranch_scc1 .LBB103_13
; %bb.12:                               ;   in Loop: Header=BB103_3 Depth=1
	s_mul_i32 s49, s50, s49
	s_delay_alu instid0(SALU_CYCLE_1) | instskip(NEXT) | instid1(SALU_CYCLE_1)
	s_sub_co_i32 s48, s48, s49
	s_add_co_i32 s67, s48, s50
.LBB103_13:                             ;   in Loop: Header=BB103_3 Depth=1
	s_delay_alu instid0(SALU_CYCLE_1)
	s_cmp_eq_u32 s67, 0
	s_cbranch_scc1 .LBB103_2
; %bb.14:                               ;   in Loop: Header=BB103_3 Depth=1
	s_mul_u64 s[48:49], s[28:29], s[4:5]
	s_wait_dscnt 0x0
	s_lshl_b64 s[48:49], s[48:49], 3
	s_cmp_lt_i32 s67, 1
	s_add_nc_u64 s[48:49], s[34:35], s[48:49]
	s_barrier_signal -1
	s_barrier_wait -1
	s_cbranch_scc1 .LBB103_21
; %bb.15:                               ;   in Loop: Header=BB103_3 Depth=1
	s_mul_u64 s[58:59], s[14:15], s[4:5]
	s_mul_i32 s56, s65, s50
	s_lshl_b64 s[50:51], s[58:59], 3
	s_ashr_i32 s57, s56, 31
	s_add_nc_u64 s[50:51], s[20:21], s[50:51]
	s_lshl_b64 s[58:59], s[56:57], 3
	s_mul_u64 s[60:61], s[22:23], s[56:57]
	s_add_nc_u64 s[50:51], s[50:51], s[58:59]
	s_lshl_b64 s[60:61], s[60:61], 3
	v_lshl_add_u64 v[24:25], v[0:1], 3, s[50:51]
	s_add_nc_u64 s[60:61], s[48:49], s[60:61]
	s_cmp_eq_u32 s67, 1
	s_delay_alu instid0(VALU_DEP_1) | instskip(NEXT) | instid1(VALU_DEP_1)
	v_lshl_add_u64 v[26:27], s[12:13], 3, v[24:25]
	v_add_nc_u64_e32 v[28:29], s[42:43], v[26:27]
	s_delay_alu instid0(VALU_DEP_1)
	v_add_nc_u64_e32 v[30:31], s[42:43], v[28:29]
	s_clause 0x3
	global_load_b64 v[38:39], v[24:25], off offset:256
	global_load_b64 v[36:37], v[26:27], off offset:256
	;; [unrolled: 1-line block ×4, first 2 shown]
	s_cbranch_scc1 .LBB103_22
; %bb.16:                               ;   in Loop: Header=BB103_3 Depth=1
	s_wait_xcnt 0x3
	v_add_nc_u64_e32 v[24:25], s[58:59], v[16:17]
	s_wait_xcnt 0x2
	v_add_nc_u64_e32 v[26:27], s[58:59], v[18:19]
	s_add_nc_u64 s[50:51], s[18:19], s[52:53]
	s_wait_xcnt 0x0
	v_mov_b64_e32 v[30:31], 0
	s_lshl_b64 s[50:51], s[50:51], 3
	v_mov_b64_e32 v[28:29], 0
	v_mov_b64_e32 v[40:41], s[60:61]
	v_mul_u64_e32 v[42:43], s[24:25], v[24:25]
	v_mul_u64_e32 v[44:45], s[24:25], v[26:27]
	v_mov_b64_e32 v[26:27], 0
	v_mov_b64_e32 v[24:25], 0
	s_add_nc_u64 s[52:53], s[16:17], s[50:51]
	s_mul_u64 s[50:51], s[46:47], s[4:5]
	s_mul_u64 s[54:55], s[44:45], s[4:5]
	s_add_nc_u64 s[56:57], s[40:41], s[58:59]
	s_add_nc_u64 s[50:51], s[50:51], s[58:59]
	;; [unrolled: 1-line block ×3, first 2 shown]
	s_mul_u64 s[56:57], s[24:25], s[56:57]
	s_add_co_i32 s58, s67, -1
	s_add_nc_u64 s[50:51], s[8:9], s[50:51]
.LBB103_17:                             ;   Parent Loop BB103_3 Depth=1
                                        ; =>  This Inner Loop Header: Depth=2
	s_delay_alu instid0(SALU_CYCLE_1)
	v_add_nc_u64_e32 v[56:57], s[50:51], v[20:21]
	v_add_nc_u64_e32 v[46:47], s[50:51], v[14:15]
	;; [unrolled: 1-line block ×6, first 2 shown]
	v_add_nc_u32_e32 v89, v68, v70
	s_clause 0x3
	global_load_b64 v[48:49], v[56:57], off offset:384
	global_load_b64 v[52:53], v[60:61], off offset:384
	;; [unrolled: 1-line block ×4, first 2 shown]
	s_clause 0x1
	global_load_b64 v[64:65], v[62:63], off
	global_load_b64 v[62:63], v[90:91], off
	s_clause 0x3
	global_load_b64 v[46:47], v[46:47], off offset:512
	global_load_b64 v[56:57], v[56:57], off offset:512
	;; [unrolled: 1-line block ×4, first 2 shown]
	s_wait_xcnt 0x4
	ds_load_b128 v[90:93], v69
	ds_load_b128 v[94:97], v69 offset:16
	s_wait_loadcnt_dscnt 0x0
	s_barrier_signal -1
	s_barrier_wait -1
	v_fma_f64 v[98:99], v[38:39], v[90:91], 0
	s_delay_alu instid0(VALU_DEP_1) | instskip(NEXT) | instid1(VALU_DEP_1)
	v_fmac_f64_e32 v[98:99], v[36:37], v[92:93]
	v_fmac_f64_e32 v[98:99], v[34:35], v[94:95]
	s_delay_alu instid0(VALU_DEP_1) | instskip(SKIP_1) | instid1(VALU_DEP_1)
	v_fmac_f64_e32 v[98:99], v[32:33], v[96:97]
	v_fma_f64 v[90:91], v[48:49], v[90:91], 0
	v_fmac_f64_e32 v[90:91], v[50:51], v[92:93]
	s_delay_alu instid0(VALU_DEP_1) | instskip(NEXT) | instid1(VALU_DEP_1)
	v_fmac_f64_e32 v[90:91], v[52:53], v[94:95]
	v_fmac_f64_e32 v[90:91], v[54:55], v[96:97]
	ds_store_2addr_b64 v89, v[98:99], v[90:91] offset1:16
	s_wait_dscnt 0x0
	s_barrier_signal -1
	s_barrier_wait -1
	s_wait_xcnt 0x0
	s_and_saveexec_b32 s59, s0
	s_cbranch_execz .LBB103_19
; %bb.18:                               ;   in Loop: Header=BB103_17 Depth=2
	ds_load_2addr_b64 v[90:93], v71 offset1:32
	v_add_nc_u64_e32 v[40:41], s[38:39], v[40:41]
	s_wait_dscnt 0x0
	v_add_f64_e32 v[90:91], 0, v[90:91]
	s_delay_alu instid0(VALU_DEP_1) | instskip(SKIP_3) | instid1(VALU_DEP_1)
	v_add_f64_e32 v[94:95], v[90:91], v[92:93]
	ds_load_2addr_b64 v[90:93], v71 offset0:64 offset1:96
	s_wait_dscnt 0x0
	v_add_f64_e32 v[90:91], v[94:95], v[90:91]
	v_add_f64_e32 v[94:95], v[90:91], v[92:93]
	ds_load_2addr_b64 v[90:93], v71 offset0:128 offset1:160
	s_wait_dscnt 0x0
	v_add_f64_e32 v[90:91], v[94:95], v[90:91]
	s_delay_alu instid0(VALU_DEP_1) | instskip(SKIP_3) | instid1(VALU_DEP_1)
	v_add_f64_e32 v[94:95], v[90:91], v[92:93]
	ds_load_2addr_b64 v[90:93], v71 offset0:192 offset1:224
	s_wait_dscnt 0x0
	v_add_f64_e32 v[90:91], v[94:95], v[90:91]
	v_add_f64_e32 v[90:91], v[90:91], v[92:93]
	v_lshl_add_u64 v[92:93], v[8:9], 3, v[40:41]
	s_delay_alu instid0(VALU_DEP_2)
	v_mul_f64_e32 v[90:91], v[22:23], v[90:91]
	global_atomic_add_f64 v[92:93], v[90:91], off scope:SCOPE_DEV
.LBB103_19:                             ;   in Loop: Header=BB103_17 Depth=2
	s_wait_xcnt 0x0
	s_or_b32 exec_lo, exec_lo, s59
	v_fmac_f64_e32 v[26:27], v[64:65], v[38:39]
	v_fmac_f64_e32 v[30:31], v[64:65], v[36:37]
	;; [unrolled: 1-line block ×4, first 2 shown]
	s_add_co_i32 s58, s58, -1
	s_add_nc_u64 s[52:53], s[52:53], s[36:37]
	s_add_nc_u64 s[54:55], s[54:55], s[36:37]
	s_cmp_eq_u32 s58, 0
	s_add_nc_u64 s[50:51], s[50:51], 0x100
	s_delay_alu instid0(VALU_DEP_4) | instskip(NEXT) | instid1(VALU_DEP_4)
	v_fmac_f64_e32 v[26:27], v[62:63], v[48:49]
	v_fmac_f64_e32 v[30:31], v[62:63], v[50:51]
	s_delay_alu instid0(VALU_DEP_4) | instskip(NEXT) | instid1(VALU_DEP_4)
	v_fmac_f64_e32 v[28:29], v[62:63], v[52:53]
	v_fmac_f64_e32 v[24:25], v[62:63], v[54:55]
	s_cbranch_scc1 .LBB103_23
; %bb.20:                               ;   in Loop: Header=BB103_17 Depth=2
	v_mov_b64_e32 v[38:39], v[56:57]
	v_mov_b64_e32 v[36:37], v[46:47]
	;; [unrolled: 1-line block ×4, first 2 shown]
	s_branch .LBB103_17
.LBB103_21:                             ;   in Loop: Header=BB103_3 Depth=1
	v_mov_b64_e32 v[24:25], 0
	v_mov_b64_e32 v[28:29], 0
	;; [unrolled: 1-line block ×4, first 2 shown]
	s_branch .LBB103_27
.LBB103_22:                             ;   in Loop: Header=BB103_3 Depth=1
	v_mov_b64_e32 v[40:41], s[60:61]
	s_wait_xcnt 0x3
	v_mov_b64_e32 v[24:25], 0
	s_wait_xcnt 0x1
	;; [unrolled: 2-line block ×3, first 2 shown]
	v_mov_b64_e32 v[30:31], 0
	v_mov_b64_e32 v[26:27], 0
	s_mul_u64 s[52:53], s[24:25], s[56:57]
	s_delay_alu instid0(SALU_CYCLE_1) | instskip(NEXT) | instid1(SALU_CYCLE_1)
	s_lshl_b64 s[52:53], s[52:53], 3
	s_add_nc_u64 s[52:53], s[54:55], s[52:53]
	s_branch .LBB103_24
.LBB103_23:                             ;   in Loop: Header=BB103_3 Depth=1
	v_mov_b64_e32 v[32:33], v[58:59]
	v_mov_b64_e32 v[34:35], v[60:61]
	;; [unrolled: 1-line block ×4, first 2 shown]
	s_add_nc_u64 s[52:53], s[52:53], s[56:57]
.LBB103_24:                             ;   in Loop: Header=BB103_3 Depth=1
	v_lshl_add_u64 v[44:45], v[0:1], 3, s[50:51]
	s_add_nc_u64 s[50:51], s[52:53], s[36:37]
	s_delay_alu instid0(SALU_CYCLE_1)
	v_lshl_add_u64 v[50:51], v[4:5], 3, s[50:51]
	v_lshl_add_u64 v[54:55], v[6:7], 3, s[50:51]
	global_load_b64 v[42:43], v[44:45], off offset:384
	v_lshl_add_u64 v[46:47], s[12:13], 3, v[44:45]
	global_load_b64 v[44:45], v[46:47], off offset:384
	v_add_nc_u64_e32 v[48:49], s[42:43], v[46:47]
	global_load_b64 v[46:47], v[48:49], off offset:384
	s_wait_xcnt 0x0
	v_add_nc_u64_e32 v[48:49], s[42:43], v[48:49]
	global_load_b64 v[48:49], v[48:49], off offset:384
	s_clause 0x1
	global_load_b64 v[52:53], v[50:51], off
	global_load_b64 v[50:51], v[54:55], off
	s_wait_xcnt 0x0
	ds_load_b128 v[54:57], v69
	ds_load_b128 v[58:61], v69 offset:16
	s_wait_storecnt 0x0
	s_wait_loadcnt_dscnt 0x0
	s_barrier_signal -1
	s_barrier_wait -1
	v_fma_f64 v[62:63], v[38:39], v[54:55], 0
	s_delay_alu instid0(VALU_DEP_1) | instskip(NEXT) | instid1(VALU_DEP_1)
	v_fmac_f64_e32 v[62:63], v[36:37], v[56:57]
	v_fmac_f64_e32 v[62:63], v[34:35], v[58:59]
	s_delay_alu instid0(VALU_DEP_1) | instskip(SKIP_1) | instid1(VALU_DEP_1)
	v_fmac_f64_e32 v[62:63], v[32:33], v[60:61]
	v_fma_f64 v[54:55], v[42:43], v[54:55], 0
	v_fmac_f64_e32 v[54:55], v[44:45], v[56:57]
	v_add_nc_u32_e32 v56, v68, v70
	s_delay_alu instid0(VALU_DEP_2) | instskip(NEXT) | instid1(VALU_DEP_1)
	v_fmac_f64_e32 v[54:55], v[46:47], v[58:59]
	v_fmac_f64_e32 v[54:55], v[48:49], v[60:61]
	ds_store_2addr_b64 v56, v[62:63], v[54:55] offset1:16
	s_wait_dscnt 0x0
	s_barrier_signal -1
	s_barrier_wait -1
	s_and_saveexec_b32 s50, s0
	s_cbranch_execz .LBB103_26
; %bb.25:                               ;   in Loop: Header=BB103_3 Depth=1
	ds_load_2addr_b64 v[54:57], v71 offset1:32
	v_add_nc_u64_e32 v[40:41], s[38:39], v[40:41]
	s_delay_alu instid0(VALU_DEP_1) | instskip(SKIP_2) | instid1(VALU_DEP_1)
	v_lshl_add_u64 v[40:41], v[8:9], 3, v[40:41]
	s_wait_dscnt 0x0
	v_add_f64_e32 v[54:55], 0, v[54:55]
	v_add_f64_e32 v[58:59], v[54:55], v[56:57]
	ds_load_2addr_b64 v[54:57], v71 offset0:64 offset1:96
	s_wait_dscnt 0x0
	v_add_f64_e32 v[54:55], v[58:59], v[54:55]
	s_delay_alu instid0(VALU_DEP_1) | instskip(SKIP_3) | instid1(VALU_DEP_1)
	v_add_f64_e32 v[58:59], v[54:55], v[56:57]
	ds_load_2addr_b64 v[54:57], v71 offset0:128 offset1:160
	s_wait_dscnt 0x0
	v_add_f64_e32 v[54:55], v[58:59], v[54:55]
	v_add_f64_e32 v[58:59], v[54:55], v[56:57]
	ds_load_2addr_b64 v[54:57], v71 offset0:192 offset1:224
	s_wait_dscnt 0x0
	v_add_f64_e32 v[54:55], v[58:59], v[54:55]
	s_delay_alu instid0(VALU_DEP_1) | instskip(NEXT) | instid1(VALU_DEP_1)
	v_add_f64_e32 v[54:55], v[54:55], v[56:57]
	v_mul_f64_e32 v[54:55], v[22:23], v[54:55]
	global_atomic_add_f64 v[40:41], v[54:55], off scope:SCOPE_DEV
.LBB103_26:                             ;   in Loop: Header=BB103_3 Depth=1
	s_wait_xcnt 0x0
	s_or_b32 exec_lo, exec_lo, s50
	v_fmac_f64_e32 v[26:27], v[52:53], v[38:39]
	v_fmac_f64_e32 v[30:31], v[52:53], v[36:37]
	v_fmac_f64_e32 v[28:29], v[52:53], v[34:35]
	v_fmac_f64_e32 v[24:25], v[52:53], v[32:33]
	s_delay_alu instid0(VALU_DEP_4) | instskip(NEXT) | instid1(VALU_DEP_4)
	v_fmac_f64_e32 v[26:27], v[50:51], v[42:43]
	v_fmac_f64_e32 v[30:31], v[50:51], v[44:45]
	s_delay_alu instid0(VALU_DEP_4) | instskip(NEXT) | instid1(VALU_DEP_4)
	v_fmac_f64_e32 v[28:29], v[50:51], v[46:47]
	v_fmac_f64_e32 v[24:25], v[50:51], v[48:49]
.LBB103_27:                             ;   in Loop: Header=BB103_3 Depth=1
	ds_store_2addr_b64 v88, v[26:27], v[30:31] offset1:16
	ds_store_2addr_b64 v88, v[28:29], v[24:25] offset0:32 offset1:48
	s_wait_storecnt_dscnt 0x0
	s_barrier_signal -1
	s_barrier_wait -1
	s_and_b32 exec_lo, exec_lo, s0
	s_cbranch_execz .LBB103_2
; %bb.28:                               ;   in Loop: Header=BB103_3 Depth=1
	ds_load_b64 v[24:25], v72
	ds_load_b64 v[26:27], v73
	ds_load_b64 v[28:29], v74
	ds_load_b64 v[30:31], v75
	s_wait_dscnt 0x3
	v_add_f64_e32 v[24:25], 0, v[24:25]
	s_wait_dscnt 0x2
	s_delay_alu instid0(VALU_DEP_1) | instskip(SKIP_1) | instid1(VALU_DEP_1)
	v_add_f64_e32 v[24:25], v[24:25], v[26:27]
	s_wait_dscnt 0x1
	v_add_f64_e32 v[24:25], v[24:25], v[28:29]
	s_wait_dscnt 0x0
	s_delay_alu instid0(VALU_DEP_1)
	v_add_f64_e32 v[24:25], v[24:25], v[30:31]
	ds_load_b64 v[26:27], v76
	ds_load_b64 v[28:29], v77
	ds_load_b64 v[30:31], v78
	ds_load_b64 v[32:33], v79
	s_wait_dscnt 0x3
	v_add_f64_e32 v[24:25], v[24:25], v[26:27]
	s_wait_dscnt 0x2
	s_delay_alu instid0(VALU_DEP_1) | instskip(SKIP_1) | instid1(VALU_DEP_1)
	v_add_f64_e32 v[24:25], v[24:25], v[28:29]
	s_wait_dscnt 0x1
	v_add_f64_e32 v[24:25], v[24:25], v[30:31]
	s_wait_dscnt 0x0
	s_delay_alu instid0(VALU_DEP_1)
	v_add_f64_e32 v[24:25], v[24:25], v[32:33]
	;; [unrolled: 14-line block ×3, first 2 shown]
	ds_load_b64 v[26:27], v84
	ds_load_b64 v[28:29], v85
	;; [unrolled: 1-line block ×4, first 2 shown]
	s_wait_dscnt 0x3
	v_add_f64_e32 v[24:25], v[24:25], v[26:27]
	s_wait_dscnt 0x2
	s_delay_alu instid0(VALU_DEP_1) | instskip(SKIP_1) | instid1(VALU_DEP_1)
	v_add_f64_e32 v[24:25], v[24:25], v[28:29]
	s_wait_dscnt 0x1
	v_add_f64_e32 v[24:25], v[24:25], v[30:31]
	s_wait_dscnt 0x0
	s_delay_alu instid0(VALU_DEP_1) | instskip(NEXT) | instid1(VALU_DEP_1)
	v_add_f64_e32 v[24:25], v[24:25], v[32:33]
	v_mul_f64_e32 v[22:23], v[22:23], v[24:25]
	v_lshl_add_u64 v[24:25], v[8:9], 3, s[48:49]
	global_atomic_add_f64 v[24:25], v[22:23], off scope:SCOPE_DEV
	s_branch .LBB103_2
.LBB103_29:
	s_sendmsg sendmsg(MSG_DEALLOC_VGPRS)
	s_endpgm
	.section	.rodata,"a",@progbits
	.p2align	6, 0x0
	.amdhsa_kernel _ZL54rocblas_symv_kernel_lower_double_buffered_non_diagonalILi32ELi4ELi4E24rocblas_internal_val_ptrIdEPKdPdEvbiT2_lT3_lllS6_lllT4_llli
		.amdhsa_group_segment_fixed_size 7424
		.amdhsa_private_segment_fixed_size 0
		.amdhsa_kernarg_size 384
		.amdhsa_user_sgpr_count 4
		.amdhsa_user_sgpr_dispatch_ptr 1
		.amdhsa_user_sgpr_queue_ptr 0
		.amdhsa_user_sgpr_kernarg_segment_ptr 1
		.amdhsa_user_sgpr_dispatch_id 0
		.amdhsa_user_sgpr_kernarg_preload_length 0
		.amdhsa_user_sgpr_kernarg_preload_offset 0
		.amdhsa_user_sgpr_private_segment_size 0
		.amdhsa_wavefront_size32 1
		.amdhsa_uses_dynamic_stack 0
		.amdhsa_enable_private_segment 0
		.amdhsa_system_sgpr_workgroup_id_x 1
		.amdhsa_system_sgpr_workgroup_id_y 1
		.amdhsa_system_sgpr_workgroup_id_z 1
		.amdhsa_system_sgpr_workgroup_info 0
		.amdhsa_system_vgpr_workitem_id 2
		.amdhsa_next_free_vgpr 100
		.amdhsa_next_free_sgpr 68
		.amdhsa_named_barrier_count 0
		.amdhsa_reserve_vcc 1
		.amdhsa_float_round_mode_32 0
		.amdhsa_float_round_mode_16_64 0
		.amdhsa_float_denorm_mode_32 3
		.amdhsa_float_denorm_mode_16_64 3
		.amdhsa_fp16_overflow 0
		.amdhsa_memory_ordered 1
		.amdhsa_forward_progress 1
		.amdhsa_inst_pref_size 24
		.amdhsa_round_robin_scheduling 0
		.amdhsa_exception_fp_ieee_invalid_op 0
		.amdhsa_exception_fp_denorm_src 0
		.amdhsa_exception_fp_ieee_div_zero 0
		.amdhsa_exception_fp_ieee_overflow 0
		.amdhsa_exception_fp_ieee_underflow 0
		.amdhsa_exception_fp_ieee_inexact 0
		.amdhsa_exception_int_div_zero 0
	.end_amdhsa_kernel
	.section	.text._ZL54rocblas_symv_kernel_lower_double_buffered_non_diagonalILi32ELi4ELi4E24rocblas_internal_val_ptrIdEPKdPdEvbiT2_lT3_lllS6_lllT4_llli,"axG",@progbits,_ZL54rocblas_symv_kernel_lower_double_buffered_non_diagonalILi32ELi4ELi4E24rocblas_internal_val_ptrIdEPKdPdEvbiT2_lT3_lllS6_lllT4_llli,comdat
.Lfunc_end103:
	.size	_ZL54rocblas_symv_kernel_lower_double_buffered_non_diagonalILi32ELi4ELi4E24rocblas_internal_val_ptrIdEPKdPdEvbiT2_lT3_lllS6_lllT4_llli, .Lfunc_end103-_ZL54rocblas_symv_kernel_lower_double_buffered_non_diagonalILi32ELi4ELi4E24rocblas_internal_val_ptrIdEPKdPdEvbiT2_lT3_lllS6_lllT4_llli
                                        ; -- End function
	.set _ZL54rocblas_symv_kernel_lower_double_buffered_non_diagonalILi32ELi4ELi4E24rocblas_internal_val_ptrIdEPKdPdEvbiT2_lT3_lllS6_lllT4_llli.num_vgpr, 100
	.set _ZL54rocblas_symv_kernel_lower_double_buffered_non_diagonalILi32ELi4ELi4E24rocblas_internal_val_ptrIdEPKdPdEvbiT2_lT3_lllS6_lllT4_llli.num_agpr, 0
	.set _ZL54rocblas_symv_kernel_lower_double_buffered_non_diagonalILi32ELi4ELi4E24rocblas_internal_val_ptrIdEPKdPdEvbiT2_lT3_lllS6_lllT4_llli.numbered_sgpr, 68
	.set _ZL54rocblas_symv_kernel_lower_double_buffered_non_diagonalILi32ELi4ELi4E24rocblas_internal_val_ptrIdEPKdPdEvbiT2_lT3_lllS6_lllT4_llli.num_named_barrier, 0
	.set _ZL54rocblas_symv_kernel_lower_double_buffered_non_diagonalILi32ELi4ELi4E24rocblas_internal_val_ptrIdEPKdPdEvbiT2_lT3_lllS6_lllT4_llli.private_seg_size, 0
	.set _ZL54rocblas_symv_kernel_lower_double_buffered_non_diagonalILi32ELi4ELi4E24rocblas_internal_val_ptrIdEPKdPdEvbiT2_lT3_lllS6_lllT4_llli.uses_vcc, 1
	.set _ZL54rocblas_symv_kernel_lower_double_buffered_non_diagonalILi32ELi4ELi4E24rocblas_internal_val_ptrIdEPKdPdEvbiT2_lT3_lllS6_lllT4_llli.uses_flat_scratch, 0
	.set _ZL54rocblas_symv_kernel_lower_double_buffered_non_diagonalILi32ELi4ELi4E24rocblas_internal_val_ptrIdEPKdPdEvbiT2_lT3_lllS6_lllT4_llli.has_dyn_sized_stack, 0
	.set _ZL54rocblas_symv_kernel_lower_double_buffered_non_diagonalILi32ELi4ELi4E24rocblas_internal_val_ptrIdEPKdPdEvbiT2_lT3_lllS6_lllT4_llli.has_recursion, 0
	.set _ZL54rocblas_symv_kernel_lower_double_buffered_non_diagonalILi32ELi4ELi4E24rocblas_internal_val_ptrIdEPKdPdEvbiT2_lT3_lllS6_lllT4_llli.has_indirect_call, 0
	.section	.AMDGPU.csdata,"",@progbits
; Kernel info:
; codeLenInByte = 2980
; TotalNumSgprs: 70
; NumVgprs: 100
; ScratchSize: 0
; MemoryBound: 0
; FloatMode: 240
; IeeeMode: 1
; LDSByteSize: 7424 bytes/workgroup (compile time only)
; SGPRBlocks: 0
; VGPRBlocks: 6
; NumSGPRsForWavesPerEU: 70
; NumVGPRsForWavesPerEU: 100
; NamedBarCnt: 0
; Occupancy: 9
; WaveLimiterHint : 1
; COMPUTE_PGM_RSRC2:SCRATCH_EN: 0
; COMPUTE_PGM_RSRC2:USER_SGPR: 4
; COMPUTE_PGM_RSRC2:TRAP_HANDLER: 0
; COMPUTE_PGM_RSRC2:TGID_X_EN: 1
; COMPUTE_PGM_RSRC2:TGID_Y_EN: 1
; COMPUTE_PGM_RSRC2:TGID_Z_EN: 1
; COMPUTE_PGM_RSRC2:TIDIG_COMP_CNT: 2
	.section	.text._ZL58rocblas_symv_kernel_lower_double_buffered_diagonal_genericILi32ELi4E24rocblas_internal_val_ptrIdEPKdPdEvbiT1_lT2_lllS6_lllS5_lT3_lllii,"axG",@progbits,_ZL58rocblas_symv_kernel_lower_double_buffered_diagonal_genericILi32ELi4E24rocblas_internal_val_ptrIdEPKdPdEvbiT1_lT2_lllS6_lllS5_lT3_lllii,comdat
	.globl	_ZL58rocblas_symv_kernel_lower_double_buffered_diagonal_genericILi32ELi4E24rocblas_internal_val_ptrIdEPKdPdEvbiT1_lT2_lllS6_lllS5_lT3_lllii ; -- Begin function _ZL58rocblas_symv_kernel_lower_double_buffered_diagonal_genericILi32ELi4E24rocblas_internal_val_ptrIdEPKdPdEvbiT1_lT2_lllS6_lllS5_lT3_lllii
	.p2align	8
	.type	_ZL58rocblas_symv_kernel_lower_double_buffered_diagonal_genericILi32ELi4E24rocblas_internal_val_ptrIdEPKdPdEvbiT1_lT2_lllS6_lllS5_lT3_lllii,@function
_ZL58rocblas_symv_kernel_lower_double_buffered_diagonal_genericILi32ELi4E24rocblas_internal_val_ptrIdEPKdPdEvbiT1_lT2_lllS6_lllS5_lT3_lllii: ; @_ZL58rocblas_symv_kernel_lower_double_buffered_diagonal_genericILi32ELi4E24rocblas_internal_val_ptrIdEPKdPdEvbiT1_lT2_lllS6_lllS5_lT3_lllii
; %bb.0:
	s_load_b64 s[4:5], s[0:1], 0x4
	s_clause 0x1
	s_load_b512 s[12:27], s[2:3], 0x8
	s_load_b256 s[36:43], s[2:3], 0x48
	v_bfe_u32 v6, v0, 10, 10
	s_load_b64 s[28:29], s[2:3], 0x88
	v_and_b32_e32 v2, 0x3ff, v0
	v_bfe_u32 v0, v0, 20, 10
	s_wait_xcnt 0x0
	s_bfe_u32 s1, ttmp6, 0x40014
	s_lshr_b32 s0, ttmp7, 16
	s_add_co_i32 s1, s1, 1
	s_getreg_b32 s8, hwreg(HW_REG_IB_STS2, 6, 4)
	s_mul_i32 s1, s0, s1
	s_wait_kmcnt 0x0
	v_mul_u32_u24_e32 v1, s5, v6
	s_lshr_b32 s4, s4, 16
	v_dual_mov_b32 v4, s12 :: v_dual_mov_b32 v5, s13
	s_mul_i32 s4, s4, s5
	v_dual_mov_b32 v8, s40 :: v_dual_mov_b32 v9, s41
	v_mad_u32_u24 v1, s4, v2, v1
	s_bfe_u32 s4, ttmp6, 0x40008
	s_mov_b32 s13, 0
	s_add_co_i32 s4, s4, s1
	s_cmp_eq_u32 s8, 0
	v_add_lshl_u32 v0, v1, v0, 3
	s_cselect_b32 s12, s0, s4
	s_delay_alu instid0(SALU_CYCLE_1) | instskip(NEXT) | instid1(VALU_DEP_1)
	s_cmp_ge_u32 s12, s29
	v_add_nc_u32_e32 v1, 0x100, v0
	ds_store_2addr_stride64_b64 v1, v[8:9], v[4:5] offset0:20 offset1:22
	s_cbranch_scc1 .LBB104_69
; %bb.1:
	v_dual_mov_b32 v3, 0 :: v_dual_add_nc_u32 v20, 0x2d00, v0
	s_clause 0x3
	s_load_b64 s[10:11], s[2:3], 0x68
	s_load_b32 s9, s[2:3], 0x0
	s_load_b64 s[30:31], s[2:3], 0x80
	s_load_b128 s[4:7], s[2:3], 0x70
	s_add_nc_u64 s[34:35], s[20:21], 1
	v_add_nc_u32_e32 v21, 0x2900, v0
	v_dual_mov_b32 v7, v3 :: v_dual_lshlrev_b32 v10, 3, v2
	v_lshl_add_u32 v12, v6, 5, v2
	v_cmp_gt_i32_e64 s33, s28, v2
	v_cmp_le_i32_e64 s1, s28, v2
	s_delay_alu instid0(VALU_DEP_4)
	v_mul_u64_e32 v[4:5], s[20:21], v[6:7]
	v_dual_lshlrev_b32 v13, 8, v6 :: v_dual_mov_b32 v11, v3
	v_sub_co_u32 v7, s40, v2, v6
	v_mul_u32_u24_e32 v14, 0xf8, v2
	v_mul_u64_e32 v[0:1], s[36:37], v[2:3]
	v_cmp_eq_u32_e64 s0, 0, v6
	s_delay_alu instid0(VALU_DEP_4)
	v_dual_sub_nc_u32 v15, 0, v7 :: v_dual_lshlrev_b32 v16, 3, v6
	s_wait_kmcnt 0x0
	s_bitcmp1_b32 s9, 0
	v_add_nc_u32_e32 v23, v10, v13
	s_cselect_b32 s9, -1, 0
	s_lshl_b64 s[48:49], s[18:19], 3
	s_lshl_b64 s[18:19], s[26:27], 3
	s_bfe_u32 s26, ttmp6, 0x4000c
	s_and_b32 s27, ttmp6, 15
	s_add_co_i32 s26, s26, 1
	s_lshl_b64 s[4:5], s[4:5], 3
	s_mul_i32 s26, ttmp9, s26
	s_xor_b32 s41, s9, -1
	s_add_co_i32 s27, s27, s26
	s_cmp_eq_u32 s8, 0
	s_add_nc_u64 s[4:5], s[10:11], s[4:5]
	s_cselect_b32 s44, ttmp9, s27
	s_add_nc_u64 s[26:27], s[24:25], s[18:19]
	s_lshl_b32 s24, s44, 5
	v_mul_u64_e32 v[2:3], s[6:7], v[2:3]
	s_ashr_i32 s25, s24, 31
	s_add_nc_u64 s[8:9], s[16:17], s[48:49]
	s_mul_u64 s[10:11], s[34:35], s[24:25]
	s_mul_u64 s[6:7], s[6:7], s[24:25]
	v_lshlrev_b64_e32 v[8:9], 3, v[4:5]
	s_lshl_b64 s[10:11], s[10:11], 3
	s_lshl_b64 s[18:19], s[20:21], 5
	s_add_nc_u64 s[8:9], s[8:9], s[10:11]
	s_lshr_b32 s45, s28, 2
	s_lshl_b64 s[6:7], s[6:7], 3
	v_max_i32_e32 v15, v7, v15
	v_add_nc_u64_e32 v[4:5], s[8:9], v[8:9]
	s_mul_u64 s[8:9], s[36:37], s[24:25]
	s_add_nc_u64 s[24:25], s[4:5], s[6:7]
	s_lshl_b64 s[34:35], s[8:9], 3
	s_cmp_gt_u32 s28, 3
	s_add_nc_u64 s[8:9], s[48:49], s[10:11]
	s_cselect_b32 s46, -1, 0
	s_and_b32 s4, s28, 3
	v_add_nc_u64_e32 v[4:5], v[4:5], v[10:11]
	v_cmp_gt_u32_e64 s4, s4, v6
	v_add_nc_u64_e32 v[6:7], s[8:9], v[8:9]
	v_add_nc_u32_e32 v8, 0xc00, v13
	v_add_nc_u32_e32 v9, 0x1c00, v13
	v_add3_u32 v24, v10, v14, v16
	v_cmp_gt_u32_e64 s5, 4, v15
	v_add_nc_u32_e32 v14, 0x400, v13
	v_cmp_gt_u32_e64 s6, 8, v15
	v_add_nc_u64_e32 v[6:7], v[6:7], v[10:11]
	v_add_nc_u32_e32 v17, 0x800, v13
	v_cmp_gt_u32_e64 s7, 12, v15
	v_cmp_gt_u32_e64 s8, 16, v15
	;; [unrolled: 1-line block ×5, first 2 shown]
	v_add_nc_u32_e32 v11, 0x1000, v13
	v_add_nc_u32_e32 v15, 0x1400, v13
	;; [unrolled: 1-line block ×3, first 2 shown]
	v_add_nc_u64_e32 v[6:7], s[16:17], v[6:7]
	v_dual_add_nc_u32 v30, v10, v8 :: v_dual_add_nc_u32 v31, v10, v9
	v_mov_b64_e32 v[8:9], 0
	v_add_nc_u32_e32 v22, 0x2800, v10
	v_add_nc_u32_e32 v25, 0x2800, v16
	v_lshl_add_u32 v26, v12, 3, 0x2000
	v_or_b32_e32 v27, 0x2000, v10
	v_dual_add_nc_u32 v28, v10, v14 :: v_dual_add_nc_u32 v29, v10, v17
	v_dual_add_nc_u32 v32, v10, v11 :: v_dual_add_nc_u32 v34, v10, v13
	v_add_nc_u32_e32 v33, v10, v15
	s_add_nc_u64 s[16:17], s[2:3], 0x90
	s_add_nc_u64 s[26:27], s[26:27], s[34:35]
	s_lshl_b64 s[34:35], s[22:23], 3
	s_branch .LBB104_4
.LBB104_2:                              ;   in Loop: Header=BB104_4 Depth=1
	s_wait_xcnt 0x0
	s_or_b32 exec_lo, exec_lo, s36
.LBB104_3:                              ;   in Loop: Header=BB104_4 Depth=1
	s_delay_alu instid0(SALU_CYCLE_1) | instskip(SKIP_1) | instid1(SALU_CYCLE_1)
	s_or_b32 exec_lo, exec_lo, s28
	s_add_co_i32 s12, s12, 0x10000
	s_cmp_lt_u32 s12, s29
	s_cbranch_scc0 .LBB104_69
.LBB104_4:                              ; =>This Loop Header: Depth=1
                                        ;     Child Loop BB104_40 Depth 2
	s_and_b32 vcc_lo, exec_lo, s41
	s_mov_b32 s2, -1
                                        ; implicit-def: $vgpr12_vgpr13
	s_cbranch_vccnz .LBB104_59
; %bb.5:                                ;   in Loop: Header=BB104_4 Depth=1
	s_and_not1_b32 vcc_lo, exec_lo, s2
	s_cbranch_vccz .LBB104_60
.LBB104_6:                              ;   in Loop: Header=BB104_4 Depth=1
	s_and_b32 vcc_lo, exec_lo, s41
	s_mov_b32 s2, -1
                                        ; implicit-def: $vgpr10_vgpr11
	s_cbranch_vccnz .LBB104_61
.LBB104_7:                              ;   in Loop: Header=BB104_4 Depth=1
	s_and_not1_b32 vcc_lo, exec_lo, s2
	s_cbranch_vccnz .LBB104_9
.LBB104_8:                              ;   in Loop: Header=BB104_4 Depth=1
	s_wait_loadcnt_dscnt 0x0
	s_wait_xcnt 0x0
	ds_load_b64 v[10:11], v21
.LBB104_9:                              ;   in Loop: Header=BB104_4 Depth=1
	s_wait_loadcnt_dscnt 0x0
	v_cmp_neq_f64_e32 vcc_lo, 0, v[12:13]
	v_cmp_neq_f64_e64 s2, 1.0, v[10:11]
	s_or_b32 s2, vcc_lo, s2
	s_wait_xcnt 0x0
	s_and_saveexec_b32 s28, s2
	s_cbranch_execz .LBB104_3
; %bb.10:                               ;   in Loop: Header=BB104_4 Depth=1
	s_mul_u64 s[2:3], s[30:31], s[12:13]
	s_mov_b32 s36, exec_lo
	s_lshl_b64 s[2:3], s[2:3], 3
	s_delay_alu instid0(SALU_CYCLE_1)
	s_add_nc_u64 s[2:3], s[24:25], s[2:3]
	v_cmpx_eq_f64_e32 0, v[12:13]
	s_xor_b32 s36, exec_lo, s36
	s_cbranch_execz .LBB104_17
; %bb.11:                               ;   in Loop: Header=BB104_4 Depth=1
	s_and_saveexec_b32 s37, s0
	s_cbranch_execz .LBB104_16
; %bb.12:                               ;   in Loop: Header=BB104_4 Depth=1
	s_mov_b32 s48, s33
	s_and_saveexec_b32 s47, s1
	s_cbranch_execz .LBB104_14
; %bb.13:                               ;   in Loop: Header=BB104_4 Depth=1
	s_load_b32 s48, s[16:17], 0x0
	s_wait_kmcnt 0x0
	s_add_co_i32 s48, s48, -1
	s_delay_alu instid0(SALU_CYCLE_1) | instskip(SKIP_3) | instid1(SALU_CYCLE_1)
	s_cmp_lt_u32 s44, s48
	s_cselect_b32 s48, -1, 0
	s_and_not1_b32 s49, s33, exec_lo
	s_and_b32 s48, s48, exec_lo
	s_or_b32 s48, s49, s48
.LBB104_14:                             ;   in Loop: Header=BB104_4 Depth=1
	s_or_b32 exec_lo, exec_lo, s47
	s_delay_alu instid0(SALU_CYCLE_1)
	s_and_b32 exec_lo, exec_lo, s48
	s_cbranch_execz .LBB104_16
; %bb.15:                               ;   in Loop: Header=BB104_4 Depth=1
	v_lshl_add_u64 v[12:13], v[2:3], 3, s[2:3]
	global_load_b64 v[14:15], v[12:13], off
	s_wait_loadcnt 0x0
	v_mul_f64_e32 v[10:11], v[10:11], v[14:15]
	global_store_b64 v[12:13], v[10:11], off
.LBB104_16:                             ;   in Loop: Header=BB104_4 Depth=1
	s_wait_xcnt 0x0
	s_or_b32 exec_lo, exec_lo, s37
                                        ; implicit-def: $vgpr12_vgpr13
                                        ; implicit-def: $vgpr10_vgpr11
.LBB104_17:                             ;   in Loop: Header=BB104_4 Depth=1
	s_and_not1_saveexec_b32 s36, s36
	s_cbranch_execz .LBB104_3
; %bb.18:                               ;   in Loop: Header=BB104_4 Depth=1
	s_load_b32 s47, s[16:17], 0x0
	s_mul_u64 s[36:37], s[38:39], s[12:13]
	s_mov_b32 s48, -1
	s_lshl_b64 s[36:37], s[36:37], 3
                                        ; implicit-def: $vgpr14_vgpr15
	s_delay_alu instid0(SALU_CYCLE_1) | instskip(SKIP_2) | instid1(SALU_CYCLE_1)
	s_add_nc_u64 s[36:37], s[26:27], s[36:37]
	s_wait_kmcnt 0x0
	s_add_co_i32 s47, s47, -1
	s_cmp_lg_u32 s44, s47
	s_cselect_b32 s47, -1, 0
	s_delay_alu instid0(SALU_CYCLE_1)
	s_and_b32 vcc_lo, exec_lo, s47
	s_cbranch_vccz .LBB104_24
; %bb.19:                               ;   in Loop: Header=BB104_4 Depth=1
	v_mov_b64_e32 v[14:15], 0
	s_and_saveexec_b32 s48, s0
	s_cbranch_execz .LBB104_23
; %bb.20:                               ;   in Loop: Header=BB104_4 Depth=1
	v_lshl_add_u64 v[14:15], v[0:1], 3, s[36:37]
	s_mov_b32 s49, exec_lo
	global_load_b64 v[16:17], v[14:15], off
	s_wait_xcnt 0x0
	v_mov_b64_e32 v[14:15], 0
	s_wait_loadcnt 0x0
	ds_store_b64 v22, v[16:17]
	v_cmpx_neq_f64_e32 0, v[10:11]
	s_cbranch_execz .LBB104_22
; %bb.21:                               ;   in Loop: Header=BB104_4 Depth=1
	v_lshl_add_u64 v[14:15], v[2:3], 3, s[2:3]
	global_load_b64 v[14:15], v[14:15], off
	s_wait_loadcnt 0x0
	v_mul_f64_e32 v[14:15], v[10:11], v[14:15]
.LBB104_22:                             ;   in Loop: Header=BB104_4 Depth=1
	s_or_b32 exec_lo, exec_lo, s49
.LBB104_23:                             ;   in Loop: Header=BB104_4 Depth=1
	s_delay_alu instid0(SALU_CYCLE_1)
	s_or_b32 exec_lo, exec_lo, s48
	s_mov_b32 s48, 0
.LBB104_24:                             ;   in Loop: Header=BB104_4 Depth=1
	s_delay_alu instid0(SALU_CYCLE_1)
	s_and_not1_b32 vcc_lo, exec_lo, s48
	s_cbranch_vccnz .LBB104_34
; %bb.25:                               ;   in Loop: Header=BB104_4 Depth=1
	v_mov_b64_e32 v[14:15], 0
	s_and_saveexec_b32 s48, s0
	s_cbranch_execz .LBB104_33
; %bb.26:                               ;   in Loop: Header=BB104_4 Depth=1
	s_and_saveexec_b32 s49, s1
	s_delay_alu instid0(SALU_CYCLE_1)
	s_xor_b32 s49, exec_lo, s49
; %bb.27:                               ;   in Loop: Header=BB104_4 Depth=1
	ds_store_b64 v22, v[8:9]
; %bb.28:                               ;   in Loop: Header=BB104_4 Depth=1
	s_or_saveexec_b32 s49, s49
	v_mov_b64_e32 v[14:15], 0
	s_xor_b32 exec_lo, exec_lo, s49
	s_cbranch_execz .LBB104_32
; %bb.29:                               ;   in Loop: Header=BB104_4 Depth=1
	v_lshl_add_u64 v[14:15], v[0:1], 3, s[36:37]
	s_mov_b32 s36, exec_lo
	global_load_b64 v[16:17], v[14:15], off
	s_wait_xcnt 0x0
	v_mov_b64_e32 v[14:15], 0
	s_wait_loadcnt 0x0
	ds_store_b64 v22, v[16:17]
	v_cmpx_neq_f64_e32 0, v[10:11]
	s_cbranch_execz .LBB104_31
; %bb.30:                               ;   in Loop: Header=BB104_4 Depth=1
	v_lshl_add_u64 v[14:15], v[2:3], 3, s[2:3]
	global_load_b64 v[14:15], v[14:15], off
	s_wait_loadcnt 0x0
	v_mul_f64_e32 v[14:15], v[10:11], v[14:15]
.LBB104_31:                             ;   in Loop: Header=BB104_4 Depth=1
	s_or_b32 exec_lo, exec_lo, s36
.LBB104_32:                             ;   in Loop: Header=BB104_4 Depth=1
	s_delay_alu instid0(SALU_CYCLE_1)
	s_or_b32 exec_lo, exec_lo, s49
.LBB104_33:                             ;   in Loop: Header=BB104_4 Depth=1
	s_delay_alu instid0(SALU_CYCLE_1)
	s_or_b32 exec_lo, exec_lo, s48
.LBB104_34:                             ;   in Loop: Header=BB104_4 Depth=1
	s_mul_u64 s[36:37], s[22:23], s[12:13]
	s_and_not1_b32 vcc_lo, exec_lo, s47
	v_lshl_add_u64 v[16:17], s[36:37], 3, v[4:5]
	s_mov_b32 s36, -1
	s_cbranch_vccnz .LBB104_36
; %bb.35:                               ;   in Loop: Header=BB104_4 Depth=1
	s_delay_alu instid0(VALU_DEP_1) | instskip(SKIP_1) | instid1(VALU_DEP_1)
	v_add_nc_u64_e32 v[18:19], s[18:19], v[16:17]
	s_mov_b32 s36, 0
	v_add_nc_u64_e32 v[36:37], s[18:19], v[18:19]
	s_delay_alu instid0(VALU_DEP_1) | instskip(NEXT) | instid1(VALU_DEP_1)
	v_add_nc_u64_e32 v[38:39], s[18:19], v[36:37]
	v_add_nc_u64_e32 v[40:41], s[18:19], v[38:39]
	s_delay_alu instid0(VALU_DEP_1) | instskip(NEXT) | instid1(VALU_DEP_1)
	v_add_nc_u64_e32 v[42:43], s[18:19], v[40:41]
	v_add_nc_u64_e32 v[44:45], s[18:19], v[42:43]
	s_delay_alu instid0(VALU_DEP_1)
	v_add_nc_u64_e32 v[46:47], s[18:19], v[44:45]
	s_clause 0x5
	global_load_b64 v[48:49], v[16:17], off
	global_load_b64 v[50:51], v[18:19], off
	;; [unrolled: 1-line block ×8, first 2 shown]
	s_wait_loadcnt 0x6
	ds_store_2addr_stride64_b64 v23, v[48:49], v[50:51] offset1:2
	s_wait_loadcnt 0x4
	ds_store_2addr_stride64_b64 v23, v[52:53], v[54:55] offset0:4 offset1:6
	s_wait_loadcnt 0x2
	ds_store_2addr_stride64_b64 v23, v[56:57], v[58:59] offset0:8 offset1:10
	;; [unrolled: 2-line block ×3, first 2 shown]
.LBB104_36:                             ;   in Loop: Header=BB104_4 Depth=1
	s_and_not1_b32 vcc_lo, exec_lo, s36
	s_cbranch_vccnz .LBB104_44
; %bb.37:                               ;   in Loop: Header=BB104_4 Depth=1
	ds_store_2addr_stride64_b64 v23, v[8:9], v[8:9] offset1:2
	ds_store_2addr_stride64_b64 v23, v[8:9], v[8:9] offset0:4 offset1:6
	ds_store_2addr_stride64_b64 v23, v[8:9], v[8:9] offset0:8 offset1:10
	;; [unrolled: 1-line block ×3, first 2 shown]
	s_wait_xcnt 0x0
	s_and_saveexec_b32 s36, s33
	s_cbranch_execz .LBB104_43
; %bb.38:                               ;   in Loop: Header=BB104_4 Depth=1
	s_and_not1_b32 vcc_lo, exec_lo, s46
	s_mov_b32 s37, 0
	s_cbranch_vccnz .LBB104_41
; %bb.39:                               ;   in Loop: Header=BB104_4 Depth=1
	v_mad_nc_u64_u32 v[18:19], s34, s12, v[6:7]
	v_mov_b32_e32 v35, v23
	s_mov_b32 s48, s45
	s_delay_alu instid0(VALU_DEP_2)
	v_mad_u32 v19, s35, s12, v19
.LBB104_40:                             ;   Parent Loop BB104_4 Depth=1
                                        ; =>  This Inner Loop Header: Depth=2
	global_load_b64 v[36:37], v[18:19], off
	s_wait_xcnt 0x0
	v_add_nc_u64_e32 v[18:19], s[18:19], v[18:19]
	s_add_co_i32 s48, s48, -1
	s_mov_b32 s37, s45
	s_cmp_lg_u32 s48, 0
	s_wait_loadcnt 0x0
	ds_store_b64 v35, v[36:37]
	v_add_nc_u32_e32 v35, 0x400, v35
	s_cbranch_scc1 .LBB104_40
.LBB104_41:                             ;   in Loop: Header=BB104_4 Depth=1
	s_and_b32 exec_lo, exec_lo, s4
	s_cbranch_execz .LBB104_43
; %bb.42:                               ;   in Loop: Header=BB104_4 Depth=1
	s_lshl_b32 s48, s37, 2
	s_mov_b32 s49, s13
	v_lshl_add_u32 v18, s37, 10, v23
	s_mul_u64 s[48:49], s[20:21], s[48:49]
	s_delay_alu instid0(SALU_CYCLE_1)
	v_lshl_add_u64 v[16:17], s[48:49], 3, v[16:17]
	global_load_b64 v[16:17], v[16:17], off
	s_wait_loadcnt 0x0
	ds_store_b64 v18, v[16:17]
.LBB104_43:                             ;   in Loop: Header=BB104_4 Depth=1
	s_wait_xcnt 0x0
	s_or_b32 exec_lo, exec_lo, s36
.LBB104_44:                             ;   in Loop: Header=BB104_4 Depth=1
	s_wait_storecnt_dscnt 0x0
	s_barrier_signal -1
	s_barrier_wait -1
	s_wait_xcnt 0x0
	s_and_saveexec_b32 s36, s40
	s_cbranch_execnz .LBB104_62
; %bb.45:                               ;   in Loop: Header=BB104_4 Depth=1
	s_or_b32 exec_lo, exec_lo, s36
	s_and_saveexec_b32 s36, s5
	s_cbranch_execnz .LBB104_63
.LBB104_46:                             ;   in Loop: Header=BB104_4 Depth=1
	s_or_b32 exec_lo, exec_lo, s36
	s_and_saveexec_b32 s36, s6
	s_cbranch_execnz .LBB104_64
.LBB104_47:                             ;   in Loop: Header=BB104_4 Depth=1
	s_or_b32 exec_lo, exec_lo, s36
	s_and_saveexec_b32 s36, s7
	s_cbranch_execnz .LBB104_65
.LBB104_48:                             ;   in Loop: Header=BB104_4 Depth=1
	s_or_b32 exec_lo, exec_lo, s36
	s_and_saveexec_b32 s36, s8
	s_cbranch_execnz .LBB104_66
.LBB104_49:                             ;   in Loop: Header=BB104_4 Depth=1
	s_or_b32 exec_lo, exec_lo, s36
	s_and_saveexec_b32 s36, s9
	s_cbranch_execnz .LBB104_67
.LBB104_50:                             ;   in Loop: Header=BB104_4 Depth=1
	s_or_b32 exec_lo, exec_lo, s36
	s_and_saveexec_b32 s36, s10
	s_cbranch_execnz .LBB104_68
.LBB104_51:                             ;   in Loop: Header=BB104_4 Depth=1
	s_or_b32 exec_lo, exec_lo, s36
	s_and_saveexec_b32 s36, s11
	s_cbranch_execz .LBB104_53
.LBB104_52:                             ;   in Loop: Header=BB104_4 Depth=1
	ds_load_b64 v[16:17], v24 offset:224
	s_wait_dscnt 0x0
	ds_store_b64 v31, v[16:17]
.LBB104_53:                             ;   in Loop: Header=BB104_4 Depth=1
	s_or_b32 exec_lo, exec_lo, s36
	s_wait_dscnt 0x0
	s_barrier_signal -1
	s_barrier_wait -1
	ds_load_2addr_b64 v[16:19], v25 offset1:4
	ds_load_b64 v[36:37], v23
	ds_load_b64 v[38:39], v28
	;; [unrolled: 1-line block ×4, first 2 shown]
	s_wait_dscnt 0x3
	v_fma_f64 v[36:37], v[36:37], v[16:17], 0
	s_wait_dscnt 0x2
	s_delay_alu instid0(VALU_DEP_1) | instskip(SKIP_3) | instid1(VALU_DEP_1)
	v_fmac_f64_e32 v[36:37], v[38:39], v[18:19]
	ds_load_2addr_b64 v[16:19], v25 offset0:8 offset1:12
	s_wait_dscnt 0x0
	v_fmac_f64_e32 v[36:37], v[40:41], v[16:17]
	v_fmac_f64_e32 v[36:37], v[42:43], v[18:19]
	ds_load_2addr_b64 v[16:19], v25 offset0:16 offset1:20
	ds_load_b64 v[38:39], v32
	ds_load_b64 v[40:41], v33
	;; [unrolled: 1-line block ×4, first 2 shown]
	s_wait_dscnt 0x3
	v_fmac_f64_e32 v[36:37], v[38:39], v[16:17]
	s_wait_dscnt 0x2
	s_delay_alu instid0(VALU_DEP_1) | instskip(SKIP_3) | instid1(VALU_DEP_1)
	v_fmac_f64_e32 v[36:37], v[40:41], v[18:19]
	ds_load_2addr_b64 v[16:19], v25 offset0:24 offset1:28
	s_wait_dscnt 0x0
	v_fmac_f64_e32 v[36:37], v[42:43], v[16:17]
	v_fmac_f64_e32 v[36:37], v[44:45], v[18:19]
	ds_store_b64 v26, v[36:37]
	s_wait_dscnt 0x0
	s_barrier_signal -1
	s_barrier_wait -1
	s_and_saveexec_b32 s36, s0
	s_cbranch_execz .LBB104_2
; %bb.54:                               ;   in Loop: Header=BB104_4 Depth=1
	ds_load_2addr_b64 v[16:19], v27 offset1:32
	v_cmp_neq_f64_e32 vcc_lo, 0, v[10:11]
	s_mov_b32 s37, -1
	s_wait_dscnt 0x0
	v_add_f64_e32 v[16:17], 0, v[16:17]
	s_delay_alu instid0(VALU_DEP_1) | instskip(SKIP_3) | instid1(VALU_DEP_1)
	v_add_f64_e32 v[36:37], v[16:17], v[18:19]
	ds_load_2addr_b64 v[16:19], v27 offset0:64 offset1:96
	s_wait_dscnt 0x0
	v_add_f64_e32 v[16:17], v[36:37], v[16:17]
	v_add_f64_e32 v[16:17], v[16:17], v[18:19]
	s_delay_alu instid0(VALU_DEP_1) | instskip(SKIP_1) | instid1(VALU_DEP_1)
	v_mul_f64_e32 v[18:19], v[12:13], v[16:17]
	v_fmac_f64_e32 v[14:15], v[12:13], v[16:17]
	v_dual_cndmask_b32 v11, v19, v15 :: v_dual_cndmask_b32 v10, v18, v14
	s_and_b32 vcc_lo, exec_lo, s47
	s_cbranch_vccz .LBB104_56
; %bb.55:                               ;   in Loop: Header=BB104_4 Depth=1
	v_lshl_add_u64 v[12:13], v[2:3], 3, s[2:3]
	s_mov_b32 s37, 0
	global_store_b64 v[12:13], v[10:11], off
.LBB104_56:                             ;   in Loop: Header=BB104_4 Depth=1
	s_and_not1_b32 vcc_lo, exec_lo, s37
	s_cbranch_vccnz .LBB104_2
; %bb.57:                               ;   in Loop: Header=BB104_4 Depth=1
	s_wait_xcnt 0x0
	s_and_b32 exec_lo, exec_lo, s33
	s_cbranch_execz .LBB104_2
; %bb.58:                               ;   in Loop: Header=BB104_4 Depth=1
	v_lshl_add_u64 v[12:13], v[2:3], 3, s[2:3]
	global_store_b64 v[12:13], v[10:11], off
	s_branch .LBB104_2
.LBB104_59:                             ;   in Loop: Header=BB104_4 Depth=1
	ds_load_b64 v[10:11], v20
	s_mul_u64 s[2:3], s[14:15], s[12:13]
	s_wait_dscnt 0x0
	v_lshl_add_u64 v[10:11], s[2:3], 3, v[10:11]
	flat_load_b64 v[12:13], v[10:11]
	s_cbranch_execnz .LBB104_6
.LBB104_60:                             ;   in Loop: Header=BB104_4 Depth=1
	s_wait_loadcnt_dscnt 0x0
	ds_load_b64 v[12:13], v20
	s_and_b32 vcc_lo, exec_lo, s41
	s_mov_b32 s2, -1
                                        ; implicit-def: $vgpr10_vgpr11
	s_cbranch_vccz .LBB104_7
.LBB104_61:                             ;   in Loop: Header=BB104_4 Depth=1
	s_wait_xcnt 0x0
	ds_load_b64 v[10:11], v21
	s_mul_u64 s[2:3], s[42:43], s[12:13]
	s_wait_dscnt 0x0
	v_lshl_add_u64 v[10:11], s[2:3], 3, v[10:11]
	flat_load_b64 v[10:11], v[10:11]
	s_cbranch_execz .LBB104_8
	s_branch .LBB104_9
.LBB104_62:                             ;   in Loop: Header=BB104_4 Depth=1
	ds_load_b64 v[16:17], v24
	s_wait_dscnt 0x0
	ds_store_b64 v23, v[16:17]
	s_or_b32 exec_lo, exec_lo, s36
	s_and_saveexec_b32 s36, s5
	s_cbranch_execz .LBB104_46
.LBB104_63:                             ;   in Loop: Header=BB104_4 Depth=1
	ds_load_b64 v[16:17], v24 offset:32
	s_wait_dscnt 0x0
	ds_store_b64 v28, v[16:17]
	s_or_b32 exec_lo, exec_lo, s36
	s_and_saveexec_b32 s36, s6
	s_cbranch_execz .LBB104_47
.LBB104_64:                             ;   in Loop: Header=BB104_4 Depth=1
	ds_load_b64 v[16:17], v24 offset:64
	s_wait_dscnt 0x0
	ds_store_b64 v29, v[16:17]
	s_or_b32 exec_lo, exec_lo, s36
	s_and_saveexec_b32 s36, s7
	s_cbranch_execz .LBB104_48
.LBB104_65:                             ;   in Loop: Header=BB104_4 Depth=1
	ds_load_b64 v[16:17], v24 offset:96
	s_wait_dscnt 0x0
	ds_store_b64 v30, v[16:17]
	s_or_b32 exec_lo, exec_lo, s36
	s_and_saveexec_b32 s36, s8
	s_cbranch_execz .LBB104_49
.LBB104_66:                             ;   in Loop: Header=BB104_4 Depth=1
	ds_load_b64 v[16:17], v24 offset:128
	s_wait_dscnt 0x0
	ds_store_b64 v23, v[16:17] offset:4096
	s_or_b32 exec_lo, exec_lo, s36
	s_and_saveexec_b32 s36, s9
	s_cbranch_execz .LBB104_50
.LBB104_67:                             ;   in Loop: Header=BB104_4 Depth=1
	ds_load_b64 v[16:17], v24 offset:160
	s_wait_dscnt 0x0
	ds_store_b64 v23, v[16:17] offset:5120
	s_or_b32 exec_lo, exec_lo, s36
	s_and_saveexec_b32 s36, s10
	s_cbranch_execz .LBB104_51
.LBB104_68:                             ;   in Loop: Header=BB104_4 Depth=1
	ds_load_b64 v[16:17], v24 offset:192
	s_wait_dscnt 0x0
	ds_store_b64 v23, v[16:17] offset:6144
	s_or_b32 exec_lo, exec_lo, s36
	s_and_saveexec_b32 s36, s11
	s_cbranch_execnz .LBB104_52
	s_branch .LBB104_53
.LBB104_69:
	s_endpgm
	.section	.rodata,"a",@progbits
	.p2align	6, 0x0
	.amdhsa_kernel _ZL58rocblas_symv_kernel_lower_double_buffered_diagonal_genericILi32ELi4E24rocblas_internal_val_ptrIdEPKdPdEvbiT1_lT2_lllS6_lllS5_lT3_lllii
		.amdhsa_group_segment_fixed_size 12544
		.amdhsa_private_segment_fixed_size 0
		.amdhsa_kernarg_size 400
		.amdhsa_user_sgpr_count 4
		.amdhsa_user_sgpr_dispatch_ptr 1
		.amdhsa_user_sgpr_queue_ptr 0
		.amdhsa_user_sgpr_kernarg_segment_ptr 1
		.amdhsa_user_sgpr_dispatch_id 0
		.amdhsa_user_sgpr_kernarg_preload_length 0
		.amdhsa_user_sgpr_kernarg_preload_offset 0
		.amdhsa_user_sgpr_private_segment_size 0
		.amdhsa_wavefront_size32 1
		.amdhsa_uses_dynamic_stack 0
		.amdhsa_enable_private_segment 0
		.amdhsa_system_sgpr_workgroup_id_x 1
		.amdhsa_system_sgpr_workgroup_id_y 0
		.amdhsa_system_sgpr_workgroup_id_z 1
		.amdhsa_system_sgpr_workgroup_info 0
		.amdhsa_system_vgpr_workitem_id 2
		.amdhsa_next_free_vgpr 64
		.amdhsa_next_free_sgpr 50
		.amdhsa_named_barrier_count 0
		.amdhsa_reserve_vcc 1
		.amdhsa_float_round_mode_32 0
		.amdhsa_float_round_mode_16_64 0
		.amdhsa_float_denorm_mode_32 3
		.amdhsa_float_denorm_mode_16_64 3
		.amdhsa_fp16_overflow 0
		.amdhsa_memory_ordered 1
		.amdhsa_forward_progress 1
		.amdhsa_inst_pref_size 21
		.amdhsa_round_robin_scheduling 0
		.amdhsa_exception_fp_ieee_invalid_op 0
		.amdhsa_exception_fp_denorm_src 0
		.amdhsa_exception_fp_ieee_div_zero 0
		.amdhsa_exception_fp_ieee_overflow 0
		.amdhsa_exception_fp_ieee_underflow 0
		.amdhsa_exception_fp_ieee_inexact 0
		.amdhsa_exception_int_div_zero 0
	.end_amdhsa_kernel
	.section	.text._ZL58rocblas_symv_kernel_lower_double_buffered_diagonal_genericILi32ELi4E24rocblas_internal_val_ptrIdEPKdPdEvbiT1_lT2_lllS6_lllS5_lT3_lllii,"axG",@progbits,_ZL58rocblas_symv_kernel_lower_double_buffered_diagonal_genericILi32ELi4E24rocblas_internal_val_ptrIdEPKdPdEvbiT1_lT2_lllS6_lllS5_lT3_lllii,comdat
.Lfunc_end104:
	.size	_ZL58rocblas_symv_kernel_lower_double_buffered_diagonal_genericILi32ELi4E24rocblas_internal_val_ptrIdEPKdPdEvbiT1_lT2_lllS6_lllS5_lT3_lllii, .Lfunc_end104-_ZL58rocblas_symv_kernel_lower_double_buffered_diagonal_genericILi32ELi4E24rocblas_internal_val_ptrIdEPKdPdEvbiT1_lT2_lllS6_lllS5_lT3_lllii
                                        ; -- End function
	.set _ZL58rocblas_symv_kernel_lower_double_buffered_diagonal_genericILi32ELi4E24rocblas_internal_val_ptrIdEPKdPdEvbiT1_lT2_lllS6_lllS5_lT3_lllii.num_vgpr, 64
	.set _ZL58rocblas_symv_kernel_lower_double_buffered_diagonal_genericILi32ELi4E24rocblas_internal_val_ptrIdEPKdPdEvbiT1_lT2_lllS6_lllS5_lT3_lllii.num_agpr, 0
	.set _ZL58rocblas_symv_kernel_lower_double_buffered_diagonal_genericILi32ELi4E24rocblas_internal_val_ptrIdEPKdPdEvbiT1_lT2_lllS6_lllS5_lT3_lllii.numbered_sgpr, 50
	.set _ZL58rocblas_symv_kernel_lower_double_buffered_diagonal_genericILi32ELi4E24rocblas_internal_val_ptrIdEPKdPdEvbiT1_lT2_lllS6_lllS5_lT3_lllii.num_named_barrier, 0
	.set _ZL58rocblas_symv_kernel_lower_double_buffered_diagonal_genericILi32ELi4E24rocblas_internal_val_ptrIdEPKdPdEvbiT1_lT2_lllS6_lllS5_lT3_lllii.private_seg_size, 0
	.set _ZL58rocblas_symv_kernel_lower_double_buffered_diagonal_genericILi32ELi4E24rocblas_internal_val_ptrIdEPKdPdEvbiT1_lT2_lllS6_lllS5_lT3_lllii.uses_vcc, 1
	.set _ZL58rocblas_symv_kernel_lower_double_buffered_diagonal_genericILi32ELi4E24rocblas_internal_val_ptrIdEPKdPdEvbiT1_lT2_lllS6_lllS5_lT3_lllii.uses_flat_scratch, 0
	.set _ZL58rocblas_symv_kernel_lower_double_buffered_diagonal_genericILi32ELi4E24rocblas_internal_val_ptrIdEPKdPdEvbiT1_lT2_lllS6_lllS5_lT3_lllii.has_dyn_sized_stack, 0
	.set _ZL58rocblas_symv_kernel_lower_double_buffered_diagonal_genericILi32ELi4E24rocblas_internal_val_ptrIdEPKdPdEvbiT1_lT2_lllS6_lllS5_lT3_lllii.has_recursion, 0
	.set _ZL58rocblas_symv_kernel_lower_double_buffered_diagonal_genericILi32ELi4E24rocblas_internal_val_ptrIdEPKdPdEvbiT1_lT2_lllS6_lllS5_lT3_lllii.has_indirect_call, 0
	.section	.AMDGPU.csdata,"",@progbits
; Kernel info:
; codeLenInByte = 2620
; TotalNumSgprs: 52
; NumVgprs: 64
; ScratchSize: 0
; MemoryBound: 0
; FloatMode: 240
; IeeeMode: 1
; LDSByteSize: 12544 bytes/workgroup (compile time only)
; SGPRBlocks: 0
; VGPRBlocks: 3
; NumSGPRsForWavesPerEU: 52
; NumVGPRsForWavesPerEU: 64
; NamedBarCnt: 0
; Occupancy: 16
; WaveLimiterHint : 1
; COMPUTE_PGM_RSRC2:SCRATCH_EN: 0
; COMPUTE_PGM_RSRC2:USER_SGPR: 4
; COMPUTE_PGM_RSRC2:TRAP_HANDLER: 0
; COMPUTE_PGM_RSRC2:TGID_X_EN: 1
; COMPUTE_PGM_RSRC2:TGID_Y_EN: 0
; COMPUTE_PGM_RSRC2:TGID_Z_EN: 1
; COMPUTE_PGM_RSRC2:TIDIG_COMP_CNT: 2
	.section	.text._ZL62rocblas_symv_kernel_lower_double_buffered_non_diagonal_genericILi32ELi4ELi4E24rocblas_internal_val_ptrIdEPKdPdEvbiT2_lT3_lllS6_lllT4_lllii,"axG",@progbits,_ZL62rocblas_symv_kernel_lower_double_buffered_non_diagonal_genericILi32ELi4ELi4E24rocblas_internal_val_ptrIdEPKdPdEvbiT2_lT3_lllS6_lllT4_lllii,comdat
	.globl	_ZL62rocblas_symv_kernel_lower_double_buffered_non_diagonal_genericILi32ELi4ELi4E24rocblas_internal_val_ptrIdEPKdPdEvbiT2_lT3_lllS6_lllT4_lllii ; -- Begin function _ZL62rocblas_symv_kernel_lower_double_buffered_non_diagonal_genericILi32ELi4ELi4E24rocblas_internal_val_ptrIdEPKdPdEvbiT2_lT3_lllS6_lllT4_lllii
	.p2align	8
	.type	_ZL62rocblas_symv_kernel_lower_double_buffered_non_diagonal_genericILi32ELi4ELi4E24rocblas_internal_val_ptrIdEPKdPdEvbiT2_lT3_lllS6_lllT4_lllii,@function
_ZL62rocblas_symv_kernel_lower_double_buffered_non_diagonal_genericILi32ELi4ELi4E24rocblas_internal_val_ptrIdEPKdPdEvbiT2_lT3_lllS6_lllT4_lllii: ; @_ZL62rocblas_symv_kernel_lower_double_buffered_non_diagonal_genericILi32ELi4ELi4E24rocblas_internal_val_ptrIdEPKdPdEvbiT2_lT3_lllS6_lllT4_lllii
; %bb.0:
	s_load_b64 s[20:21], s[0:1], 0x4
	s_clause 0x1
	s_load_b512 s[4:19], s[2:3], 0x8
	s_load_b64 s[28:29], s[2:3], 0x78
	v_bfe_u32 v2, v0, 10, 10
	v_and_b32_e32 v12, 0x3ff, v0
	s_wait_xcnt 0x0
	s_bfe_u32 s0, ttmp6, 0x40014
	s_lshr_b32 s1, ttmp7, 16
	s_add_co_i32 s0, s0, 1
	v_bfe_u32 v0, v0, 20, 10
	s_wait_kmcnt 0x0
	v_mul_u32_u24_e32 v1, s21, v2
	s_lshr_b32 s20, s20, 16
	v_dual_mov_b32 v4, s4 :: v_dual_mov_b32 v5, s5
	s_mul_i32 s20, s20, s21
	s_mul_i32 s4, s1, s0
	v_mad_u32_u24 v1, s20, v12, v1
	s_bfe_u32 s5, ttmp6, 0x40008
	s_getreg_b32 s0, hwreg(HW_REG_IB_STS2, 6, 4)
	s_add_co_i32 s5, s5, s4
	s_cmp_eq_u32 s0, 0
	v_add_lshl_u32 v0, v1, v0, 3
	s_cselect_b32 s4, s1, s5
	s_mov_b32 s5, 0
	s_cmp_ge_u32 s4, s29
	ds_store_b64 v0, v[4:5] offset:6400
	s_cbranch_scc1 .LBB105_38
; %bb.1:
	s_clause 0x2
	s_load_b32 s1, s[2:3], 0x0
	s_load_b128 s[20:23], s[2:3], 0x60
	s_load_b64 s[36:37], s[2:3], 0x58
	v_dual_mov_b32 v13, 0 :: v_dual_add_nc_u32 v68, 0x1900, v0
	v_lshl_add_u32 v0, v2, 5, v12
	s_clause 0x1
	s_load_b128 s[24:27], s[2:3], 0x48
	s_load_b64 s[30:31], s[2:3], 0x70
	s_add_nc_u64 s[34:35], s[2:3], 0x80
	s_add_nc_u64 s[38:39], s[12:13], 1
	v_dual_mov_b32 v11, v13 :: v_dual_lshrrev_b32 v14, 4, v0
	v_dual_mov_b32 v17, v13 :: v_dual_bitop2_b32 v10, 15, v12 bitop3:0x40
	v_cmp_gt_i32_e32 vcc_lo, s28, v12
	s_mul_u64 s[46:47], s[12:13], 3
	s_delay_alu instid0(VALU_DEP_3) | instskip(NEXT) | instid1(VALU_DEP_3)
	v_dual_lshlrev_b32 v4, 2, v14 :: v_dual_lshlrev_b32 v8, 3, v12
	v_dual_lshlrev_b32 v22, 3, v10 :: v_dual_bitop2_b32 v16, 16, v10 bitop3:0x54
	v_dual_lshlrev_b32 v18, 5, v14 :: v_dual_lshlrev_b32 v15, 8, v14
	s_wait_kmcnt 0x0
	s_bitcmp1_b32 s1, 0
	v_mad_nc_u64_u32 v[0:1], s12, v4, v[10:11]
	s_cselect_b32 s1, -1, 0
	s_bfe_u32 s33, ttmp6, 0x40010
	s_bfe_u32 s44, ttmp6, 0x4000c
	s_and_b32 s2, ttmp7, 0xffff
	s_add_co_i32 s33, s33, 1
	s_add_co_i32 s44, s44, 1
	s_bfe_u32 s42, ttmp6, 0x40004
	s_and_b32 s43, ttmp6, 15
	s_xor_b32 s3, s1, -1
	s_mul_i32 s1, s2, s33
	s_mul_i32 s33, ttmp9, s44
	s_lshl_b64 s[10:11], s[10:11], 3
	s_lshl_b64 s[40:41], s[18:19], 3
	s_lshl_b64 s[20:21], s[20:21], 3
	s_add_co_i32 s42, s42, s1
	s_add_co_i32 s43, s43, s33
	s_cmp_eq_u32 s0, 0
	s_add_nc_u64 s[0:1], s[8:9], s[10:11]
	s_cselect_b32 s33, ttmp9, s43
	s_cselect_b32 s68, s2, s42
	s_lshl_b32 s48, s33, 5
	s_add_nc_u64 s[8:9], s[16:17], s[40:41]
	s_ashr_i32 s49, s48, 31
	s_add_nc_u64 s[36:37], s[36:37], s[20:21]
	s_mul_u64 s[10:11], s[38:39], s[48:49]
	v_mad_u32 v1, s13, v4, v1
	s_lshl_b64 s[10:11], s[10:11], 3
	v_mul_u64_e32 v[4:5], s[24:25], v[10:11]
	s_add_nc_u64 s[10:11], s[0:1], s[10:11]
	s_mul_u64 s[0:1], s[24:25], s[48:49]
	v_or_b32_e32 v11, 0x1000, v22
	s_lshl_b64 s[0:1], s[0:1], 3
	v_mul_u64_e32 v[6:7], s[24:25], v[16:17]
	s_add_nc_u64 s[20:21], s[8:9], s[0:1]
	v_cmp_gt_i32_e64 s1, s28, v10
	v_dual_add_nc_u32 v10, 1, v12 :: v_dual_add_nc_u32 v72, v11, v15
	v_dual_lshlrev_b32 v19, 7, v12 :: v_dual_add_nc_u32 v11, 2, v12
	s_delay_alu instid0(VALU_DEP_2) | instskip(SKIP_2) | instid1(VALU_DEP_4)
	v_dual_add_nc_u32 v15, 3, v12 :: v_dual_bitop2_b32 v10, 15, v10 bitop3:0x40
	v_cmp_gt_i32_e64 s2, s28, v16
	v_lshlrev_b32_e32 v24, 9, v14
	v_dual_add_nc_u32 v16, 5, v12 :: v_dual_bitop2_b32 v73, v19, v22 bitop3:0x54
	s_delay_alu instid0(VALU_DEP_4) | instskip(SKIP_4) | instid1(VALU_DEP_4)
	v_lshl_or_b32 v74, v10, 3, v19
	v_and_b32_e32 v10, 15, v11
	v_dual_add_nc_u32 v15, 4, v12 :: v_dual_bitop2_b32 v11, 15, v15 bitop3:0x40
	v_add_nc_u32_e32 v17, 6, v12
	v_add_nc_u32_e32 v70, 0x1800, v18
	v_lshl_or_b32 v75, v10, 3, v19
	s_delay_alu instid0(VALU_DEP_4)
	v_lshl_or_b32 v76, v11, 3, v19
	v_and_b32_e32 v10, 15, v15
	v_dual_mov_b32 v23, v13 :: v_dual_bitop2_b32 v11, 15, v16 bitop3:0x40
	v_dual_add_nc_u32 v20, 7, v12 :: v_dual_bitop2_b32 v16, 15, v17 bitop3:0x40
	v_mov_b32_e32 v15, v13
	s_mul_u64 s[38:39], s[22:23], s[48:49]
	v_lshl_or_b32 v77, v10, 3, v19
	s_delay_alu instid0(VALU_DEP_3)
	v_lshl_or_b32 v79, v16, 3, v19
	v_lshl_or_b32 v78, v11, 3, v19
	v_mul_u64_e32 v[16:17], s[12:13], v[14:15]
	v_dual_add_nc_u32 v11, 9, v12 :: v_dual_add_nc_u32 v14, 10, v12
	s_lshl_b64 s[48:49], s[48:49], 3
	v_and_b32_e32 v10, 15, v20
	v_add_nc_u32_e32 v15, 11, v12
	v_cmp_eq_u32_e64 s0, 0, v2
	v_mul_u64_e32 v[2:3], s[24:25], v[12:13]
	v_add_nc_u32_e32 v69, 0x1800, v8
	v_lshl_or_b32 v80, v10, 3, v19
	v_and_b32_e32 v10, 15, v11
	v_add_nc_u32_e32 v71, 0x1000, v8
	v_mul_u64_e32 v[8:9], s[22:23], v[12:13]
	v_bitop3_b32 v20, v12, 8, 15 bitop3:0x6c
	v_and_b32_e32 v11, 15, v14
	v_dual_add_nc_u32 v15, 12, v12 :: v_dual_bitop2_b32 v14, 15, v15 bitop3:0x40
	v_lshl_or_b32 v82, v10, 3, v19
	v_dual_add_nc_u32 v10, 13, v12 :: v_dual_bitop2_b32 v21, 16, v18 bitop3:0x54
	v_add_nc_u32_e32 v28, -1, v12
	v_lshl_or_b32 v81, v20, 3, v19
	v_dual_add_nc_u32 v13, 14, v12 :: v_dual_bitop2_b32 v20, 15, v15 bitop3:0x40
	v_or_b32_e32 v26, 24, v18
	v_or_b32_e32 v18, 8, v18
	v_lshl_or_b32 v83, v11, 3, v19
	v_dual_add_nc_u32 v89, v22, v24 :: v_dual_bitop2_b32 v25, 15, v10 bitop3:0x40
	v_mad_nc_u64_u32 v[10:11], s12, v21, v[22:23]
	v_lshl_or_b32 v84, v14, 3, v19
	v_and_b32_e32 v27, 15, v13
	v_mad_nc_u64_u32 v[12:13], s12, v26, v[22:23]
	v_mad_nc_u64_u32 v[14:15], s12, v18, v[22:23]
	v_lshlrev_b64_e32 v[16:17], 5, v[16:17]
	v_lshl_or_b32 v85, v20, 3, v19
	v_lshl_or_b32 v86, v25, 3, v19
	v_and_b32_e32 v25, 15, v28
	v_or_b32_e32 v20, s48, v22
	v_lshl_or_b32 v87, v27, 3, v19
	v_mad_u32 v11, s13, v21, v11
	v_mov_b32_e32 v21, s49
	v_lshl_or_b32 v88, v25, 3, v19
	v_mad_u32 v13, s13, v26, v13
	v_mad_u32 v15, s13, v18, v15
	v_add_nc_u64_e32 v[16:17], v[16:17], v[22:23]
	v_add_nc_u64_e32 v[18:19], 0x180, v[20:21]
	;; [unrolled: 1-line block ×3, first 2 shown]
	s_lshl_b64 s[38:39], s[38:39], 3
	s_lshl_b64 s[54:55], s[12:13], 3
	s_not_b32 s69, s33
	s_lshl_b32 s70, s68, 5
	s_add_nc_u64 s[36:37], s[36:37], s[38:39]
	s_lshl_b64 s[38:39], s[24:25], 5
	s_lshl_b64 s[40:41], s[12:13], 4
	s_mul_u64 s[42:43], s[12:13], 24
	s_lshl_b64 s[44:45], s[22:23], 8
	s_and_b32 s28, s0, vcc_lo
	s_lshl_b64 s[50:51], s[24:25], 8
	s_lshl_b64 s[52:53], s[26:27], 3
	s_sub_nc_u64 s[54:55], 0, s[54:55]
	s_branch .LBB105_3
.LBB105_2:                              ;   in Loop: Header=BB105_3 Depth=1
	s_wait_xcnt 0x0
	s_or_b32 exec_lo, exec_lo, s71
	s_add_co_i32 s4, s4, 0x10000
	s_delay_alu instid0(SALU_CYCLE_1)
	s_cmp_lt_u32 s4, s29
	s_cbranch_scc0 .LBB105_38
.LBB105_3:                              ; =>This Loop Header: Depth=1
                                        ;     Child Loop BB105_19 Depth 2
	s_and_b32 vcc_lo, exec_lo, s3
	s_mov_b32 s56, -1
                                        ; implicit-def: $vgpr22_vgpr23
	s_cbranch_vccz .LBB105_5
; %bb.4:                                ;   in Loop: Header=BB105_3 Depth=1
	ds_load_b64 v[22:23], v68
	s_mul_u64 s[56:57], s[6:7], s[4:5]
	s_wait_dscnt 0x0
	v_lshl_add_u64 v[22:23], s[56:57], 3, v[22:23]
	s_mov_b32 s56, 0
	flat_load_b64 v[22:23], v[22:23]
.LBB105_5:                              ;   in Loop: Header=BB105_3 Depth=1
	s_and_not1_b32 vcc_lo, exec_lo, s56
	s_cbranch_vccnz .LBB105_7
; %bb.6:                                ;   in Loop: Header=BB105_3 Depth=1
	s_wait_loadcnt_dscnt 0x0
	s_wait_xcnt 0x0
	ds_load_b64 v[22:23], v68
.LBB105_7:                              ;   in Loop: Header=BB105_3 Depth=1
	s_mov_b32 s71, exec_lo
	s_wait_loadcnt_dscnt 0x0
	s_wait_xcnt 0x0
	v_cmpx_neq_f64_e32 0, v[22:23]
	s_cbranch_execz .LBB105_2
; %bb.8:                                ;   in Loop: Header=BB105_3 Depth=1
	s_load_b64 s[56:57], s[34:35], 0x0
	s_wait_kmcnt 0x0
	s_add_co_i32 s58, s56, -1
	s_delay_alu instid0(SALU_CYCLE_1)
	s_cmp_eq_u32 s33, s58
	s_cbranch_scc1 .LBB105_2
; %bb.9:                                ;   in Loop: Header=BB105_3 Depth=1
	s_mul_u64 s[62:63], s[26:27], s[4:5]
	s_delay_alu instid0(SALU_CYCLE_1) | instskip(NEXT) | instid1(SALU_CYCLE_1)
	s_lshl_b64 s[60:61], s[62:63], 3
	s_add_nc_u64 s[60:61], s[20:21], s[60:61]
	s_and_saveexec_b32 s59, s0
	s_cbranch_execz .LBB105_11
; %bb.10:                               ;   in Loop: Header=BB105_3 Depth=1
	v_lshl_add_u64 v[24:25], v[2:3], 3, s[60:61]
	global_load_b64 v[24:25], v[24:25], off
	s_wait_loadcnt 0x0
	ds_store_b64 v69, v[24:25]
.LBB105_11:                             ;   in Loop: Header=BB105_3 Depth=1
	s_wait_xcnt 0x0
	s_or_b32 exec_lo, exec_lo, s59
	s_cvt_f32_u32 s59, s57
	s_delay_alu instid0(SALU_CYCLE_3) | instskip(SKIP_1) | instid1(TRANS32_DEP_1)
	v_rcp_iflag_f32_e32 v24, s59
	v_nop
	v_readfirstlane_b32 s59, v24
	s_mul_f32 s59, s59, 0x4f7ffffe
	s_delay_alu instid0(SALU_CYCLE_3) | instskip(SKIP_1) | instid1(SALU_CYCLE_2)
	s_cvt_u32_f32 s64, s59
	s_sub_co_i32 s59, 0, s57
	s_mul_i32 s59, s59, s64
	s_delay_alu instid0(SALU_CYCLE_1) | instskip(SKIP_2) | instid1(SALU_CYCLE_1)
	s_mul_hi_u32 s65, s64, s59
	s_add_co_i32 s59, s58, s69
	s_add_co_i32 s64, s64, s65
	s_mul_hi_u32 s58, s59, s64
	s_delay_alu instid0(SALU_CYCLE_1) | instskip(SKIP_2) | instid1(SALU_CYCLE_1)
	s_mul_i32 s64, s58, s57
	s_add_co_i32 s65, s58, 1
	s_sub_co_i32 s64, s59, s64
	s_sub_co_i32 s66, s64, s57
	s_cmp_ge_u32 s64, s57
	s_cselect_b32 s58, s65, s58
	s_cselect_b32 s64, s66, s64
	s_add_co_i32 s65, s58, 1
	s_cmp_ge_u32 s64, s57
	s_cselect_b32 s58, s65, s58
	s_add_co_i32 s64, s57, -1
	s_mov_b32 s73, s58
	s_cmp_eq_u32 s68, s64
	s_cselect_b32 s72, -1, 0
	s_cmp_lg_u32 s68, s64
	s_cbranch_scc1 .LBB105_13
; %bb.12:                               ;   in Loop: Header=BB105_3 Depth=1
	s_mul_i32 s57, s58, s57
	s_delay_alu instid0(SALU_CYCLE_1) | instskip(NEXT) | instid1(SALU_CYCLE_1)
	s_sub_co_i32 s57, s59, s57
	s_add_co_i32 s73, s57, s58
.LBB105_13:                             ;   in Loop: Header=BB105_3 Depth=1
	s_cmp_lg_u32 s68, s64
	s_cselect_b32 s57, -1, 0
	s_cmp_eq_u32 s73, 0
	s_cselect_b32 s59, -1, 0
	s_delay_alu instid0(SALU_CYCLE_1) | instskip(NEXT) | instid1(SALU_CYCLE_1)
	s_and_b32 s57, s57, s59
	s_and_b32 vcc_lo, exec_lo, s57
	s_cbranch_vccnz .LBB105_2
; %bb.14:                               ;   in Loop: Header=BB105_3 Depth=1
	s_mul_i32 s66, s70, s58
	s_mul_u64 s[64:65], s[14:15], s[4:5]
	s_ashr_i32 s67, s66, 31
	v_mov_b64_e32 v[24:25], 0
	v_mov_b64_e32 v[44:45], 0
	;; [unrolled: 1-line block ×6, first 2 shown]
	s_lshl_b64 s[58:59], s[64:65], 3
	s_mul_u64 s[74:75], s[24:25], s[66:67]
	s_add_nc_u64 s[58:59], s[10:11], s[58:59]
	s_lshl_b64 s[64:65], s[66:67], 3
	s_lshl_b64 s[74:75], s[74:75], 3
	s_add_co_i32 s56, s56, -2
	s_add_nc_u64 s[58:59], s[58:59], s[64:65]
	s_add_nc_u64 s[60:61], s[60:61], s[74:75]
	s_cmp_ge_u32 s33, s56
	s_wait_dscnt 0x0
	s_barrier_signal -1
	s_barrier_wait -1
	s_cbranch_scc1 .LBB105_16
; %bb.15:                               ;   in Loop: Header=BB105_3 Depth=1
	v_lshl_add_u64 v[26:27], v[0:1], 3, s[58:59]
	s_lshl_b64 s[56:57], s[38:39], 3
	s_delay_alu instid0(SALU_CYCLE_1) | instskip(NEXT) | instid1(SALU_CYCLE_1)
	s_add_nc_u64 s[56:57], s[60:61], s[56:57]
	v_lshl_add_u64 v[34:35], v[4:5], 3, s[56:57]
	s_delay_alu instid0(VALU_DEP_2)
	v_add_nc_u64_e32 v[30:31], s[40:41], v[26:27]
	v_lshl_add_u64 v[28:29], s[12:13], 3, v[26:27]
	v_add_nc_u64_e32 v[32:33], s[42:43], v[26:27]
	s_clause 0x3
	global_load_b64 v[36:37], v[26:27], off offset:256
	global_load_b64 v[48:49], v[28:29], off offset:256
	;; [unrolled: 1-line block ×4, first 2 shown]
	global_load_b64 v[44:45], v[34:35], off
.LBB105_16:                             ;   in Loop: Header=BB105_3 Depth=1
	s_mul_u64 s[56:57], s[30:31], s[4:5]
	s_mul_u64 s[66:67], s[22:23], s[66:67]
	s_lshl_b64 s[56:57], s[56:57], 3
	s_lshl_b64 s[66:67], s[66:67], 3
	s_add_nc_u64 s[56:57], s[36:37], s[56:57]
	s_cmp_lt_i32 s73, 1
	s_add_nc_u64 s[66:67], s[56:57], s[66:67]
	s_cbranch_scc1 .LBB105_23
; %bb.17:                               ;   in Loop: Header=BB105_3 Depth=1
	v_mov_b64_e32 v[24:25], 0
	s_cmp_eq_u32 s73, 1
	s_cbranch_scc1 .LBB105_24
; %bb.18:                               ;   in Loop: Header=BB105_3 Depth=1
	v_add_nc_u64_e32 v[24:25], s[64:65], v[18:19]
	s_wait_xcnt 0x4
	v_add_nc_u64_e32 v[26:27], s[64:65], v[20:21]
	s_wait_xcnt 0x2
	v_mov_b64_e32 v[30:31], 0
	v_mov_b64_e32 v[28:29], 0
	s_wait_xcnt 0x1
	v_mov_b64_e32 v[32:33], s[66:67]
	s_add_nc_u64 s[60:61], s[18:19], s[62:63]
	s_mul_u64 s[62:63], s[52:53], s[4:5]
	v_mul_u64_e32 v[54:55], s[24:25], v[24:25]
	v_mul_u64_e32 v[56:57], s[24:25], v[26:27]
	v_mov_b64_e32 v[26:27], 0
	v_mov_b64_e32 v[24:25], 0
	s_lshl_b64 s[60:61], s[60:61], 3
	s_add_nc_u64 s[64:65], s[48:49], s[64:65]
	s_add_nc_u64 s[60:61], s[16:17], s[60:61]
	;; [unrolled: 1-line block ×3, first 2 shown]
	s_add_co_i32 s66, s73, -1
	s_mul_u64 s[64:65], s[24:25], s[64:65]
.LBB105_19:                             ;   Parent Loop BB105_3 Depth=1
                                        ; =>  This Inner Loop Header: Depth=2
	s_wait_xcnt 0x0
	v_add_nc_u64_e32 v[34:35], s[58:59], v[16:17]
	v_add_nc_u64_e32 v[38:39], s[58:59], v[14:15]
	;; [unrolled: 1-line block ×6, first 2 shown]
	s_clause 0x3
	global_load_b64 v[58:59], v[34:35], off offset:384
	global_load_b64 v[60:61], v[38:39], off offset:384
	global_load_b64 v[62:63], v[40:41], off offset:384
	global_load_b64 v[64:65], v[90:91], off offset:384
	global_load_b64 v[66:67], v[42:43], off
	s_clause 0x3
	global_load_b64 v[42:43], v[38:39], off offset:512
	global_load_b64 v[46:47], v[34:35], off offset:512
	global_load_b64 v[38:39], v[90:91], off offset:512
	global_load_b64 v[40:41], v[40:41], off offset:512
	global_load_b64 v[34:35], v[92:93], off
	s_wait_xcnt 0x0
	ds_load_b128 v[90:93], v70
	ds_load_b128 v[94:97], v70 offset:16
	s_wait_loadcnt_dscnt 0x0
	s_barrier_signal -1
	s_barrier_wait -1
	v_fma_f64 v[98:99], v[36:37], v[90:91], 0
	s_delay_alu instid0(VALU_DEP_1) | instskip(NEXT) | instid1(VALU_DEP_1)
	v_fmac_f64_e32 v[98:99], v[48:49], v[92:93]
	v_fmac_f64_e32 v[98:99], v[50:51], v[94:95]
	s_delay_alu instid0(VALU_DEP_1) | instskip(SKIP_1) | instid1(VALU_DEP_1)
	v_fmac_f64_e32 v[98:99], v[52:53], v[96:97]
	v_fma_f64 v[90:91], v[58:59], v[90:91], 0
	v_fmac_f64_e32 v[90:91], v[60:61], v[92:93]
	s_delay_alu instid0(VALU_DEP_1) | instskip(NEXT) | instid1(VALU_DEP_1)
	v_fmac_f64_e32 v[90:91], v[62:63], v[94:95]
	v_fmac_f64_e32 v[90:91], v[64:65], v[96:97]
	ds_store_2addr_b64 v72, v[98:99], v[90:91] offset1:16
	s_wait_dscnt 0x0
	s_barrier_signal -1
	s_barrier_wait -1
	s_and_saveexec_b32 s67, s0
	s_cbranch_execz .LBB105_21
; %bb.20:                               ;   in Loop: Header=BB105_19 Depth=2
	ds_load_2addr_b64 v[90:93], v71 offset1:32
	v_add_nc_u64_e32 v[32:33], s[44:45], v[32:33]
	s_wait_dscnt 0x0
	v_add_f64_e32 v[90:91], 0, v[90:91]
	s_delay_alu instid0(VALU_DEP_1) | instskip(SKIP_3) | instid1(VALU_DEP_1)
	v_add_f64_e32 v[94:95], v[90:91], v[92:93]
	ds_load_2addr_b64 v[90:93], v71 offset0:64 offset1:96
	s_wait_dscnt 0x0
	v_add_f64_e32 v[90:91], v[94:95], v[90:91]
	v_add_f64_e32 v[94:95], v[90:91], v[92:93]
	ds_load_2addr_b64 v[90:93], v71 offset0:128 offset1:160
	s_wait_dscnt 0x0
	v_add_f64_e32 v[90:91], v[94:95], v[90:91]
	s_delay_alu instid0(VALU_DEP_1) | instskip(SKIP_3) | instid1(VALU_DEP_1)
	v_add_f64_e32 v[94:95], v[90:91], v[92:93]
	ds_load_2addr_b64 v[90:93], v71 offset0:192 offset1:224
	s_wait_dscnt 0x0
	v_add_f64_e32 v[90:91], v[94:95], v[90:91]
	v_add_f64_e32 v[90:91], v[90:91], v[92:93]
	v_lshl_add_u64 v[92:93], v[8:9], 3, v[32:33]
	s_delay_alu instid0(VALU_DEP_2)
	v_mul_f64_e32 v[90:91], v[22:23], v[90:91]
	global_atomic_add_f64 v[92:93], v[90:91], off scope:SCOPE_DEV
.LBB105_21:                             ;   in Loop: Header=BB105_19 Depth=2
	s_wait_xcnt 0x0
	s_or_b32 exec_lo, exec_lo, s67
	v_fmac_f64_e32 v[26:27], v[44:45], v[36:37]
	v_fmac_f64_e32 v[30:31], v[44:45], v[48:49]
	;; [unrolled: 1-line block ×4, first 2 shown]
	s_add_co_i32 s66, s66, -1
	s_add_nc_u64 s[58:59], s[58:59], 0x100
	s_add_nc_u64 s[60:61], s[60:61], s[50:51]
	s_cmp_eq_u32 s66, 0
	s_add_nc_u64 s[62:63], s[62:63], s[50:51]
	s_delay_alu instid0(VALU_DEP_4) | instskip(NEXT) | instid1(VALU_DEP_4)
	v_fmac_f64_e32 v[26:27], v[66:67], v[58:59]
	v_fmac_f64_e32 v[30:31], v[66:67], v[60:61]
	s_delay_alu instid0(VALU_DEP_4) | instskip(NEXT) | instid1(VALU_DEP_4)
	v_fmac_f64_e32 v[28:29], v[66:67], v[62:63]
	v_fmac_f64_e32 v[24:25], v[66:67], v[64:65]
	s_cbranch_scc1 .LBB105_25
; %bb.22:                               ;   in Loop: Header=BB105_19 Depth=2
	v_mov_b64_e32 v[44:45], v[34:35]
	v_mov_b64_e32 v[36:37], v[46:47]
	;; [unrolled: 1-line block ×5, first 2 shown]
	s_branch .LBB105_19
.LBB105_23:                             ;   in Loop: Header=BB105_3 Depth=1
	s_wait_xcnt 0x1
	v_mov_b64_e32 v[32:33], s[66:67]
	v_mov_b64_e32 v[28:29], 0
	v_mov_b64_e32 v[30:31], 0
	v_mov_b64_e32 v[26:27], 0
	s_wait_loadcnt 0x4
	v_mov_b64_e32 v[36:37], 0
	s_wait_loadcnt 0x0
	s_wait_xcnt 0x0
	v_mov_b64_e32 v[34:35], v[44:45]
	s_and_b32 vcc_lo, exec_lo, s72
	s_cbranch_vccnz .LBB105_29
	s_branch .LBB105_36
.LBB105_24:                             ;   in Loop: Header=BB105_3 Depth=1
	s_wait_xcnt 0x1
	v_mov_b64_e32 v[32:33], s[66:67]
	s_wait_loadcnt 0x1
	v_mov_b64_e32 v[38:39], v[52:53]
	v_mov_b64_e32 v[40:41], v[50:51]
	v_mov_b64_e32 v[42:43], v[48:49]
	v_mov_b64_e32 v[28:29], 0
	v_mov_b64_e32 v[30:31], 0
	v_mov_b64_e32 v[26:27], 0
	v_mov_b64_e32 v[46:47], v[36:37]
	s_wait_loadcnt 0x0
	s_wait_xcnt 0x0
	v_mov_b64_e32 v[34:35], v[44:45]
	s_branch .LBB105_26
.LBB105_25:                             ;   in Loop: Header=BB105_3 Depth=1
	s_add_nc_u64 s[60:61], s[60:61], s[64:65]
.LBB105_26:                             ;   in Loop: Header=BB105_3 Depth=1
	v_lshl_add_u64 v[36:37], v[0:1], 3, s[58:59]
	s_lshl_b64 s[62:63], s[38:39], 3
	s_delay_alu instid0(SALU_CYCLE_1) | instskip(NEXT) | instid1(VALU_DEP_1)
	s_add_nc_u64 s[60:61], s[60:61], s[62:63]
	v_lshl_add_u64 v[48:49], s[46:47], 3, v[36:37]
	s_delay_alu instid0(VALU_DEP_1) | instskip(NEXT) | instid1(VALU_DEP_1)
	v_add_nc_u64_e32 v[44:45], s[54:55], v[48:49]
	v_add_nc_u64_e32 v[50:51], s[54:55], v[44:45]
	s_clause 0x3
	global_load_b64 v[44:45], v[44:45], off offset:384
	global_load_b64 v[50:51], v[50:51], off offset:384
	;; [unrolled: 1-line block ×4, first 2 shown]
	s_wait_xcnt 0x1
	v_lshl_add_u64 v[36:37], v[6:7], 3, s[60:61]
	global_load_b64 v[36:37], v[36:37], off
	ds_load_b128 v[54:57], v70
	ds_load_b128 v[58:61], v70 offset:16
	s_wait_storecnt 0x0
	s_wait_loadcnt_dscnt 0x0
	s_barrier_signal -1
	s_barrier_wait -1
	v_fma_f64 v[62:63], v[46:47], v[54:55], 0
	s_delay_alu instid0(VALU_DEP_1) | instskip(NEXT) | instid1(VALU_DEP_1)
	v_fmac_f64_e32 v[62:63], v[42:43], v[56:57]
	v_fmac_f64_e32 v[62:63], v[40:41], v[58:59]
	s_delay_alu instid0(VALU_DEP_1) | instskip(SKIP_1) | instid1(VALU_DEP_1)
	v_fmac_f64_e32 v[62:63], v[38:39], v[60:61]
	v_fma_f64 v[54:55], v[52:53], v[54:55], 0
	v_fmac_f64_e32 v[54:55], v[50:51], v[56:57]
	s_delay_alu instid0(VALU_DEP_1) | instskip(NEXT) | instid1(VALU_DEP_1)
	v_fmac_f64_e32 v[54:55], v[44:45], v[58:59]
	v_fmac_f64_e32 v[54:55], v[48:49], v[60:61]
	ds_store_2addr_b64 v72, v[62:63], v[54:55] offset1:16
	s_wait_dscnt 0x0
	s_barrier_signal -1
	s_barrier_wait -1
	s_wait_xcnt 0x0
	s_and_saveexec_b32 s62, s0
	s_cbranch_execz .LBB105_28
; %bb.27:                               ;   in Loop: Header=BB105_3 Depth=1
	ds_load_2addr_b64 v[54:57], v71 offset1:32
	v_add_nc_u64_e32 v[32:33], s[44:45], v[32:33]
	s_wait_dscnt 0x0
	v_add_f64_e32 v[54:55], 0, v[54:55]
	s_delay_alu instid0(VALU_DEP_1) | instskip(SKIP_3) | instid1(VALU_DEP_1)
	v_add_f64_e32 v[58:59], v[54:55], v[56:57]
	ds_load_2addr_b64 v[54:57], v71 offset0:64 offset1:96
	s_wait_dscnt 0x0
	v_add_f64_e32 v[54:55], v[58:59], v[54:55]
	v_add_f64_e32 v[58:59], v[54:55], v[56:57]
	ds_load_2addr_b64 v[54:57], v71 offset0:128 offset1:160
	s_wait_dscnt 0x0
	v_add_f64_e32 v[54:55], v[58:59], v[54:55]
	s_delay_alu instid0(VALU_DEP_1) | instskip(SKIP_3) | instid1(VALU_DEP_1)
	v_add_f64_e32 v[58:59], v[54:55], v[56:57]
	ds_load_2addr_b64 v[54:57], v71 offset0:192 offset1:224
	s_wait_dscnt 0x0
	v_add_f64_e32 v[54:55], v[58:59], v[54:55]
	v_add_f64_e32 v[54:55], v[54:55], v[56:57]
	v_lshl_add_u64 v[56:57], v[8:9], 3, v[32:33]
	s_delay_alu instid0(VALU_DEP_2)
	v_mul_f64_e32 v[54:55], v[22:23], v[54:55]
	global_atomic_add_f64 v[56:57], v[54:55], off scope:SCOPE_DEV
.LBB105_28:                             ;   in Loop: Header=BB105_3 Depth=1
	s_wait_xcnt 0x0
	s_or_b32 exec_lo, exec_lo, s62
	v_fmac_f64_e32 v[26:27], v[34:35], v[46:47]
	v_fmac_f64_e32 v[30:31], v[34:35], v[42:43]
	;; [unrolled: 1-line block ×4, first 2 shown]
	s_add_nc_u64 s[58:59], s[58:59], 0x100
	s_delay_alu instid0(VALU_DEP_4) | instskip(NEXT) | instid1(VALU_DEP_4)
	v_fmac_f64_e32 v[26:27], v[36:37], v[52:53]
	v_fmac_f64_e32 v[30:31], v[36:37], v[50:51]
	s_delay_alu instid0(VALU_DEP_4) | instskip(NEXT) | instid1(VALU_DEP_4)
	v_fmac_f64_e32 v[28:29], v[36:37], v[44:45]
	v_fmac_f64_e32 v[24:25], v[36:37], v[48:49]
	s_and_b32 vcc_lo, exec_lo, s72
	s_cbranch_vccz .LBB105_36
.LBB105_29:                             ;   in Loop: Header=BB105_3 Depth=1
	v_mov_b64_e32 v[38:39], 0
	v_mov_b64_e32 v[40:41], 0
	;; [unrolled: 1-line block ×5, first 2 shown]
	s_lshl_b64 s[62:63], s[38:39], 3
	s_delay_alu instid0(SALU_CYCLE_1)
	s_add_nc_u64 s[60:61], s[60:61], s[62:63]
	s_and_saveexec_b32 s62, s1
	s_cbranch_execz .LBB105_31
; %bb.30:                               ;   in Loop: Header=BB105_3 Depth=1
	v_lshl_add_u64 v[34:35], v[0:1], 3, s[58:59]
	v_lshl_add_u64 v[48:49], v[4:5], 3, s[60:61]
	s_delay_alu instid0(VALU_DEP_2)
	v_add_nc_u64_e32 v[44:45], s[40:41], v[34:35]
	v_add_nc_u64_e32 v[46:47], s[42:43], v[34:35]
	v_lshl_add_u64 v[42:43], s[12:13], 3, v[34:35]
	s_clause 0x3
	global_load_b64 v[40:41], v[34:35], off offset:256
	global_load_b64 v[42:43], v[42:43], off offset:256
	;; [unrolled: 1-line block ×4, first 2 shown]
	global_load_b64 v[34:35], v[48:49], off
.LBB105_31:                             ;   in Loop: Header=BB105_3 Depth=1
	s_wait_xcnt 0x0
	s_or_b32 exec_lo, exec_lo, s62
	v_mov_b64_e32 v[48:49], 0
	v_mov_b64_e32 v[50:51], 0
	;; [unrolled: 1-line block ×3, first 2 shown]
	s_and_saveexec_b32 s62, s2
	s_cbranch_execz .LBB105_33
; %bb.32:                               ;   in Loop: Header=BB105_3 Depth=1
	v_lshl_add_u64 v[36:37], v[0:1], 3, s[58:59]
	v_lshl_add_u64 v[54:55], v[6:7], 3, s[60:61]
	s_delay_alu instid0(VALU_DEP_2)
	v_add_nc_u64_e32 v[50:51], s[40:41], v[36:37]
	v_add_nc_u64_e32 v[52:53], s[42:43], v[36:37]
	v_lshl_add_u64 v[48:49], s[12:13], 3, v[36:37]
	s_clause 0x3
	global_load_b64 v[38:39], v[36:37], off offset:384
	global_load_b64 v[48:49], v[48:49], off offset:384
	;; [unrolled: 1-line block ×4, first 2 shown]
	global_load_b64 v[36:37], v[54:55], off
.LBB105_33:                             ;   in Loop: Header=BB105_3 Depth=1
	s_wait_xcnt 0x0
	s_or_b32 exec_lo, exec_lo, s62
	ds_load_b128 v[54:57], v70
	ds_load_b128 v[58:61], v70 offset:16
	s_wait_storecnt 0x0
	s_wait_loadcnt_dscnt 0x0
	s_barrier_signal -1
	s_barrier_wait -1
	v_fma_f64 v[62:63], v[38:39], v[54:55], 0
	v_fma_f64 v[54:55], v[40:41], v[54:55], 0
	s_delay_alu instid0(VALU_DEP_2) | instskip(NEXT) | instid1(VALU_DEP_2)
	v_fmac_f64_e32 v[62:63], v[48:49], v[56:57]
	v_fmac_f64_e32 v[54:55], v[42:43], v[56:57]
	s_delay_alu instid0(VALU_DEP_2) | instskip(NEXT) | instid1(VALU_DEP_2)
	v_fmac_f64_e32 v[62:63], v[50:51], v[58:59]
	v_fmac_f64_e32 v[54:55], v[44:45], v[58:59]
	;; [unrolled: 3-line block ×3, first 2 shown]
	ds_store_2addr_b64 v72, v[54:55], v[62:63] offset1:16
	s_wait_dscnt 0x0
	s_barrier_signal -1
	s_barrier_wait -1
	s_and_saveexec_b32 s58, s28
	s_cbranch_execz .LBB105_35
; %bb.34:                               ;   in Loop: Header=BB105_3 Depth=1
	ds_load_2addr_b64 v[54:57], v71 offset1:32
	v_add_nc_u64_e32 v[32:33], s[44:45], v[32:33]
	s_delay_alu instid0(VALU_DEP_1) | instskip(SKIP_2) | instid1(VALU_DEP_1)
	v_lshl_add_u64 v[32:33], v[8:9], 3, v[32:33]
	s_wait_dscnt 0x0
	v_add_f64_e32 v[54:55], 0, v[54:55]
	v_add_f64_e32 v[58:59], v[54:55], v[56:57]
	ds_load_2addr_b64 v[54:57], v71 offset0:64 offset1:96
	s_wait_dscnt 0x0
	v_add_f64_e32 v[54:55], v[58:59], v[54:55]
	s_delay_alu instid0(VALU_DEP_1) | instskip(SKIP_3) | instid1(VALU_DEP_1)
	v_add_f64_e32 v[58:59], v[54:55], v[56:57]
	ds_load_2addr_b64 v[54:57], v71 offset0:128 offset1:160
	s_wait_dscnt 0x0
	v_add_f64_e32 v[54:55], v[58:59], v[54:55]
	v_add_f64_e32 v[58:59], v[54:55], v[56:57]
	ds_load_2addr_b64 v[54:57], v71 offset0:192 offset1:224
	s_wait_dscnt 0x0
	v_add_f64_e32 v[54:55], v[58:59], v[54:55]
	s_delay_alu instid0(VALU_DEP_1) | instskip(NEXT) | instid1(VALU_DEP_1)
	v_add_f64_e32 v[54:55], v[54:55], v[56:57]
	v_mul_f64_e32 v[54:55], v[22:23], v[54:55]
	global_atomic_add_f64 v[32:33], v[54:55], off scope:SCOPE_DEV
.LBB105_35:                             ;   in Loop: Header=BB105_3 Depth=1
	s_wait_xcnt 0x0
	s_or_b32 exec_lo, exec_lo, s58
	v_fmac_f64_e32 v[26:27], v[34:35], v[40:41]
	v_fmac_f64_e32 v[30:31], v[34:35], v[42:43]
	;; [unrolled: 1-line block ×4, first 2 shown]
	s_delay_alu instid0(VALU_DEP_4) | instskip(NEXT) | instid1(VALU_DEP_4)
	v_fmac_f64_e32 v[26:27], v[36:37], v[38:39]
	v_fmac_f64_e32 v[30:31], v[36:37], v[48:49]
	s_delay_alu instid0(VALU_DEP_4) | instskip(NEXT) | instid1(VALU_DEP_4)
	v_fmac_f64_e32 v[28:29], v[36:37], v[50:51]
	v_fmac_f64_e32 v[24:25], v[36:37], v[52:53]
.LBB105_36:                             ;   in Loop: Header=BB105_3 Depth=1
	ds_store_2addr_b64 v89, v[26:27], v[30:31] offset1:16
	ds_store_2addr_b64 v89, v[28:29], v[24:25] offset0:32 offset1:48
	s_wait_storecnt_dscnt 0x0
	s_barrier_signal -1
	s_barrier_wait -1
	s_and_b32 exec_lo, exec_lo, s0
	s_cbranch_execz .LBB105_2
; %bb.37:                               ;   in Loop: Header=BB105_3 Depth=1
	ds_load_b64 v[24:25], v73
	ds_load_b64 v[26:27], v74
	ds_load_b64 v[28:29], v75
	ds_load_b64 v[30:31], v76
	s_wait_dscnt 0x3
	v_add_f64_e32 v[24:25], 0, v[24:25]
	s_wait_dscnt 0x2
	s_delay_alu instid0(VALU_DEP_1) | instskip(SKIP_1) | instid1(VALU_DEP_1)
	v_add_f64_e32 v[24:25], v[24:25], v[26:27]
	s_wait_dscnt 0x1
	v_add_f64_e32 v[24:25], v[24:25], v[28:29]
	s_wait_dscnt 0x0
	s_delay_alu instid0(VALU_DEP_1)
	v_add_f64_e32 v[24:25], v[24:25], v[30:31]
	ds_load_b64 v[26:27], v77
	ds_load_b64 v[28:29], v78
	ds_load_b64 v[30:31], v79
	ds_load_b64 v[32:33], v80
	s_wait_dscnt 0x3
	v_add_f64_e32 v[24:25], v[24:25], v[26:27]
	s_wait_dscnt 0x2
	s_delay_alu instid0(VALU_DEP_1) | instskip(SKIP_1) | instid1(VALU_DEP_1)
	v_add_f64_e32 v[24:25], v[24:25], v[28:29]
	s_wait_dscnt 0x1
	v_add_f64_e32 v[24:25], v[24:25], v[30:31]
	s_wait_dscnt 0x0
	s_delay_alu instid0(VALU_DEP_1)
	v_add_f64_e32 v[24:25], v[24:25], v[32:33]
	;; [unrolled: 14-line block ×3, first 2 shown]
	ds_load_b64 v[26:27], v85
	ds_load_b64 v[28:29], v86
	;; [unrolled: 1-line block ×4, first 2 shown]
	s_wait_dscnt 0x3
	v_add_f64_e32 v[24:25], v[24:25], v[26:27]
	s_wait_dscnt 0x2
	s_delay_alu instid0(VALU_DEP_1) | instskip(SKIP_1) | instid1(VALU_DEP_1)
	v_add_f64_e32 v[24:25], v[24:25], v[28:29]
	s_wait_dscnt 0x1
	v_add_f64_e32 v[24:25], v[24:25], v[30:31]
	s_wait_dscnt 0x0
	s_delay_alu instid0(VALU_DEP_1) | instskip(NEXT) | instid1(VALU_DEP_1)
	v_add_f64_e32 v[24:25], v[24:25], v[32:33]
	v_mul_f64_e32 v[22:23], v[22:23], v[24:25]
	v_lshl_add_u64 v[24:25], v[8:9], 3, s[56:57]
	global_atomic_add_f64 v[24:25], v[22:23], off scope:SCOPE_DEV
	s_branch .LBB105_2
.LBB105_38:
	s_sendmsg sendmsg(MSG_DEALLOC_VGPRS)
	s_endpgm
	.section	.rodata,"a",@progbits
	.p2align	6, 0x0
	.amdhsa_kernel _ZL62rocblas_symv_kernel_lower_double_buffered_non_diagonal_genericILi32ELi4ELi4E24rocblas_internal_val_ptrIdEPKdPdEvbiT2_lT3_lllS6_lllT4_lllii
		.amdhsa_group_segment_fixed_size 7424
		.amdhsa_private_segment_fixed_size 0
		.amdhsa_kernarg_size 384
		.amdhsa_user_sgpr_count 4
		.amdhsa_user_sgpr_dispatch_ptr 1
		.amdhsa_user_sgpr_queue_ptr 0
		.amdhsa_user_sgpr_kernarg_segment_ptr 1
		.amdhsa_user_sgpr_dispatch_id 0
		.amdhsa_user_sgpr_kernarg_preload_length 0
		.amdhsa_user_sgpr_kernarg_preload_offset 0
		.amdhsa_user_sgpr_private_segment_size 0
		.amdhsa_wavefront_size32 1
		.amdhsa_uses_dynamic_stack 0
		.amdhsa_enable_private_segment 0
		.amdhsa_system_sgpr_workgroup_id_x 1
		.amdhsa_system_sgpr_workgroup_id_y 1
		.amdhsa_system_sgpr_workgroup_id_z 1
		.amdhsa_system_sgpr_workgroup_info 0
		.amdhsa_system_vgpr_workitem_id 2
		.amdhsa_next_free_vgpr 100
		.amdhsa_next_free_sgpr 76
		.amdhsa_named_barrier_count 0
		.amdhsa_reserve_vcc 1
		.amdhsa_float_round_mode_32 0
		.amdhsa_float_round_mode_16_64 0
		.amdhsa_float_denorm_mode_32 3
		.amdhsa_float_denorm_mode_16_64 3
		.amdhsa_fp16_overflow 0
		.amdhsa_memory_ordered 1
		.amdhsa_forward_progress 1
		.amdhsa_inst_pref_size 29
		.amdhsa_round_robin_scheduling 0
		.amdhsa_exception_fp_ieee_invalid_op 0
		.amdhsa_exception_fp_denorm_src 0
		.amdhsa_exception_fp_ieee_div_zero 0
		.amdhsa_exception_fp_ieee_overflow 0
		.amdhsa_exception_fp_ieee_underflow 0
		.amdhsa_exception_fp_ieee_inexact 0
		.amdhsa_exception_int_div_zero 0
	.end_amdhsa_kernel
	.section	.text._ZL62rocblas_symv_kernel_lower_double_buffered_non_diagonal_genericILi32ELi4ELi4E24rocblas_internal_val_ptrIdEPKdPdEvbiT2_lT3_lllS6_lllT4_lllii,"axG",@progbits,_ZL62rocblas_symv_kernel_lower_double_buffered_non_diagonal_genericILi32ELi4ELi4E24rocblas_internal_val_ptrIdEPKdPdEvbiT2_lT3_lllS6_lllT4_lllii,comdat
.Lfunc_end105:
	.size	_ZL62rocblas_symv_kernel_lower_double_buffered_non_diagonal_genericILi32ELi4ELi4E24rocblas_internal_val_ptrIdEPKdPdEvbiT2_lT3_lllS6_lllT4_lllii, .Lfunc_end105-_ZL62rocblas_symv_kernel_lower_double_buffered_non_diagonal_genericILi32ELi4ELi4E24rocblas_internal_val_ptrIdEPKdPdEvbiT2_lT3_lllS6_lllT4_lllii
                                        ; -- End function
	.set _ZL62rocblas_symv_kernel_lower_double_buffered_non_diagonal_genericILi32ELi4ELi4E24rocblas_internal_val_ptrIdEPKdPdEvbiT2_lT3_lllS6_lllT4_lllii.num_vgpr, 100
	.set _ZL62rocblas_symv_kernel_lower_double_buffered_non_diagonal_genericILi32ELi4ELi4E24rocblas_internal_val_ptrIdEPKdPdEvbiT2_lT3_lllS6_lllT4_lllii.num_agpr, 0
	.set _ZL62rocblas_symv_kernel_lower_double_buffered_non_diagonal_genericILi32ELi4ELi4E24rocblas_internal_val_ptrIdEPKdPdEvbiT2_lT3_lllS6_lllT4_lllii.numbered_sgpr, 76
	.set _ZL62rocblas_symv_kernel_lower_double_buffered_non_diagonal_genericILi32ELi4ELi4E24rocblas_internal_val_ptrIdEPKdPdEvbiT2_lT3_lllS6_lllT4_lllii.num_named_barrier, 0
	.set _ZL62rocblas_symv_kernel_lower_double_buffered_non_diagonal_genericILi32ELi4ELi4E24rocblas_internal_val_ptrIdEPKdPdEvbiT2_lT3_lllS6_lllT4_lllii.private_seg_size, 0
	.set _ZL62rocblas_symv_kernel_lower_double_buffered_non_diagonal_genericILi32ELi4ELi4E24rocblas_internal_val_ptrIdEPKdPdEvbiT2_lT3_lllS6_lllT4_lllii.uses_vcc, 1
	.set _ZL62rocblas_symv_kernel_lower_double_buffered_non_diagonal_genericILi32ELi4ELi4E24rocblas_internal_val_ptrIdEPKdPdEvbiT2_lT3_lllS6_lllT4_lllii.uses_flat_scratch, 0
	.set _ZL62rocblas_symv_kernel_lower_double_buffered_non_diagonal_genericILi32ELi4ELi4E24rocblas_internal_val_ptrIdEPKdPdEvbiT2_lT3_lllS6_lllT4_lllii.has_dyn_sized_stack, 0
	.set _ZL62rocblas_symv_kernel_lower_double_buffered_non_diagonal_genericILi32ELi4ELi4E24rocblas_internal_val_ptrIdEPKdPdEvbiT2_lT3_lllS6_lllT4_lllii.has_recursion, 0
	.set _ZL62rocblas_symv_kernel_lower_double_buffered_non_diagonal_genericILi32ELi4ELi4E24rocblas_internal_val_ptrIdEPKdPdEvbiT2_lT3_lllS6_lllT4_lllii.has_indirect_call, 0
	.section	.AMDGPU.csdata,"",@progbits
; Kernel info:
; codeLenInByte = 3684
; TotalNumSgprs: 78
; NumVgprs: 100
; ScratchSize: 0
; MemoryBound: 0
; FloatMode: 240
; IeeeMode: 1
; LDSByteSize: 7424 bytes/workgroup (compile time only)
; SGPRBlocks: 0
; VGPRBlocks: 6
; NumSGPRsForWavesPerEU: 78
; NumVGPRsForWavesPerEU: 100
; NamedBarCnt: 0
; Occupancy: 9
; WaveLimiterHint : 1
; COMPUTE_PGM_RSRC2:SCRATCH_EN: 0
; COMPUTE_PGM_RSRC2:USER_SGPR: 4
; COMPUTE_PGM_RSRC2:TRAP_HANDLER: 0
; COMPUTE_PGM_RSRC2:TGID_X_EN: 1
; COMPUTE_PGM_RSRC2:TGID_Y_EN: 1
; COMPUTE_PGM_RSRC2:TGID_Z_EN: 1
; COMPUTE_PGM_RSRC2:TIDIG_COMP_CNT: 2
	.section	.text._ZL26rocblas_hemvn_kernel_lowerILb0ELi64ELi4ELi33ELi32ELi16ElPKdS1_PdEviT6_lT7_lT5_lS4_lS5_lS3_lT8_i,"axG",@progbits,_ZL26rocblas_hemvn_kernel_lowerILb0ELi64ELi4ELi33ELi32ELi16ElPKdS1_PdEviT6_lT7_lT5_lS4_lS5_lS3_lT8_i,comdat
	.globl	_ZL26rocblas_hemvn_kernel_lowerILb0ELi64ELi4ELi33ELi32ELi16ElPKdS1_PdEviT6_lT7_lT5_lS4_lS5_lS3_lT8_i ; -- Begin function _ZL26rocblas_hemvn_kernel_lowerILb0ELi64ELi4ELi33ELi32ELi16ElPKdS1_PdEviT6_lT7_lT5_lS4_lS5_lS3_lT8_i
	.p2align	8
	.type	_ZL26rocblas_hemvn_kernel_lowerILb0ELi64ELi4ELi33ELi32ELi16ElPKdS1_PdEviT6_lT7_lT5_lS4_lS5_lS3_lT8_i,@function
_ZL26rocblas_hemvn_kernel_lowerILb0ELi64ELi4ELi33ELi32ELi16ElPKdS1_PdEviT6_lT7_lT5_lS4_lS5_lS3_lT8_i: ; @_ZL26rocblas_hemvn_kernel_lowerILb0ELi64ELi4ELi33ELi32ELi16ElPKdS1_PdEviT6_lT7_lT5_lS4_lS5_lS3_lT8_i
; %bb.0:
	s_clause 0x1
	s_load_b64 s[2:3], s[0:1], 0x84
	s_load_b32 s33, s[0:1], 0x70
	s_bfe_u32 s4, ttmp6, 0x40014
	s_lshr_b32 s5, ttmp7, 16
	s_add_co_i32 s4, s4, 1
	s_bfe_u32 s7, ttmp6, 0x40008
	s_mul_i32 s4, s5, s4
	s_getreg_b32 s6, hwreg(HW_REG_IB_STS2, 6, 4)
	s_add_co_i32 s7, s7, s4
	s_mov_b32 s31, 0
	s_wait_kmcnt 0x0
	s_lshr_b32 s4, s2, 16
	s_and_b32 s2, s2, 0xffff
	s_and_b32 s3, s3, 0xffff
	s_mul_i32 s2, s4, s2
	s_cmp_eq_u32 s6, 0
	s_mul_i32 s2, s2, s3
	s_cselect_b32 s28, s5, s7
	s_cmp_lg_u32 s2, 0x100
	s_cselect_b32 s2, -1, 0
	s_cmp_ge_u32 s28, s33
	s_cselect_b32 s3, -1, 0
	s_delay_alu instid0(SALU_CYCLE_1) | instskip(NEXT) | instid1(SALU_CYCLE_1)
	s_or_b32 s2, s2, s3
	s_and_b32 vcc_lo, exec_lo, s2
	s_cbranch_vccnz .LBB106_79
; %bb.1:
	s_load_b32 s2, s[0:1], 0x0
	s_add_nc_u64 s[8:9], s[0:1], 0x78
	s_clause 0x2
	s_load_b512 s[36:51], s[0:1], 0x8
	s_load_b64 s[4:5], s[0:1], 0x68
	s_load_b256 s[20:27], s[0:1], 0x48
	s_wait_xcnt 0x0
	s_bfe_u32 s0, ttmp6, 0x4000c
	s_and_b32 s1, ttmp6, 15
	s_add_co_i32 s0, s0, 1
	v_and_b32_e32 v32, 0x3ff, v0
	s_mul_i32 s3, ttmp9, s0
	v_bfe_u32 v1, v0, 10, 10
	s_add_co_i32 s1, s1, s3
	s_load_b32 s30, s[8:9], 0x0
	v_dual_mov_b32 v35, 0 :: v_dual_bitop2_b32 v34, 31, v0 bitop3:0x40
	s_delay_alu instid0(VALU_DEP_2) | instskip(SKIP_2) | instid1(VALU_DEP_4)
	v_lshl_add_u32 v8, v1, 6, v32
	v_lshlrev_b32_e32 v33, 3, v32
	v_cmp_eq_u32_e64 s0, 0, v1
	v_lshlrev_b32_e32 v9, 3, v34
	v_mul_u32_u24_e32 v16, 33, v34
	v_sub_nc_u64_e32 v[36:37], 0, v[34:35]
	v_add_nc_u32_e32 v86, 0x2380, v33
	s_wait_kmcnt 0x0
	s_ashr_i32 s3, s2, 31
	s_cmp_eq_u32 s6, 0
	v_lshl_or_b32 v88, v34, 8, v9
	s_cselect_b32 s98, ttmp9, s1
	s_lshl_b64 s[6:7], s[50:51], 3
	s_lshl_b32 s18, s98, 6
	s_lshl_b64 s[8:9], s[42:43], 3
	v_add_nc_u32_e32 v38, s18, v32
	v_lshrrev_b32_e32 v10, 5, v8
	s_add_nc_u64 s[8:9], s[40:41], s[8:9]
	s_mul_u64 s[52:53], s[30:31], s[2:3]
	s_lshr_b32 s3, s3, 26
	v_ashrrev_i32_e32 v39, 31, v38
	v_add_nc_u32_e32 v12, 8, v10
	v_mad_nc_u64_u32 v[2:3], s44, v10, v[34:35]
	s_add_co_i32 s3, s2, s3
	s_add_co_i32 s1, s30, -1
	v_mul_u64_e32 v[4:5], s[20:21], v[38:39]
	s_and_not1_b32 s3, s3, 63
	s_mul_i32 s10, s2, s98
	s_sub_co_i32 s3, s2, s3
	s_cmp_eq_u32 s98, s1
	s_add_nc_u64 s[6:7], s[48:49], s[6:7]
	s_cselect_b32 s40, s3, 0
	v_mul_u32_u24_e32 v11, 0x108, v10
	v_mad_u32 v3, s45, v10, v3
	s_cmp_eq_u32 s40, 0
	v_cmp_gt_i32_e32 vcc_lo, s40, v32
	s_cselect_b32 s14, -1, 0
	s_ashr_i32 s11, s10, 31
	s_ashr_i32 s19, s18, 31
	s_lshl_b64 s[10:11], s[10:11], 3
	s_lshl_b64 s[12:13], s[18:19], 3
	s_add_nc_u64 s[42:43], s[4:5], s[10:11]
	s_add_nc_u64 s[4:5], s[8:9], s[12:13]
	s_mul_u64 s[60:61], s[44:45], s[18:19]
	v_lshl_add_u64 v[6:7], v[2:3], 3, s[4:5]
	s_or_b32 s99, s14, vcc_lo
	s_cmp_lg_u32 s40, 0
	v_cndmask_b32_e64 v87, 0, 1, s14
	s_cselect_b32 s17, -1, 0
	v_lshl_add_u64 v[40:41], s[60:61], 3, v[6:7]
	v_and_b32_e32 v7, 0x7fe0, v8
	s_sub_co_i32 s15, s40, 32
	v_cmp_gt_i32_e64 s2, s40, v10
	v_mul_u32_u24_e32 v14, 0x420, v10
	v_cmp_gt_i32_e64 s12, s15, v10
	v_add_nc_u32_e32 v90, 0x2380, v7
	v_cmp_gt_i32_e64 s13, s15, v12
	v_lshl_add_u64 v[42:43], v[4:5], 3, s[6:7]
	v_dual_add_nc_u32 v4, 16, v10 :: v_dual_lshlrev_b32 v5, 2, v10
	v_dual_add_nc_u32 v6, 24, v10 :: v_dual_add_nc_u32 v89, v88, v7
	v_lshlrev_b32_e32 v17, 3, v10
	s_delay_alu instid0(VALU_DEP_3) | instskip(NEXT) | instid1(VALU_DEP_4)
	v_cmp_gt_i32_e64 s4, s40, v4
	v_or_b32_e32 v13, 1, v5
	v_cmp_lt_u32_e64 s6, v5, v34
	v_or_b32_e32 v15, 2, v5
	v_or_b32_e32 v5, 3, v5
	v_cmp_gt_i32_e64 s14, s15, v4
	v_lshlrev_b32_e32 v4, 2, v1
	v_lshl_add_u32 v91, v16, 3, v17
	v_dual_lshrrev_b32 v7, 4, v8 :: v_dual_add_nc_u32 v101, v9, v11
	v_cmp_lt_u32_e64 s9, v5, v34
	v_or_b32_e32 v5, 32, v34
	v_cmp_gt_i32_e64 s5, s40, v6
	v_cmp_gt_i32_e64 s15, s15, v6
	v_cmp_eq_u32_e64 s16, 1, v10
	v_mul_i32_i24_e32 v6, 0xffffffe8, v10
	v_cmp_gt_i32_e64 s11, s40, v5
	v_mov_b32_e32 v5, v35
	v_mad_u32_u24 v92, v10, 24, v91
	v_and_b32_e32 v10, 15, v0
	v_sub_nc_u64_e32 v[44:45], 0, v[2:3]
	v_dual_add_nc_u32 v102, v9, v14 :: v_dual_bitop2_b32 v0, 48, v0 bitop3:0x40
	v_mul_u64_e32 v[46:47], s[44:45], v[4:5]
	v_lshlrev_b32_e32 v2, 5, v7
	v_cmp_le_i32_e32 vcc_lo, s40, v32
	v_cmp_lt_u32_e64 s7, v13, v34
	v_mul_u32_u24_e32 v13, 0x108, v13
	v_mad_u32_u24 v95, 0x860, v1, v33
	v_lshlrev_b32_e32 v0, 3, v0
	v_or_b32_e32 v3, 0x78, v33
	v_mad_u32_u24 v96, 0x218, v10, v2
	v_mul_i32_i24_e32 v2, 0xffffffe8, v7
	s_and_b32 s17, s17, vcc_lo
	s_mul_u64 s[18:19], s[20:21], s[18:19]
	v_cmp_gt_i32_e64 s1, s40, v34
	v_cmp_gt_i32_e64 s3, s40, v12
	s_lshl_b64 s[48:49], s[44:45], 6
	s_lshl_b64 s[50:51], s[44:45], 7
	s_ashr_i32 s41, s40, 31
	v_cmp_lt_u32_e64 s8, v15, v34
	v_cmp_gt_u32_e64 s10, 32, v8
	s_lshl_b64 s[54:55], s[44:45], 5
	s_xor_b32 s29, s17, -1
	s_sub_nc_u64 s[58:59], 0, s[18:19]
	v_add_nc_u32_e32 v93, 0x2180, v33
	v_lshl_add_u32 v94, v1, 5, 0x2180
	v_cmp_gt_u32_e64 s18, 64, v8
	v_mad_u32_u24 v98, 0x218, v10, v3
	v_mad_i32_i24 v99, 0xfffff9b8, v1, v95
	v_add_nc_u32_e32 v100, 0x2380, v17
	v_add_nc_u32_e32 v103, v9, v13
	v_mad_u32_u24 v97, 0x218, v10, v0
	v_add_nc_u32_e32 v104, v90, v6
	v_add_nc_u32_e32 v105, v96, v2
	v_lshlrev_b32_e32 v34, 3, v34
	s_cmp_gt_i32 s98, 0
	s_mul_u64 s[34:35], s[44:45], 0xc0
	s_sub_nc_u64 s[56:57], 0, s[54:55]
	s_cselect_b32 s100, -1, 0
	s_sub_nc_u64 s[60:61], 0, s[60:61]
	s_and_b32 s101, s0, s29
	s_sub_nc_u64 s[62:63], 0, s[40:41]
	s_lshl_b64 s[64:65], s[44:45], 3
	s_lshl_b64 s[66:67], s[44:45], 9
	;; [unrolled: 1-line block ×3, first 2 shown]
	s_mul_u64 s[70:71], s[44:45], 24
	s_mul_u64 s[72:73], s[44:45], 0x90
	;; [unrolled: 1-line block ×9, first 2 shown]
	s_mov_b64 s[88:89], 0xfffffffffffffef8
	s_mov_b64 s[90:91], 0xffffffffffffff00
	s_mul_u64 s[92:93], s[44:45], 0x108
	s_lshl_b64 s[94:95], s[44:45], 8
	s_mul_u64 s[44:45], s[44:45], 0x88
	s_branch .LBB106_4
.LBB106_2:                              ;   in Loop: Header=BB106_4 Depth=1
	s_wait_xcnt 0x0
	s_or_b32 exec_lo, exec_lo, s19
.LBB106_3:                              ;   in Loop: Header=BB106_4 Depth=1
	s_add_co_i32 s28, s28, 0x10000
	s_delay_alu instid0(SALU_CYCLE_1)
	s_cmp_lt_u32 s28, s33
	s_cbranch_scc0 .LBB106_79
.LBB106_4:                              ; =>This Loop Header: Depth=1
                                        ;     Child Loop BB106_67 Depth 2
	s_mov_b32 s29, s31
	s_wait_xcnt 0x1
	s_mul_u64 s[96:97], s[38:39], s[28:29]
	s_wait_xcnt 0x0
	s_mul_u64 s[102:103], s[26:27], s[28:29]
	s_lshl_b64 s[96:97], s[96:97], 3
	s_lshl_b64 s[102:103], s[102:103], 3
	s_add_nc_u64 s[96:97], s[36:37], s[96:97]
	s_add_nc_u64 s[102:103], s[24:25], s[102:103]
	s_clause 0x1
	global_load_b64 v[0:1], v35, s[96:97]
	global_load_b64 v[2:3], v35, s[102:103]
	s_wait_loadcnt 0x1
	v_cmp_eq_f64_e64 s19, 0, v[0:1]
	s_wait_loadcnt 0x0
	v_cmp_eq_f64_e32 vcc_lo, 1.0, v[2:3]
	s_and_b32 s30, s19, vcc_lo
	s_delay_alu instid0(SALU_CYCLE_1)
	s_and_b32 vcc_lo, exec_lo, s30
	s_cbranch_vccnz .LBB106_3
; %bb.5:                                ;   in Loop: Header=BB106_4 Depth=1
	s_and_b32 vcc_lo, exec_lo, s19
	s_cbranch_vccnz .LBB106_3
; %bb.6:                                ;   in Loop: Header=BB106_4 Depth=1
	s_wait_xcnt 0x1
	s_mul_u64 s[96:97], s[22:23], s[28:29]
	s_delay_alu instid0(SALU_CYCLE_1)
	v_lshl_add_u64 v[16:17], s[96:97], 3, v[42:43]
	s_wait_xcnt 0x0
	s_and_saveexec_b32 s19, s0
	s_cbranch_execz .LBB106_10
; %bb.7:                                ;   in Loop: Header=BB106_4 Depth=1
	v_mov_b64_e32 v[0:1], 0
	s_and_saveexec_b32 s30, s99
	s_cbranch_execz .LBB106_9
; %bb.8:                                ;   in Loop: Header=BB106_4 Depth=1
	global_load_b64 v[0:1], v[16:17], off
.LBB106_9:                              ;   in Loop: Header=BB106_4 Depth=1
	s_wait_xcnt 0x0
	s_or_b32 exec_lo, exec_lo, s30
	s_wait_loadcnt 0x0
	ds_store_b64 v86, v[0:1]
.LBB106_10:                             ;   in Loop: Header=BB106_4 Depth=1
	s_or_b32 exec_lo, exec_lo, s19
	v_cmp_ne_u32_e32 vcc_lo, 1, v87
	s_mul_u64 s[96:97], s[46:47], s[28:29]
	s_mov_b32 s19, -1
	v_lshl_add_u64 v[0:1], s[96:97], 3, v[40:41]
	s_cbranch_vccnz .LBB106_12
; %bb.11:                               ;   in Loop: Header=BB106_4 Depth=1
	s_delay_alu instid0(VALU_DEP_1) | instskip(SKIP_1) | instid1(VALU_DEP_1)
	v_add_nc_u64_e32 v[2:3], s[48:49], v[0:1]
	s_mov_b32 s19, 0
	v_add_nc_u64_e32 v[4:5], s[48:49], v[2:3]
	s_delay_alu instid0(VALU_DEP_1)
	v_add_nc_u64_e32 v[6:7], s[48:49], v[4:5]
	s_clause 0x3
	global_load_b64 v[8:9], v[0:1], off
	global_load_b64 v[2:3], v[2:3], off
	;; [unrolled: 1-line block ×4, first 2 shown]
	s_wait_loadcnt 0x3
	ds_store_b64 v101, v[8:9]
	s_wait_loadcnt 0x2
	ds_store_b64 v101, v[2:3] offset:2112
	s_wait_loadcnt 0x1
	ds_store_b64 v101, v[4:5] offset:4224
	;; [unrolled: 2-line block ×3, first 2 shown]
.LBB106_12:                             ;   in Loop: Header=BB106_4 Depth=1
	s_and_not1_b32 vcc_lo, exec_lo, s19
	s_cbranch_vccnz .LBB106_22
; %bb.13:                               ;   in Loop: Header=BB106_4 Depth=1
	s_wait_xcnt 0x2
	v_lshl_add_u64 v[2:3], v[36:37], 3, v[0:1]
	s_wait_xcnt 0x0
	v_mov_b64_e32 v[6:7], 0
	v_mov_b64_e32 v[4:5], 0
	s_delay_alu instid0(VALU_DEP_3) | instskip(NEXT) | instid1(VALU_DEP_1)
	v_lshl_add_u64 v[2:3], s[40:41], 3, v[2:3]
	v_add_nc_u64_e32 v[2:3], -8, v[2:3]
	s_delay_alu instid0(VALU_DEP_1)
	v_dual_cndmask_b32 v3, v3, v1, s1 :: v_dual_cndmask_b32 v2, v2, v0, s1
	s_and_saveexec_b32 s19, s2
	s_cbranch_execz .LBB106_15
; %bb.14:                               ;   in Loop: Header=BB106_4 Depth=1
	global_load_b64 v[4:5], v[2:3], off
.LBB106_15:                             ;   in Loop: Header=BB106_4 Depth=1
	s_wait_xcnt 0x0
	s_or_b32 exec_lo, exec_lo, s19
	s_wait_loadcnt 0x0
	ds_store_b64 v101, v[4:5]
	s_and_saveexec_b32 s19, s3
	s_cbranch_execz .LBB106_17
; %bb.16:                               ;   in Loop: Header=BB106_4 Depth=1
	v_add_nc_u64_e32 v[4:5], s[48:49], v[2:3]
	global_load_b64 v[6:7], v[4:5], off
.LBB106_17:                             ;   in Loop: Header=BB106_4 Depth=1
	s_wait_xcnt 0x0
	s_or_b32 exec_lo, exec_lo, s19
	v_mov_b64_e32 v[4:5], 0
	v_mov_b64_e32 v[8:9], 0
	s_wait_loadcnt 0x0
	ds_store_b64 v101, v[6:7] offset:2112
	s_and_saveexec_b32 s19, s4
	s_cbranch_execz .LBB106_19
; %bb.18:                               ;   in Loop: Header=BB106_4 Depth=1
	v_add_nc_u64_e32 v[6:7], s[50:51], v[2:3]
	global_load_b64 v[8:9], v[6:7], off
.LBB106_19:                             ;   in Loop: Header=BB106_4 Depth=1
	s_wait_xcnt 0x0
	s_or_b32 exec_lo, exec_lo, s19
	s_wait_loadcnt 0x0
	ds_store_b64 v101, v[8:9] offset:4224
	s_and_saveexec_b32 s19, s5
	s_cbranch_execz .LBB106_21
; %bb.20:                               ;   in Loop: Header=BB106_4 Depth=1
	v_add_nc_u64_e32 v[4:5], s[34:35], v[2:3]
	global_load_b64 v[4:5], v[4:5], off
.LBB106_21:                             ;   in Loop: Header=BB106_4 Depth=1
	s_wait_xcnt 0x0
	s_or_b32 exec_lo, exec_lo, s19
	v_add_nc_u64_e32 v[2:3], v[2:3], v[34:35]
	s_wait_loadcnt 0x0
	ds_store_b64 v101, v[4:5] offset:6336
	v_lshl_add_u64 v[2:3], s[62:63], 3, v[2:3]
	s_delay_alu instid0(VALU_DEP_1) | instskip(NEXT) | instid1(VALU_DEP_1)
	v_add_nc_u64_e32 v[2:3], 8, v[2:3]
	v_dual_cndmask_b32 v1, v3, v1, s1 :: v_dual_cndmask_b32 v0, v2, v0, s1
.LBB106_22:                             ;   in Loop: Header=BB106_4 Depth=1
	s_wait_dscnt 0x0
	s_barrier_signal -1
	s_barrier_wait -1
	s_wait_xcnt 0x0
	s_and_saveexec_b32 s19, s6
	s_cbranch_execnz .LBB106_73
; %bb.23:                               ;   in Loop: Header=BB106_4 Depth=1
	s_or_b32 exec_lo, exec_lo, s19
	s_and_saveexec_b32 s19, s7
	s_cbranch_execnz .LBB106_74
.LBB106_24:                             ;   in Loop: Header=BB106_4 Depth=1
	s_or_b32 exec_lo, exec_lo, s19
	s_and_saveexec_b32 s19, s8
	s_cbranch_execnz .LBB106_75
.LBB106_25:                             ;   in Loop: Header=BB106_4 Depth=1
	s_or_b32 exec_lo, exec_lo, s19
	s_and_saveexec_b32 s19, s9
	s_cbranch_execz .LBB106_27
.LBB106_26:                             ;   in Loop: Header=BB106_4 Depth=1
	ds_load_b64 v[2:3], v103 offset:528
	s_wait_dscnt 0x0
	ds_store_b64 v89, v[2:3] offset:24
.LBB106_27:                             ;   in Loop: Header=BB106_4 Depth=1
	s_or_b32 exec_lo, exec_lo, s19
	s_wait_dscnt 0x0
	s_barrier_signal -1
	s_barrier_wait -1
	ds_load_b64 v[10:11], v102
	ds_load_b128 v[2:5], v90
	ds_load_b128 v[6:9], v90 offset:16
	ds_load_b64 v[14:15], v103 offset:528
	v_mov_b64_e32 v[48:49], 0
	s_wait_dscnt 0x2
	v_fma_f64 v[2:3], v[10:11], v[2:3], 0
	ds_load_2addr_b64 v[10:13], v103 offset1:33
	s_wait_dscnt 0x0
	s_barrier_signal -1
	s_barrier_wait -1
	v_fmac_f64_e32 v[2:3], v[10:11], v[4:5]
	s_delay_alu instid0(VALU_DEP_1) | instskip(NEXT) | instid1(VALU_DEP_1)
	v_fmac_f64_e32 v[2:3], v[12:13], v[6:7]
	v_fmac_f64_e32 v[2:3], v[14:15], v[8:9]
	ds_store_b64 v91, v[2:3]
	s_wait_dscnt 0x0
	s_barrier_signal -1
	s_barrier_wait -1
	s_and_saveexec_b32 s19, s10
	s_cbranch_execz .LBB106_29
; %bb.28:                               ;   in Loop: Header=BB106_4 Depth=1
	ds_load_2addr_b64 v[2:5], v88 offset1:1
	ds_load_2addr_b64 v[6:9], v88 offset0:2 offset1:3
	s_wait_dscnt 0x1
	v_add_f64_e32 v[2:3], v[2:3], v[4:5]
	s_wait_dscnt 0x0
	s_delay_alu instid0(VALU_DEP_1) | instskip(NEXT) | instid1(VALU_DEP_1)
	v_add_f64_e32 v[2:3], v[2:3], v[6:7]
	v_add_f64_e32 v[10:11], v[2:3], v[8:9]
	ds_load_2addr_b64 v[2:5], v88 offset0:4 offset1:5
	ds_load_2addr_b64 v[6:9], v88 offset0:6 offset1:7
	s_wait_dscnt 0x1
	v_add_f64_e32 v[2:3], v[10:11], v[2:3]
	s_delay_alu instid0(VALU_DEP_1) | instskip(SKIP_1) | instid1(VALU_DEP_1)
	v_add_f64_e32 v[2:3], v[2:3], v[4:5]
	s_wait_dscnt 0x0
	v_add_f64_e32 v[2:3], v[2:3], v[6:7]
	s_delay_alu instid0(VALU_DEP_1)
	v_add_f64_e32 v[48:49], v[2:3], v[8:9]
.LBB106_29:                             ;   in Loop: Header=BB106_4 Depth=1
	s_or_b32 exec_lo, exec_lo, s19
	v_cmp_ne_u32_e32 vcc_lo, 1, v87
	v_lshl_add_u64 v[2:3], s[54:55], 3, v[0:1]
	s_mov_b32 s19, -1
	s_barrier_signal -1
	s_barrier_wait -1
	s_cbranch_vccnz .LBB106_31
; %bb.30:                               ;   in Loop: Header=BB106_4 Depth=1
	v_add_nc_u64_e32 v[0:1], s[48:49], v[2:3]
	s_mov_b32 s19, 0
	s_delay_alu instid0(VALU_DEP_1) | instskip(NEXT) | instid1(VALU_DEP_1)
	v_add_nc_u64_e32 v[4:5], s[48:49], v[0:1]
	v_add_nc_u64_e32 v[6:7], s[48:49], v[4:5]
	s_clause 0x3
	global_load_b64 v[8:9], v[2:3], off offset:256
	global_load_b64 v[0:1], v[0:1], off offset:256
	;; [unrolled: 1-line block ×4, first 2 shown]
	s_wait_loadcnt 0x3
	ds_store_b64 v101, v[8:9]
	s_wait_loadcnt 0x2
	ds_store_b64 v101, v[0:1] offset:2112
	s_wait_loadcnt 0x1
	ds_store_b64 v101, v[4:5] offset:4224
	;; [unrolled: 2-line block ×3, first 2 shown]
.LBB106_31:                             ;   in Loop: Header=BB106_4 Depth=1
	s_wait_xcnt 0x2
	v_add_nc_u64_e32 v[0:1], 0x100, v[2:3]
	s_and_not1_b32 vcc_lo, exec_lo, s19
	s_cbranch_vccnz .LBB106_41
; %bb.32:                               ;   in Loop: Header=BB106_4 Depth=1
	v_lshl_add_u64 v[2:3], v[36:37], 3, v[2:3]
	s_wait_xcnt 0x0
	v_mov_b64_e32 v[6:7], 0
	v_mov_b64_e32 v[4:5], 0
	s_delay_alu instid0(VALU_DEP_3) | instskip(NEXT) | instid1(VALU_DEP_1)
	v_lshl_add_u64 v[2:3], s[40:41], 3, v[2:3]
	v_add_nc_u64_e32 v[2:3], -8, v[2:3]
	s_delay_alu instid0(VALU_DEP_1)
	v_dual_cndmask_b32 v3, v3, v1, s11 :: v_dual_cndmask_b32 v2, v2, v0, s11
	s_and_saveexec_b32 s19, s12
	s_cbranch_execz .LBB106_34
; %bb.33:                               ;   in Loop: Header=BB106_4 Depth=1
	global_load_b64 v[4:5], v[2:3], off
.LBB106_34:                             ;   in Loop: Header=BB106_4 Depth=1
	s_wait_xcnt 0x0
	s_or_b32 exec_lo, exec_lo, s19
	s_wait_loadcnt 0x0
	ds_store_b64 v101, v[4:5]
	s_and_saveexec_b32 s19, s13
	s_cbranch_execz .LBB106_36
; %bb.35:                               ;   in Loop: Header=BB106_4 Depth=1
	v_add_nc_u64_e32 v[4:5], s[48:49], v[2:3]
	global_load_b64 v[6:7], v[4:5], off
.LBB106_36:                             ;   in Loop: Header=BB106_4 Depth=1
	s_wait_xcnt 0x0
	s_or_b32 exec_lo, exec_lo, s19
	v_mov_b64_e32 v[4:5], 0
	v_mov_b64_e32 v[8:9], 0
	s_wait_loadcnt 0x0
	ds_store_b64 v101, v[6:7] offset:2112
	s_and_saveexec_b32 s19, s14
	s_cbranch_execz .LBB106_38
; %bb.37:                               ;   in Loop: Header=BB106_4 Depth=1
	v_add_nc_u64_e32 v[6:7], s[50:51], v[2:3]
	global_load_b64 v[8:9], v[6:7], off
.LBB106_38:                             ;   in Loop: Header=BB106_4 Depth=1
	s_wait_xcnt 0x0
	s_or_b32 exec_lo, exec_lo, s19
	s_wait_loadcnt 0x0
	ds_store_b64 v101, v[8:9] offset:4224
	s_and_saveexec_b32 s19, s15
	s_cbranch_execz .LBB106_40
; %bb.39:                               ;   in Loop: Header=BB106_4 Depth=1
	v_add_nc_u64_e32 v[4:5], s[34:35], v[2:3]
	global_load_b64 v[4:5], v[4:5], off
.LBB106_40:                             ;   in Loop: Header=BB106_4 Depth=1
	s_wait_xcnt 0x0
	s_or_b32 exec_lo, exec_lo, s19
	v_add_nc_u64_e32 v[2:3], v[2:3], v[34:35]
	s_wait_loadcnt 0x0
	ds_store_b64 v101, v[4:5] offset:6336
	v_lshl_add_u64 v[2:3], s[62:63], 3, v[2:3]
	s_delay_alu instid0(VALU_DEP_1) | instskip(NEXT) | instid1(VALU_DEP_1)
	v_add_nc_u64_e32 v[2:3], 0x108, v[2:3]
	v_dual_cndmask_b32 v1, v3, v1, s11 :: v_dual_cndmask_b32 v0, v2, v0, s11
.LBB106_41:                             ;   in Loop: Header=BB106_4 Depth=1
	s_wait_dscnt 0x0
	s_barrier_signal -1
	s_barrier_wait -1
	s_wait_xcnt 0x0
	s_and_saveexec_b32 s19, s6
	s_cbranch_execnz .LBB106_76
; %bb.42:                               ;   in Loop: Header=BB106_4 Depth=1
	s_or_b32 exec_lo, exec_lo, s19
	s_and_saveexec_b32 s19, s7
	s_cbranch_execnz .LBB106_77
.LBB106_43:                             ;   in Loop: Header=BB106_4 Depth=1
	s_or_b32 exec_lo, exec_lo, s19
	s_and_saveexec_b32 s19, s8
	s_cbranch_execnz .LBB106_78
.LBB106_44:                             ;   in Loop: Header=BB106_4 Depth=1
	s_or_b32 exec_lo, exec_lo, s19
	s_and_saveexec_b32 s19, s9
	s_cbranch_execz .LBB106_46
.LBB106_45:                             ;   in Loop: Header=BB106_4 Depth=1
	ds_load_b64 v[2:3], v103 offset:528
	s_wait_dscnt 0x0
	ds_store_b64 v89, v[2:3] offset:24
.LBB106_46:                             ;   in Loop: Header=BB106_4 Depth=1
	s_or_b32 exec_lo, exec_lo, s19
	s_wait_dscnt 0x0
	s_barrier_signal -1
	s_barrier_wait -1
	ds_load_b64 v[10:11], v102
	ds_load_b128 v[2:5], v90 offset:256
	ds_load_b128 v[6:9], v90 offset:272
	ds_load_b64 v[14:15], v103 offset:528
	s_wait_dscnt 0x2
	v_fma_f64 v[2:3], v[10:11], v[2:3], 0
	ds_load_2addr_b64 v[10:13], v103 offset1:33
	s_wait_dscnt 0x0
	s_barrier_signal -1
	s_barrier_wait -1
	v_fmac_f64_e32 v[2:3], v[10:11], v[4:5]
	s_delay_alu instid0(VALU_DEP_1) | instskip(NEXT) | instid1(VALU_DEP_1)
	v_fmac_f64_e32 v[2:3], v[12:13], v[6:7]
	v_fmac_f64_e32 v[2:3], v[14:15], v[8:9]
	ds_store_b64 v91, v[2:3]
	s_wait_dscnt 0x0
	s_barrier_signal -1
	s_barrier_wait -1
	s_and_saveexec_b32 s19, s16
	s_cbranch_execz .LBB106_48
; %bb.47:                               ;   in Loop: Header=BB106_4 Depth=1
	ds_load_2addr_b64 v[2:5], v88 offset1:1
	ds_load_2addr_b64 v[6:9], v88 offset0:2 offset1:3
	s_wait_dscnt 0x1
	v_add_f64_e32 v[2:3], v[2:3], v[4:5]
	s_wait_dscnt 0x0
	s_delay_alu instid0(VALU_DEP_1) | instskip(NEXT) | instid1(VALU_DEP_1)
	v_add_f64_e32 v[2:3], v[2:3], v[6:7]
	v_add_f64_e32 v[10:11], v[2:3], v[8:9]
	ds_load_2addr_b64 v[2:5], v88 offset0:4 offset1:5
	ds_load_2addr_b64 v[6:9], v88 offset0:6 offset1:7
	s_wait_dscnt 0x1
	v_add_f64_e32 v[2:3], v[10:11], v[2:3]
	s_delay_alu instid0(VALU_DEP_1) | instskip(SKIP_1) | instid1(VALU_DEP_1)
	v_add_f64_e32 v[2:3], v[2:3], v[4:5]
	s_wait_dscnt 0x0
	v_add_f64_e32 v[2:3], v[2:3], v[6:7]
	s_delay_alu instid0(VALU_DEP_1)
	v_add_f64_e32 v[48:49], v[2:3], v[8:9]
.LBB106_48:                             ;   in Loop: Header=BB106_4 Depth=1
	s_or_b32 exec_lo, exec_lo, s19
	v_cmp_ne_u32_e32 vcc_lo, 1, v87
	v_lshl_add_u64 v[18:19], s[56:57], 3, v[0:1]
	s_mov_b32 s19, -1
	s_barrier_signal -1
	s_barrier_wait -1
	s_cbranch_vccnz .LBB106_50
; %bb.49:                               ;   in Loop: Header=BB106_4 Depth=1
	v_add_nc_u64_e32 v[0:1], s[48:49], v[18:19]
	s_mov_b32 s19, 0
	s_delay_alu instid0(VALU_DEP_1) | instskip(NEXT) | instid1(VALU_DEP_1)
	v_add_nc_u64_e32 v[2:3], s[48:49], v[0:1]
	v_add_nc_u64_e32 v[4:5], s[48:49], v[2:3]
	s_clause 0x3
	global_load_b64 v[6:7], v[18:19], off
	global_load_b64 v[0:1], v[0:1], off
	;; [unrolled: 1-line block ×4, first 2 shown]
	s_wait_loadcnt 0x3
	ds_store_b64 v101, v[6:7]
	s_wait_loadcnt 0x2
	ds_store_b64 v101, v[0:1] offset:2112
	s_wait_loadcnt 0x1
	ds_store_b64 v101, v[2:3] offset:4224
	;; [unrolled: 2-line block ×3, first 2 shown]
.LBB106_50:                             ;   in Loop: Header=BB106_4 Depth=1
	s_and_not1_b32 vcc_lo, exec_lo, s19
	s_cbranch_vccnz .LBB106_60
; %bb.51:                               ;   in Loop: Header=BB106_4 Depth=1
	s_wait_xcnt 0x2
	v_lshl_add_u64 v[0:1], v[36:37], 3, v[18:19]
	s_wait_xcnt 0x0
	v_mov_b64_e32 v[4:5], 0
	v_mov_b64_e32 v[2:3], 0
	s_delay_alu instid0(VALU_DEP_3) | instskip(NEXT) | instid1(VALU_DEP_1)
	v_lshl_add_u64 v[0:1], s[40:41], 3, v[0:1]
	v_add_nc_u64_e32 v[0:1], s[88:89], v[0:1]
	s_delay_alu instid0(VALU_DEP_1)
	v_dual_cndmask_b32 v1, v1, v19, s11 :: v_dual_cndmask_b32 v0, v0, v18, s11
	s_and_saveexec_b32 s19, s2
	s_cbranch_execz .LBB106_53
; %bb.52:                               ;   in Loop: Header=BB106_4 Depth=1
	global_load_b64 v[2:3], v[0:1], off
.LBB106_53:                             ;   in Loop: Header=BB106_4 Depth=1
	s_wait_xcnt 0x0
	s_or_b32 exec_lo, exec_lo, s19
	s_wait_loadcnt 0x0
	ds_store_b64 v101, v[2:3]
	s_and_saveexec_b32 s19, s3
	s_cbranch_execz .LBB106_55
; %bb.54:                               ;   in Loop: Header=BB106_4 Depth=1
	v_add_nc_u64_e32 v[2:3], s[48:49], v[0:1]
	global_load_b64 v[4:5], v[2:3], off
.LBB106_55:                             ;   in Loop: Header=BB106_4 Depth=1
	s_wait_xcnt 0x0
	s_or_b32 exec_lo, exec_lo, s19
	v_mov_b64_e32 v[2:3], 0
	v_mov_b64_e32 v[6:7], 0
	s_wait_loadcnt 0x0
	ds_store_b64 v101, v[4:5] offset:2112
	s_and_saveexec_b32 s19, s4
	s_cbranch_execz .LBB106_57
; %bb.56:                               ;   in Loop: Header=BB106_4 Depth=1
	v_add_nc_u64_e32 v[4:5], s[50:51], v[0:1]
	global_load_b64 v[6:7], v[4:5], off
.LBB106_57:                             ;   in Loop: Header=BB106_4 Depth=1
	s_wait_xcnt 0x0
	s_or_b32 exec_lo, exec_lo, s19
	s_wait_loadcnt 0x0
	ds_store_b64 v101, v[6:7] offset:4224
	s_and_saveexec_b32 s19, s5
	s_cbranch_execz .LBB106_59
; %bb.58:                               ;   in Loop: Header=BB106_4 Depth=1
	v_add_nc_u64_e32 v[2:3], s[34:35], v[0:1]
	global_load_b64 v[2:3], v[2:3], off
.LBB106_59:                             ;   in Loop: Header=BB106_4 Depth=1
	s_wait_xcnt 0x0
	s_or_b32 exec_lo, exec_lo, s19
	v_add_nc_u64_e32 v[0:1], v[0:1], v[34:35]
	s_wait_loadcnt 0x0
	ds_store_b64 v101, v[2:3] offset:6336
	v_lshl_add_u64 v[0:1], s[62:63], 3, v[0:1]
	s_delay_alu instid0(VALU_DEP_1) | instskip(NEXT) | instid1(VALU_DEP_1)
	v_add_nc_u64_e32 v[0:1], 0x108, v[0:1]
	v_dual_cndmask_b32 v19, v1, v19, s11 :: v_dual_cndmask_b32 v18, v0, v18, s11
.LBB106_60:                             ;   in Loop: Header=BB106_4 Depth=1
	s_wait_dscnt 0x0
	s_barrier_signal -1
	s_barrier_wait -1
	s_wait_xcnt 0x2
	ds_load_b64 v[0:1], v101
	s_wait_xcnt 0x1
	ds_load_b64 v[2:3], v104
	s_wait_xcnt 0x0
	ds_load_b64 v[4:5], v101 offset:6336
	ds_load_b64 v[6:7], v101 offset:2112
	;; [unrolled: 1-line block ×4, first 2 shown]
	s_wait_dscnt 0x4
	v_fma_f64 v[20:21], v[0:1], v[2:3], 0
	ds_load_2addr_b64 v[0:3], v100 offset0:8 offset1:16
	s_wait_dscnt 0x0
	v_fmac_f64_e32 v[20:21], v[6:7], v[0:1]
	s_delay_alu instid0(VALU_DEP_1) | instskip(NEXT) | instid1(VALU_DEP_1)
	v_fmac_f64_e32 v[20:21], v[8:9], v[2:3]
	v_fmac_f64_e32 v[20:21], v[4:5], v[10:11]
	ds_load_b128 v[8:11], v90 offset:256
	ds_load_b128 v[0:3], v90 offset:272
	ds_load_2addr_b64 v[12:15], v92 offset1:1
	ds_load_2addr_b64 v[4:7], v92 offset0:2 offset1:3
	s_wait_dscnt 0x0
	s_barrier_signal -1
	s_barrier_wait -1
	ds_store_b64 v91, v[20:21]
	s_wait_dscnt 0x0
	s_barrier_signal -1
	s_barrier_wait -1
	s_and_saveexec_b32 s19, s16
	s_cbranch_execz .LBB106_62
; %bb.61:                               ;   in Loop: Header=BB106_4 Depth=1
	ds_load_2addr_b64 v[20:23], v88 offset1:1
	s_wait_dscnt 0x0
	v_add_f64_e32 v[20:21], v[48:49], v[20:21]
	s_delay_alu instid0(VALU_DEP_1) | instskip(SKIP_3) | instid1(VALU_DEP_1)
	v_add_f64_e32 v[24:25], v[20:21], v[22:23]
	ds_load_2addr_b64 v[20:23], v88 offset0:2 offset1:3
	s_wait_dscnt 0x0
	v_add_f64_e32 v[20:21], v[24:25], v[20:21]
	v_add_f64_e32 v[24:25], v[20:21], v[22:23]
	ds_load_2addr_b64 v[20:23], v88 offset0:4 offset1:5
	s_wait_dscnt 0x0
	v_add_f64_e32 v[20:21], v[24:25], v[20:21]
	s_delay_alu instid0(VALU_DEP_1) | instskip(SKIP_3) | instid1(VALU_DEP_1)
	v_add_f64_e32 v[24:25], v[20:21], v[22:23]
	ds_load_2addr_b64 v[20:23], v88 offset0:6 offset1:7
	s_wait_dscnt 0x0
	v_add_f64_e32 v[20:21], v[24:25], v[20:21]
	v_add_f64_e32 v[48:49], v[20:21], v[22:23]
.LBB106_62:                             ;   in Loop: Header=BB106_4 Depth=1
	s_or_b32 exec_lo, exec_lo, s19
	v_fma_f64 v[8:9], v[12:13], v[8:9], 0
	s_barrier_signal -1
	s_barrier_wait -1
	s_delay_alu instid0(VALU_DEP_1) | instskip(NEXT) | instid1(VALU_DEP_1)
	v_fmac_f64_e32 v[8:9], v[14:15], v[10:11]
	v_fmac_f64_e32 v[8:9], v[4:5], v[0:1]
	s_delay_alu instid0(VALU_DEP_1)
	v_fmac_f64_e32 v[8:9], v[6:7], v[2:3]
	ds_store_b64 v91, v[8:9]
	s_wait_dscnt 0x0
	s_barrier_signal -1
	s_barrier_wait -1
	s_and_saveexec_b32 s19, s10
	s_cbranch_execz .LBB106_64
; %bb.63:                               ;   in Loop: Header=BB106_4 Depth=1
	ds_load_2addr_b64 v[0:3], v88 offset1:1
	ds_load_2addr_b64 v[4:7], v88 offset0:2 offset1:3
	s_wait_dscnt 0x1
	v_add_f64_e32 v[0:1], v[48:49], v[0:1]
	s_delay_alu instid0(VALU_DEP_1) | instskip(SKIP_1) | instid1(VALU_DEP_1)
	v_add_f64_e32 v[0:1], v[0:1], v[2:3]
	s_wait_dscnt 0x0
	v_add_f64_e32 v[0:1], v[0:1], v[4:5]
	s_delay_alu instid0(VALU_DEP_1) | instskip(SKIP_4) | instid1(VALU_DEP_1)
	v_add_f64_e32 v[8:9], v[0:1], v[6:7]
	ds_load_2addr_b64 v[0:3], v88 offset0:4 offset1:5
	ds_load_2addr_b64 v[4:7], v88 offset0:6 offset1:7
	s_wait_dscnt 0x1
	v_add_f64_e32 v[0:1], v[8:9], v[0:1]
	v_add_f64_e32 v[0:1], v[0:1], v[2:3]
	s_wait_dscnt 0x0
	s_delay_alu instid0(VALU_DEP_1) | instskip(NEXT) | instid1(VALU_DEP_1)
	v_add_f64_e32 v[0:1], v[0:1], v[4:5]
	v_add_f64_e32 v[48:49], v[0:1], v[6:7]
.LBB106_64:                             ;   in Loop: Header=BB106_4 Depth=1
	s_or_b32 exec_lo, exec_lo, s19
	s_mul_u64 s[96:97], s[52:53], s[28:29]
	s_and_not1_b32 vcc_lo, exec_lo, s100
	s_lshl_b64 s[96:97], s[96:97], 3
	s_delay_alu instid0(SALU_CYCLE_1)
	s_add_nc_u64 s[96:97], s[42:43], s[96:97]
	s_barrier_signal -1
	s_barrier_wait -1
	s_cbranch_vccnz .LBB106_71
; %bb.65:                               ;   in Loop: Header=BB106_4 Depth=1
	v_lshl_add_u64 v[0:1], s[60:61], 3, v[18:19]
	v_dual_mov_b32 v3, v35 :: v_dual_lshlrev_b32 v2, 3, v32
	v_lshl_add_u64 v[50:51], s[58:59], 3, v[16:17]
	s_mov_b32 s30, 0
	s_delay_alu instid0(VALU_DEP_3) | instskip(SKIP_1) | instid1(VALU_DEP_1)
	v_lshl_add_u64 v[0:1], v[44:45], 3, v[0:1]
	s_mov_b32 s19, s98
	v_lshl_add_u64 v[0:1], v[46:47], 3, v[0:1]
	s_delay_alu instid0(VALU_DEP_1) | instskip(SKIP_1) | instid1(VALU_DEP_1)
	v_add_nc_u64_e32 v[2:3], v[0:1], v[2:3]
	v_lshl_add_u64 v[0:1], s[40:41], 3, v[0:1]
	v_add_nc_u64_e32 v[0:1], s[88:89], v[0:1]
	s_delay_alu instid0(VALU_DEP_3) | instskip(NEXT) | instid1(VALU_DEP_1)
	v_add_nc_u64_e32 v[2:3], s[90:91], v[2:3]
	v_dual_cndmask_b32 v53, v3, v1, s17 :: v_dual_cndmask_b32 v52, v2, v0, s17
	s_branch .LBB106_67
.LBB106_66:                             ;   in Loop: Header=BB106_67 Depth=2
	s_wait_xcnt 0x0
	s_or_b32 exec_lo, exec_lo, s29
	v_fmac_f64_e32 v[48:49], v[60:61], v[0:1]
	v_add_nc_u64_e32 v[52:53], s[66:67], v[52:53]
	s_add_co_i32 s19, s19, -1
	s_add_co_i32 s30, s30, 64
	s_cmp_eq_u32 s19, 0
	s_wait_storecnt 0x0
	s_barrier_signal -1
	s_barrier_wait -1
	s_delay_alu instid0(VALU_DEP_2) | instskip(NEXT) | instid1(VALU_DEP_1)
	v_fmac_f64_e32 v[48:49], v[58:59], v[2:3]
	v_fmac_f64_e32 v[48:49], v[56:57], v[4:5]
	s_delay_alu instid0(VALU_DEP_1) | instskip(NEXT) | instid1(VALU_DEP_1)
	v_fmac_f64_e32 v[48:49], v[54:55], v[6:7]
	v_fmac_f64_e32 v[48:49], v[68:69], v[8:9]
	s_delay_alu instid0(VALU_DEP_1) | instskip(NEXT) | instid1(VALU_DEP_1)
	;; [unrolled: 3-line block ×6, first 2 shown]
	v_fmac_f64_e32 v[48:49], v[80:81], v[26:27]
	v_fmac_f64_e32 v[48:49], v[82:83], v[28:29]
	s_delay_alu instid0(VALU_DEP_1)
	v_fmac_f64_e32 v[48:49], v[84:85], v[30:31]
	s_cbranch_scc1 .LBB106_71
.LBB106_67:                             ;   Parent Loop BB106_4 Depth=1
                                        ; =>  This Inner Loop Header: Depth=2
	s_and_saveexec_b32 s29, s0
	s_cbranch_execz .LBB106_69
; %bb.68:                               ;   in Loop: Header=BB106_67 Depth=2
	s_mul_u64 s[102:103], s[20:21], s[30:31]
	s_delay_alu instid0(SALU_CYCLE_1)
	v_lshl_add_u64 v[0:1], s[102:103], 3, v[50:51]
	global_load_b64 v[0:1], v[0:1], off
	s_wait_loadcnt 0x0
	ds_store_b64 v93, v[0:1]
.LBB106_69:                             ;   in Loop: Header=BB106_67 Depth=2
	s_wait_xcnt 0x0
	s_or_b32 exec_lo, exec_lo, s29
	v_add_nc_u64_e32 v[0:1], s[64:65], v[52:53]
	v_add_nc_u64_e32 v[2:3], s[68:69], v[52:53]
	;; [unrolled: 1-line block ×3, first 2 shown]
	s_wait_dscnt 0x0
	s_barrier_signal -1
	s_barrier_wait -1
	s_clause 0x3
	global_load_b64 v[60:61], v[52:53], off
	global_load_b64 v[58:59], v[0:1], off
	;; [unrolled: 1-line block ×4, first 2 shown]
	s_wait_xcnt 0x0
	ds_load_b64 v[4:5], v86
	ds_load_b128 v[0:3], v94
	v_add_nc_u64_e32 v[22:23], s[50:51], v[52:53]
	v_add_nc_u64_e32 v[24:25], s[44:45], v[52:53]
	;; [unrolled: 1-line block ×6, first 2 shown]
	s_wait_loadcnt_dscnt 0x301
	v_mul_f64_e32 v[8:9], v[60:61], v[4:5]
	s_wait_loadcnt 0x2
	v_mul_f64_e32 v[10:11], v[58:59], v[4:5]
	s_wait_loadcnt 0x1
	;; [unrolled: 2-line block ×3, first 2 shown]
	v_mul_f64_e32 v[14:15], v[54:55], v[4:5]
	ds_load_b128 v[4:7], v94 offset:16
	ds_store_2addr_b64 v95, v[8:9], v[10:11] offset1:67
	ds_store_2addr_b64 v95, v[12:13], v[14:15] offset0:134 offset1:201
	s_wait_dscnt 0x0
	s_barrier_signal -1
	s_barrier_wait -1
	ds_load_2addr_b64 v[14:17], v96 offset1:1
	ds_load_2addr_b64 v[18:21], v96 offset0:2 offset1:3
	s_wait_dscnt 0x0
	s_barrier_signal -1
	s_barrier_wait -1
	s_clause 0x3
	global_load_b64 v[68:69], v[22:23], off
	global_load_b64 v[66:67], v[24:25], off
	;; [unrolled: 1-line block ×4, first 2 shown]
	ds_load_b64 v[12:13], v86
	ds_load_b128 v[8:11], v94 offset:128
	v_add_f64_e32 v[30:31], 0, v[14:15]
	s_delay_alu instid0(VALU_DEP_1) | instskip(SKIP_1) | instid1(VALU_DEP_2)
	v_add_f64_e32 v[16:17], v[30:31], v[16:17]
	v_add_nc_u64_e32 v[30:31], s[78:79], v[52:53]
	v_add_f64_e32 v[16:17], v[16:17], v[18:19]
	s_delay_alu instid0(VALU_DEP_1)
	v_add_f64_e32 v[118:119], v[16:17], v[20:21]
	s_wait_loadcnt_dscnt 0x301
	s_wait_xcnt 0x3
	v_mul_f64_e32 v[22:23], v[68:69], v[12:13]
	s_wait_loadcnt 0x2
	s_wait_xcnt 0x2
	v_mul_f64_e32 v[24:25], v[66:67], v[12:13]
	s_wait_loadcnt 0x1
	;; [unrolled: 3-line block ×3, first 2 shown]
	s_wait_xcnt 0x0
	v_mul_f64_e32 v[28:29], v[62:63], v[12:13]
	ds_load_b128 v[12:15], v94 offset:144
	ds_store_2addr_b64 v95, v[22:23], v[24:25] offset1:67
	ds_store_2addr_b64 v95, v[26:27], v[28:29] offset0:134 offset1:201
	s_wait_dscnt 0x0
	s_barrier_signal -1
	s_barrier_wait -1
	ds_load_2addr_b64 v[22:25], v96 offset1:1
	ds_load_2addr_b64 v[26:29], v96 offset0:2 offset1:3
	s_wait_dscnt 0x0
	s_barrier_signal -1
	s_barrier_wait -1
	s_clause 0x1
	global_load_b64 v[72:73], v[70:71], off
	global_load_b64 v[70:71], v[74:75], off
	v_add_f64_e32 v[22:23], 0, v[22:23]
	s_delay_alu instid0(VALU_DEP_1)
	v_add_f64_e32 v[22:23], v[22:23], v[24:25]
	v_add_nc_u64_e32 v[24:25], s[76:77], v[52:53]
	s_clause 0x1
	global_load_b64 v[76:77], v[24:25], off
	global_load_b64 v[74:75], v[30:31], off
	ds_load_b64 v[20:21], v86
	v_add_f64_e32 v[18:19], v[22:23], v[26:27]
	s_delay_alu instid0(VALU_DEP_1)
	v_add_f64_e32 v[120:121], v[18:19], v[28:29]
	ds_load_b128 v[16:19], v94 offset:256
	s_wait_loadcnt_dscnt 0x301
	v_mul_f64_e32 v[22:23], v[72:73], v[20:21]
	s_wait_loadcnt 0x2
	s_wait_xcnt 0x1
	v_mul_f64_e32 v[24:25], v[70:71], v[20:21]
	ds_store_2addr_b64 v95, v[22:23], v[24:25] offset1:67
	s_wait_loadcnt 0x1
	v_mul_f64_e32 v[22:23], v[76:77], v[20:21]
	s_wait_loadcnt 0x0
	v_mul_f64_e32 v[20:21], v[74:75], v[20:21]
	ds_store_2addr_b64 v95, v[22:23], v[20:21] offset0:134 offset1:201
	ds_load_b128 v[20:23], v94 offset:272
	s_wait_dscnt 0x0
	s_barrier_signal -1
	s_barrier_wait -1
	ds_load_2addr_b64 v[24:27], v96 offset1:1
	ds_load_2addr_b64 v[106:109], v96 offset0:2 offset1:3
	s_wait_dscnt 0x0
	s_barrier_signal -1
	s_barrier_wait -1
	v_add_f64_e32 v[24:25], 0, v[24:25]
	s_delay_alu instid0(VALU_DEP_1)
	v_add_f64_e32 v[122:123], v[24:25], v[26:27]
	v_add_nc_u64_e32 v[24:25], s[86:87], v[52:53]
	global_load_b64 v[78:79], v[24:25], off
	s_wait_xcnt 0x0
	v_add_nc_u64_e32 v[24:25], s[84:85], v[52:53]
	global_load_b64 v[80:81], v[24:25], off
	s_wait_xcnt 0x0
	;; [unrolled: 3-line block ×3, first 2 shown]
	v_add_nc_u64_e32 v[24:25], s[82:83], v[52:53]
	global_load_b64 v[84:85], v[24:25], off
	ds_load_b64 v[28:29], v86
	s_wait_xcnt 0x0
	ds_load_b128 v[24:27], v94 offset:384
	v_add_f64_e32 v[106:107], v[122:123], v[106:107]
	s_delay_alu instid0(VALU_DEP_1)
	v_add_f64_e32 v[106:107], v[106:107], v[108:109]
	s_wait_loadcnt_dscnt 0x301
	v_mul_f64_e32 v[30:31], v[78:79], v[28:29]
	s_wait_loadcnt 0x2
	v_mul_f64_e32 v[110:111], v[80:81], v[28:29]
	ds_store_2addr_b64 v95, v[30:31], v[110:111] offset1:67
	s_wait_loadcnt 0x1
	v_mul_f64_e32 v[30:31], v[82:83], v[28:29]
	s_wait_loadcnt 0x0
	v_mul_f64_e32 v[28:29], v[84:85], v[28:29]
	ds_store_2addr_b64 v95, v[30:31], v[28:29] offset0:134 offset1:201
	ds_load_b128 v[28:31], v94 offset:400
	s_wait_dscnt 0x0
	s_barrier_signal -1
	s_barrier_wait -1
	ds_load_2addr_b64 v[110:113], v96 offset1:1
	ds_load_2addr_b64 v[114:117], v96 offset0:2 offset1:3
	s_wait_dscnt 0x0
	s_barrier_signal -1
	s_barrier_wait -1
	v_add_f64_e32 v[110:111], 0, v[110:111]
	s_delay_alu instid0(VALU_DEP_1) | instskip(NEXT) | instid1(VALU_DEP_1)
	v_add_f64_e32 v[110:111], v[110:111], v[112:113]
	v_add_f64_e32 v[108:109], v[110:111], v[114:115]
	s_delay_alu instid0(VALU_DEP_1)
	v_add_f64_e32 v[108:109], v[108:109], v[116:117]
	ds_store_2addr_b64 v105, v[118:119], v[120:121] offset1:16
	ds_store_2addr_b64 v105, v[106:107], v[108:109] offset0:32 offset1:48
	s_wait_dscnt 0x0
	s_barrier_signal -1
	s_barrier_wait -1
	s_and_saveexec_b32 s29, s18
	s_cbranch_execz .LBB106_66
; %bb.70:                               ;   in Loop: Header=BB106_67 Depth=2
	ds_load_2addr_b64 v[106:109], v97 offset1:1
	ds_load_2addr_b64 v[110:113], v97 offset0:2 offset1:3
	s_wait_dscnt 0x1
	v_add_f64_e32 v[106:107], v[106:107], v[108:109]
	s_wait_dscnt 0x0
	s_delay_alu instid0(VALU_DEP_1) | instskip(NEXT) | instid1(VALU_DEP_1)
	v_add_f64_e32 v[106:107], v[106:107], v[110:111]
	v_add_f64_e32 v[114:115], v[106:107], v[112:113]
	ds_load_2addr_b64 v[106:109], v97 offset0:4 offset1:5
	ds_load_2addr_b64 v[110:113], v97 offset0:6 offset1:7
	s_wait_dscnt 0x1
	v_add_f64_e32 v[106:107], v[114:115], v[106:107]
	s_delay_alu instid0(VALU_DEP_1) | instskip(SKIP_1) | instid1(VALU_DEP_1)
	v_add_f64_e32 v[106:107], v[106:107], v[108:109]
	s_wait_dscnt 0x0
	v_add_f64_e32 v[106:107], v[106:107], v[110:111]
	s_delay_alu instid0(VALU_DEP_1) | instskip(SKIP_4) | instid1(VALU_DEP_1)
	v_add_f64_e32 v[114:115], v[106:107], v[112:113]
	ds_load_2addr_b64 v[106:109], v97 offset0:8 offset1:9
	ds_load_2addr_b64 v[110:113], v97 offset0:10 offset1:11
	s_wait_dscnt 0x1
	v_add_f64_e32 v[106:107], v[114:115], v[106:107]
	v_add_f64_e32 v[106:107], v[106:107], v[108:109]
	s_wait_dscnt 0x0
	s_delay_alu instid0(VALU_DEP_1) | instskip(NEXT) | instid1(VALU_DEP_1)
	v_add_f64_e32 v[106:107], v[106:107], v[110:111]
	v_add_f64_e32 v[110:111], v[106:107], v[112:113]
	ds_load_2addr_b64 v[106:109], v97 offset0:12 offset1:13
	ds_load_b64 v[112:113], v97 offset:112
	s_wait_dscnt 0x1
	v_add_f64_e32 v[106:107], v[110:111], v[106:107]
	s_delay_alu instid0(VALU_DEP_1) | instskip(SKIP_4) | instid1(VALU_DEP_1)
	v_add_f64_e32 v[106:107], v[106:107], v[108:109]
	ds_load_b64 v[108:109], v98
	s_wait_dscnt 0x1
	v_add_f64_e32 v[106:107], v[106:107], v[112:113]
	s_wait_dscnt 0x0
	v_add_f64_e32 v[106:107], v[106:107], v[108:109]
	v_add_nc_u32_e32 v108, s30, v32
	global_store_b64 v108, v[106:107], s[96:97] scale_offset
	s_branch .LBB106_66
.LBB106_71:                             ;   in Loop: Header=BB106_4 Depth=1
	ds_store_b64 v99, v[48:49]
	s_wait_dscnt 0x0
	s_barrier_signal -1
	s_barrier_wait -1
	s_and_saveexec_b32 s19, s101
	s_cbranch_execz .LBB106_2
; %bb.72:                               ;   in Loop: Header=BB106_4 Depth=1
	ds_load_2addr_b64 v[0:3], v33 offset1:67
	s_wait_dscnt 0x0
	v_add_f64_e32 v[4:5], v[0:1], v[2:3]
	ds_load_2addr_b64 v[0:3], v33 offset0:134 offset1:201
	s_wait_dscnt 0x0
	v_add_f64_e32 v[0:1], v[4:5], v[0:1]
	s_delay_alu instid0(VALU_DEP_1)
	v_add_f64_e32 v[0:1], v[0:1], v[2:3]
	v_lshl_add_u64 v[2:3], v[38:39], 3, s[96:97]
	global_store_b64 v[2:3], v[0:1], off
	s_branch .LBB106_2
.LBB106_73:                             ;   in Loop: Header=BB106_4 Depth=1
	ds_load_b64 v[2:3], v102
	s_wait_dscnt 0x0
	ds_store_b64 v89, v[2:3]
	s_or_b32 exec_lo, exec_lo, s19
	s_and_saveexec_b32 s19, s7
	s_cbranch_execz .LBB106_24
.LBB106_74:                             ;   in Loop: Header=BB106_4 Depth=1
	ds_load_b64 v[2:3], v103
	s_wait_dscnt 0x0
	ds_store_b64 v89, v[2:3] offset:8
	s_or_b32 exec_lo, exec_lo, s19
	s_and_saveexec_b32 s19, s8
	s_cbranch_execz .LBB106_25
.LBB106_75:                             ;   in Loop: Header=BB106_4 Depth=1
	ds_load_b64 v[2:3], v103 offset:264
	s_wait_dscnt 0x0
	ds_store_b64 v89, v[2:3] offset:16
	s_or_b32 exec_lo, exec_lo, s19
	s_and_saveexec_b32 s19, s9
	s_cbranch_execnz .LBB106_26
	s_branch .LBB106_27
.LBB106_76:                             ;   in Loop: Header=BB106_4 Depth=1
	ds_load_b64 v[2:3], v102
	s_wait_dscnt 0x0
	ds_store_b64 v89, v[2:3]
	s_or_b32 exec_lo, exec_lo, s19
	s_and_saveexec_b32 s19, s7
	s_cbranch_execz .LBB106_43
.LBB106_77:                             ;   in Loop: Header=BB106_4 Depth=1
	ds_load_b64 v[2:3], v103
	s_wait_dscnt 0x0
	ds_store_b64 v89, v[2:3] offset:8
	s_or_b32 exec_lo, exec_lo, s19
	s_and_saveexec_b32 s19, s8
	s_cbranch_execz .LBB106_44
.LBB106_78:                             ;   in Loop: Header=BB106_4 Depth=1
	ds_load_b64 v[2:3], v103 offset:264
	s_wait_dscnt 0x0
	ds_store_b64 v89, v[2:3] offset:16
	s_or_b32 exec_lo, exec_lo, s19
	s_and_saveexec_b32 s19, s9
	s_cbranch_execnz .LBB106_45
	s_branch .LBB106_46
.LBB106_79:
	s_sendmsg sendmsg(MSG_DEALLOC_VGPRS)
	s_endpgm
	.section	.rodata,"a",@progbits
	.p2align	6, 0x0
	.amdhsa_kernel _ZL26rocblas_hemvn_kernel_lowerILb0ELi64ELi4ELi33ELi32ELi16ElPKdS1_PdEviT6_lT7_lT5_lS4_lS5_lS3_lT8_i
		.amdhsa_group_segment_fixed_size 9600
		.amdhsa_private_segment_fixed_size 0
		.amdhsa_kernarg_size 376
		.amdhsa_user_sgpr_count 2
		.amdhsa_user_sgpr_dispatch_ptr 0
		.amdhsa_user_sgpr_queue_ptr 0
		.amdhsa_user_sgpr_kernarg_segment_ptr 1
		.amdhsa_user_sgpr_dispatch_id 0
		.amdhsa_user_sgpr_kernarg_preload_length 0
		.amdhsa_user_sgpr_kernarg_preload_offset 0
		.amdhsa_user_sgpr_private_segment_size 0
		.amdhsa_wavefront_size32 1
		.amdhsa_uses_dynamic_stack 0
		.amdhsa_enable_private_segment 0
		.amdhsa_system_sgpr_workgroup_id_x 1
		.amdhsa_system_sgpr_workgroup_id_y 0
		.amdhsa_system_sgpr_workgroup_id_z 1
		.amdhsa_system_sgpr_workgroup_info 0
		.amdhsa_system_vgpr_workitem_id 1
		.amdhsa_next_free_vgpr 124
		.amdhsa_next_free_sgpr 104
		.amdhsa_named_barrier_count 0
		.amdhsa_reserve_vcc 1
		.amdhsa_float_round_mode_32 0
		.amdhsa_float_round_mode_16_64 0
		.amdhsa_float_denorm_mode_32 3
		.amdhsa_float_denorm_mode_16_64 3
		.amdhsa_fp16_overflow 0
		.amdhsa_memory_ordered 1
		.amdhsa_forward_progress 1
		.amdhsa_inst_pref_size 42
		.amdhsa_round_robin_scheduling 0
		.amdhsa_exception_fp_ieee_invalid_op 0
		.amdhsa_exception_fp_denorm_src 0
		.amdhsa_exception_fp_ieee_div_zero 0
		.amdhsa_exception_fp_ieee_overflow 0
		.amdhsa_exception_fp_ieee_underflow 0
		.amdhsa_exception_fp_ieee_inexact 0
		.amdhsa_exception_int_div_zero 0
	.end_amdhsa_kernel
	.section	.text._ZL26rocblas_hemvn_kernel_lowerILb0ELi64ELi4ELi33ELi32ELi16ElPKdS1_PdEviT6_lT7_lT5_lS4_lS5_lS3_lT8_i,"axG",@progbits,_ZL26rocblas_hemvn_kernel_lowerILb0ELi64ELi4ELi33ELi32ELi16ElPKdS1_PdEviT6_lT7_lT5_lS4_lS5_lS3_lT8_i,comdat
.Lfunc_end106:
	.size	_ZL26rocblas_hemvn_kernel_lowerILb0ELi64ELi4ELi33ELi32ELi16ElPKdS1_PdEviT6_lT7_lT5_lS4_lS5_lS3_lT8_i, .Lfunc_end106-_ZL26rocblas_hemvn_kernel_lowerILb0ELi64ELi4ELi33ELi32ELi16ElPKdS1_PdEviT6_lT7_lT5_lS4_lS5_lS3_lT8_i
                                        ; -- End function
	.set _ZL26rocblas_hemvn_kernel_lowerILb0ELi64ELi4ELi33ELi32ELi16ElPKdS1_PdEviT6_lT7_lT5_lS4_lS5_lS3_lT8_i.num_vgpr, 124
	.set _ZL26rocblas_hemvn_kernel_lowerILb0ELi64ELi4ELi33ELi32ELi16ElPKdS1_PdEviT6_lT7_lT5_lS4_lS5_lS3_lT8_i.num_agpr, 0
	.set _ZL26rocblas_hemvn_kernel_lowerILb0ELi64ELi4ELi33ELi32ELi16ElPKdS1_PdEviT6_lT7_lT5_lS4_lS5_lS3_lT8_i.numbered_sgpr, 104
	.set _ZL26rocblas_hemvn_kernel_lowerILb0ELi64ELi4ELi33ELi32ELi16ElPKdS1_PdEviT6_lT7_lT5_lS4_lS5_lS3_lT8_i.num_named_barrier, 0
	.set _ZL26rocblas_hemvn_kernel_lowerILb0ELi64ELi4ELi33ELi32ELi16ElPKdS1_PdEviT6_lT7_lT5_lS4_lS5_lS3_lT8_i.private_seg_size, 0
	.set _ZL26rocblas_hemvn_kernel_lowerILb0ELi64ELi4ELi33ELi32ELi16ElPKdS1_PdEviT6_lT7_lT5_lS4_lS5_lS3_lT8_i.uses_vcc, 1
	.set _ZL26rocblas_hemvn_kernel_lowerILb0ELi64ELi4ELi33ELi32ELi16ElPKdS1_PdEviT6_lT7_lT5_lS4_lS5_lS3_lT8_i.uses_flat_scratch, 0
	.set _ZL26rocblas_hemvn_kernel_lowerILb0ELi64ELi4ELi33ELi32ELi16ElPKdS1_PdEviT6_lT7_lT5_lS4_lS5_lS3_lT8_i.has_dyn_sized_stack, 0
	.set _ZL26rocblas_hemvn_kernel_lowerILb0ELi64ELi4ELi33ELi32ELi16ElPKdS1_PdEviT6_lT7_lT5_lS4_lS5_lS3_lT8_i.has_recursion, 0
	.set _ZL26rocblas_hemvn_kernel_lowerILb0ELi64ELi4ELi33ELi32ELi16ElPKdS1_PdEviT6_lT7_lT5_lS4_lS5_lS3_lT8_i.has_indirect_call, 0
	.section	.AMDGPU.csdata,"",@progbits
; Kernel info:
; codeLenInByte = 5364
; TotalNumSgprs: 106
; NumVgprs: 124
; ScratchSize: 0
; MemoryBound: 0
; FloatMode: 240
; IeeeMode: 1
; LDSByteSize: 9600 bytes/workgroup (compile time only)
; SGPRBlocks: 0
; VGPRBlocks: 7
; NumSGPRsForWavesPerEU: 106
; NumVGPRsForWavesPerEU: 124
; NamedBarCnt: 0
; Occupancy: 8
; WaveLimiterHint : 0
; COMPUTE_PGM_RSRC2:SCRATCH_EN: 0
; COMPUTE_PGM_RSRC2:USER_SGPR: 2
; COMPUTE_PGM_RSRC2:TRAP_HANDLER: 0
; COMPUTE_PGM_RSRC2:TGID_X_EN: 1
; COMPUTE_PGM_RSRC2:TGID_Y_EN: 0
; COMPUTE_PGM_RSRC2:TGID_Z_EN: 1
; COMPUTE_PGM_RSRC2:TIDIG_COMP_CNT: 1
	.section	.text._ZL36rocblas_hemvn_kernel_lower_block_sumILi64ElPKdPddEviT1_lS3_lT2_lT0_lPT3_i,"axG",@progbits,_ZL36rocblas_hemvn_kernel_lower_block_sumILi64ElPKdPddEviT1_lS3_lT2_lT0_lPT3_i,comdat
	.globl	_ZL36rocblas_hemvn_kernel_lower_block_sumILi64ElPKdPddEviT1_lS3_lT2_lT0_lPT3_i ; -- Begin function _ZL36rocblas_hemvn_kernel_lower_block_sumILi64ElPKdPddEviT1_lS3_lT2_lT0_lPT3_i
	.p2align	8
	.type	_ZL36rocblas_hemvn_kernel_lower_block_sumILi64ElPKdPddEviT1_lS3_lT2_lT0_lPT3_i,@function
_ZL36rocblas_hemvn_kernel_lower_block_sumILi64ElPKdPddEviT1_lS3_lT2_lT0_lPT3_i: ; @_ZL36rocblas_hemvn_kernel_lower_block_sumILi64ElPKdPddEviT1_lS3_lT2_lT0_lPT3_i
; %bb.0:
	s_load_b32 s3, s[0:1], 0x50
	s_bfe_u32 s2, ttmp6, 0x40014
	s_lshr_b32 s4, ttmp7, 16
	s_add_co_i32 s2, s2, 1
	s_bfe_u32 s6, ttmp6, 0x40008
	s_mul_i32 s5, s4, s2
	s_getreg_b32 s2, hwreg(HW_REG_IB_STS2, 6, 4)
	s_add_co_i32 s6, s6, s5
	s_cmp_eq_u32 s2, 0
	s_mov_b32 s21, 0
	s_cselect_b32 s20, s4, s6
	s_wait_kmcnt 0x0
	s_cmp_ge_u32 s20, s3
	s_cbranch_scc1 .LBB107_24
; %bb.1:
	s_clause 0x1
	s_load_b256 s[4:11], s[0:1], 0x30
	s_load_b32 s22, s[0:1], 0x0
	s_bfe_u32 s12, ttmp6, 0x4000c
	s_and_b32 s13, ttmp6, 15
	s_add_co_i32 s12, s12, 1
	s_delay_alu instid0(SALU_CYCLE_1) | instskip(NEXT) | instid1(SALU_CYCLE_1)
	s_mul_i32 s12, ttmp9, s12
	s_add_co_i32 s13, s13, s12
	s_wait_kmcnt 0x0
	s_lshl_b64 s[4:5], s[4:5], 3
	s_cmp_eq_u32 s2, 0
	s_cselect_b32 s28, ttmp9, s13
	s_load_b256 s[12:19], s[0:1], 0x8
	v_lshl_or_b32 v2, s28, 6, v0
	s_ashr_i32 s23, s22, 31
	s_delay_alu instid0(VALU_DEP_1) | instskip(SKIP_2) | instid1(VALU_DEP_3)
	v_mad_u32 v4, s22, s28, v2
	v_ashrrev_i32_e32 v3, 31, v2
	v_cmp_gt_i32_e64 s2, s22, v2
	v_ashrrev_i32_e32 v5, 31, v4
	s_delay_alu instid0(VALU_DEP_3)
	v_mul_u64_e32 v[0:1], s[6:7], v[2:3]
	s_load_b64 s[6:7], s[0:1], 0x28
	s_wait_xcnt 0x0
	s_add_nc_u64 s[0:1], s[0:1], 0x58
	v_lshl_add_u64 v[2:3], v[4:5], 3, s[10:11]
	s_wait_kmcnt 0x0
	s_add_nc_u64 s[4:5], s[6:7], s[4:5]
	s_lshl_b64 s[6:7], s[22:23], 3
	s_branch .LBB107_4
.LBB107_2:                              ;   in Loop: Header=BB107_4 Depth=1
	s_wait_xcnt 0x0
	s_or_b32 exec_lo, exec_lo, s22
.LBB107_3:                              ;   in Loop: Header=BB107_4 Depth=1
	s_add_co_i32 s20, s20, 0x10000
	s_delay_alu instid0(SALU_CYCLE_1)
	s_cmp_lt_u32 s20, s3
	s_cbranch_scc0 .LBB107_24
.LBB107_4:                              ; =>This Loop Header: Depth=1
                                        ;     Child Loop BB107_15 Depth 2
	s_mul_u64 s[10:11], s[14:15], s[20:21]
	s_mul_u64 s[22:23], s[18:19], s[20:21]
	s_lshl_b64 s[10:11], s[10:11], 3
	s_lshl_b64 s[22:23], s[22:23], 3
	s_add_nc_u64 s[10:11], s[12:13], s[10:11]
	s_add_nc_u64 s[26:27], s[16:17], s[22:23]
	s_load_b64 s[22:23], s[10:11], 0x0
	s_load_b64 s[24:25], s[26:27], 0x0
	s_wait_kmcnt 0x0
	s_wait_xcnt 0x0
	v_cmp_eq_f64_e64 s10, s[22:23], 0
	v_cmp_eq_f64_e64 s11, s[24:25], 1.0
	s_and_b32 s10, s10, s11
	s_delay_alu instid0(SALU_CYCLE_1)
	s_and_b32 vcc_lo, exec_lo, s10
	s_cbranch_vccnz .LBB107_3
; %bb.5:                                ;   in Loop: Header=BB107_4 Depth=1
	v_cmp_neq_f64_e64 s26, s[22:23], 0
	s_mul_u64 s[10:11], s[8:9], s[20:21]
	s_delay_alu instid0(SALU_CYCLE_1) | instskip(NEXT) | instid1(SALU_CYCLE_1)
	s_lshl_b64 s[10:11], s[10:11], 3
	s_add_nc_u64 s[10:11], s[4:5], s[10:11]
	s_and_b32 vcc_lo, exec_lo, s26
	s_cbranch_vccnz .LBB107_10
; %bb.6:                                ;   in Loop: Header=BB107_4 Depth=1
	s_mov_b32 s26, 0
	s_mov_b32 s29, 0
                                        ; implicit-def: $vgpr4_vgpr5
	s_and_saveexec_b32 s27, s2
	s_cbranch_execz .LBB107_11
; %bb.7:                                ;   in Loop: Header=BB107_4 Depth=1
	v_cmp_eq_f64_e64 s29, s[24:25], 0
	v_mov_b64_e32 v[4:5], 0
	s_and_b32 vcc_lo, exec_lo, s29
	s_cbranch_vccnz .LBB107_9
; %bb.8:                                ;   in Loop: Header=BB107_4 Depth=1
	v_lshl_add_u64 v[4:5], v[0:1], 3, s[10:11]
	global_load_b64 v[4:5], v[4:5], off
	s_wait_loadcnt 0x0
	s_wait_xcnt 0x0
	v_mul_f64_e32 v[4:5], s[24:25], v[4:5]
.LBB107_9:                              ;   in Loop: Header=BB107_4 Depth=1
	s_mov_b32 s29, exec_lo
	s_or_b32 exec_lo, exec_lo, s27
	s_delay_alu instid0(SALU_CYCLE_1)
	s_and_b32 vcc_lo, exec_lo, s26
	s_cbranch_vccnz .LBB107_12
	s_branch .LBB107_21
.LBB107_10:                             ;   in Loop: Header=BB107_4 Depth=1
	s_mov_b32 s29, 0
                                        ; implicit-def: $vgpr4_vgpr5
	s_cbranch_execnz .LBB107_12
	s_branch .LBB107_21
.LBB107_11:                             ;   in Loop: Header=BB107_4 Depth=1
	s_or_b32 exec_lo, exec_lo, s27
	s_delay_alu instid0(SALU_CYCLE_1)
	s_and_b32 vcc_lo, exec_lo, s26
	s_cbranch_vccz .LBB107_21
.LBB107_12:                             ;   in Loop: Header=BB107_4 Depth=1
                                        ; implicit-def: $vgpr4_vgpr5
	s_and_saveexec_b32 s30, s2
	s_cbranch_execz .LBB107_20
; %bb.13:                               ;   in Loop: Header=BB107_4 Depth=1
	s_load_b32 s26, s[0:1], 0x0
	v_mov_b64_e32 v[6:7], 0
	s_wait_kmcnt 0x0
	s_cmp_ge_i32 s28, s26
	s_cbranch_scc1 .LBB107_16
; %bb.14:                               ;   in Loop: Header=BB107_4 Depth=1
	s_mov_b32 s27, s21
	v_mov_b64_e32 v[6:7], 0
	s_mul_u64 s[34:35], s[6:7], s[26:27]
	s_mov_b32 s27, s28
	v_mad_nc_u64_u32 v[4:5], s34, s20, v[2:3]
	s_delay_alu instid0(VALU_DEP_1)
	v_mad_u32 v5, s35, s20, v5
.LBB107_15:                             ;   Parent Loop BB107_4 Depth=1
                                        ; =>  This Inner Loop Header: Depth=2
	global_load_b64 v[8:9], v[4:5], off
	s_wait_xcnt 0x0
	v_add_nc_u64_e32 v[4:5], s[6:7], v[4:5]
	s_add_co_i32 s27, s27, 1
	s_delay_alu instid0(SALU_CYCLE_1)
	s_cmp_ge_i32 s27, s26
	s_wait_loadcnt 0x0
	v_add_f64_e32 v[6:7], v[6:7], v[8:9]
	s_cbranch_scc0 .LBB107_15
.LBB107_16:                             ;   in Loop: Header=BB107_4 Depth=1
	v_cmp_eq_f64_e64 s26, s[24:25], 0
	s_and_b32 vcc_lo, exec_lo, s26
	s_cbranch_vccz .LBB107_23
; %bb.17:                               ;   in Loop: Header=BB107_4 Depth=1
	v_mul_f64_e32 v[4:5], s[22:23], v[6:7]
	s_cbranch_execnz .LBB107_19
.LBB107_18:                             ;   in Loop: Header=BB107_4 Depth=1
	v_lshl_add_u64 v[4:5], v[0:1], 3, s[10:11]
	global_load_b64 v[4:5], v[4:5], off
	s_wait_loadcnt 0x0
	s_wait_xcnt 0x0
	v_mul_f64_e32 v[4:5], s[24:25], v[4:5]
	s_delay_alu instid0(VALU_DEP_1)
	v_fmac_f64_e32 v[4:5], s[22:23], v[6:7]
.LBB107_19:                             ;   in Loop: Header=BB107_4 Depth=1
	s_or_b32 s29, s29, exec_lo
.LBB107_20:                             ;   in Loop: Header=BB107_4 Depth=1
	s_or_b32 exec_lo, exec_lo, s30
.LBB107_21:                             ;   in Loop: Header=BB107_4 Depth=1
	s_and_saveexec_b32 s22, s29
	s_cbranch_execz .LBB107_2
; %bb.22:                               ;   in Loop: Header=BB107_4 Depth=1
	v_lshl_add_u64 v[6:7], v[0:1], 3, s[10:11]
	global_store_b64 v[6:7], v[4:5], off
	s_branch .LBB107_2
.LBB107_23:                             ;   in Loop: Header=BB107_4 Depth=1
                                        ; implicit-def: $vgpr4_vgpr5
	s_branch .LBB107_18
.LBB107_24:
	s_endpgm
	.section	.rodata,"a",@progbits
	.p2align	6, 0x0
	.amdhsa_kernel _ZL36rocblas_hemvn_kernel_lower_block_sumILi64ElPKdPddEviT1_lS3_lT2_lT0_lPT3_i
		.amdhsa_group_segment_fixed_size 0
		.amdhsa_private_segment_fixed_size 0
		.amdhsa_kernarg_size 344
		.amdhsa_user_sgpr_count 2
		.amdhsa_user_sgpr_dispatch_ptr 0
		.amdhsa_user_sgpr_queue_ptr 0
		.amdhsa_user_sgpr_kernarg_segment_ptr 1
		.amdhsa_user_sgpr_dispatch_id 0
		.amdhsa_user_sgpr_kernarg_preload_length 0
		.amdhsa_user_sgpr_kernarg_preload_offset 0
		.amdhsa_user_sgpr_private_segment_size 0
		.amdhsa_wavefront_size32 1
		.amdhsa_uses_dynamic_stack 0
		.amdhsa_enable_private_segment 0
		.amdhsa_system_sgpr_workgroup_id_x 1
		.amdhsa_system_sgpr_workgroup_id_y 0
		.amdhsa_system_sgpr_workgroup_id_z 1
		.amdhsa_system_sgpr_workgroup_info 0
		.amdhsa_system_vgpr_workitem_id 0
		.amdhsa_next_free_vgpr 10
		.amdhsa_next_free_sgpr 36
		.amdhsa_named_barrier_count 0
		.amdhsa_reserve_vcc 1
		.amdhsa_float_round_mode_32 0
		.amdhsa_float_round_mode_16_64 0
		.amdhsa_float_denorm_mode_32 3
		.amdhsa_float_denorm_mode_16_64 3
		.amdhsa_fp16_overflow 0
		.amdhsa_memory_ordered 1
		.amdhsa_forward_progress 1
		.amdhsa_inst_pref_size 6
		.amdhsa_round_robin_scheduling 0
		.amdhsa_exception_fp_ieee_invalid_op 0
		.amdhsa_exception_fp_denorm_src 0
		.amdhsa_exception_fp_ieee_div_zero 0
		.amdhsa_exception_fp_ieee_overflow 0
		.amdhsa_exception_fp_ieee_underflow 0
		.amdhsa_exception_fp_ieee_inexact 0
		.amdhsa_exception_int_div_zero 0
	.end_amdhsa_kernel
	.section	.text._ZL36rocblas_hemvn_kernel_lower_block_sumILi64ElPKdPddEviT1_lS3_lT2_lT0_lPT3_i,"axG",@progbits,_ZL36rocblas_hemvn_kernel_lower_block_sumILi64ElPKdPddEviT1_lS3_lT2_lT0_lPT3_i,comdat
.Lfunc_end107:
	.size	_ZL36rocblas_hemvn_kernel_lower_block_sumILi64ElPKdPddEviT1_lS3_lT2_lT0_lPT3_i, .Lfunc_end107-_ZL36rocblas_hemvn_kernel_lower_block_sumILi64ElPKdPddEviT1_lS3_lT2_lT0_lPT3_i
                                        ; -- End function
	.set _ZL36rocblas_hemvn_kernel_lower_block_sumILi64ElPKdPddEviT1_lS3_lT2_lT0_lPT3_i.num_vgpr, 10
	.set _ZL36rocblas_hemvn_kernel_lower_block_sumILi64ElPKdPddEviT1_lS3_lT2_lT0_lPT3_i.num_agpr, 0
	.set _ZL36rocblas_hemvn_kernel_lower_block_sumILi64ElPKdPddEviT1_lS3_lT2_lT0_lPT3_i.numbered_sgpr, 36
	.set _ZL36rocblas_hemvn_kernel_lower_block_sumILi64ElPKdPddEviT1_lS3_lT2_lT0_lPT3_i.num_named_barrier, 0
	.set _ZL36rocblas_hemvn_kernel_lower_block_sumILi64ElPKdPddEviT1_lS3_lT2_lT0_lPT3_i.private_seg_size, 0
	.set _ZL36rocblas_hemvn_kernel_lower_block_sumILi64ElPKdPddEviT1_lS3_lT2_lT0_lPT3_i.uses_vcc, 1
	.set _ZL36rocblas_hemvn_kernel_lower_block_sumILi64ElPKdPddEviT1_lS3_lT2_lT0_lPT3_i.uses_flat_scratch, 0
	.set _ZL36rocblas_hemvn_kernel_lower_block_sumILi64ElPKdPddEviT1_lS3_lT2_lT0_lPT3_i.has_dyn_sized_stack, 0
	.set _ZL36rocblas_hemvn_kernel_lower_block_sumILi64ElPKdPddEviT1_lS3_lT2_lT0_lPT3_i.has_recursion, 0
	.set _ZL36rocblas_hemvn_kernel_lower_block_sumILi64ElPKdPddEviT1_lS3_lT2_lT0_lPT3_i.has_indirect_call, 0
	.section	.AMDGPU.csdata,"",@progbits
; Kernel info:
; codeLenInByte = 716
; TotalNumSgprs: 38
; NumVgprs: 10
; ScratchSize: 0
; MemoryBound: 0
; FloatMode: 240
; IeeeMode: 1
; LDSByteSize: 0 bytes/workgroup (compile time only)
; SGPRBlocks: 0
; VGPRBlocks: 0
; NumSGPRsForWavesPerEU: 38
; NumVGPRsForWavesPerEU: 10
; NamedBarCnt: 0
; Occupancy: 16
; WaveLimiterHint : 0
; COMPUTE_PGM_RSRC2:SCRATCH_EN: 0
; COMPUTE_PGM_RSRC2:USER_SGPR: 2
; COMPUTE_PGM_RSRC2:TRAP_HANDLER: 0
; COMPUTE_PGM_RSRC2:TGID_X_EN: 1
; COMPUTE_PGM_RSRC2:TGID_Y_EN: 0
; COMPUTE_PGM_RSRC2:TGID_Z_EN: 1
; COMPUTE_PGM_RSRC2:TIDIG_COMP_CNT: 0
	.section	.text._ZL26rocblas_hemvn_kernel_lowerILb0ELi64ELi4ELi33ELi32ELi16EiPKdS1_PdEviT6_lT7_lT5_lS4_lS5_lS3_lT8_i,"axG",@progbits,_ZL26rocblas_hemvn_kernel_lowerILb0ELi64ELi4ELi33ELi32ELi16EiPKdS1_PdEviT6_lT7_lT5_lS4_lS5_lS3_lT8_i,comdat
	.globl	_ZL26rocblas_hemvn_kernel_lowerILb0ELi64ELi4ELi33ELi32ELi16EiPKdS1_PdEviT6_lT7_lT5_lS4_lS5_lS3_lT8_i ; -- Begin function _ZL26rocblas_hemvn_kernel_lowerILb0ELi64ELi4ELi33ELi32ELi16EiPKdS1_PdEviT6_lT7_lT5_lS4_lS5_lS3_lT8_i
	.p2align	8
	.type	_ZL26rocblas_hemvn_kernel_lowerILb0ELi64ELi4ELi33ELi32ELi16EiPKdS1_PdEviT6_lT7_lT5_lS4_lS5_lS3_lT8_i,@function
_ZL26rocblas_hemvn_kernel_lowerILb0ELi64ELi4ELi33ELi32ELi16EiPKdS1_PdEviT6_lT7_lT5_lS4_lS5_lS3_lT8_i: ; @_ZL26rocblas_hemvn_kernel_lowerILb0ELi64ELi4ELi33ELi32ELi16EiPKdS1_PdEviT6_lT7_lT5_lS4_lS5_lS3_lT8_i
; %bb.0:
	s_clause 0x1
	s_load_b64 s[2:3], s[0:1], 0x84
	s_load_b32 s33, s[0:1], 0x70
	s_bfe_u32 s4, ttmp6, 0x40014
	s_lshr_b32 s5, ttmp7, 16
	s_add_co_i32 s4, s4, 1
	s_bfe_u32 s6, ttmp6, 0x40008
	s_mul_i32 s7, s5, s4
	s_getreg_b32 s4, hwreg(HW_REG_IB_STS2, 6, 4)
	s_add_co_i32 s6, s6, s7
	s_mov_b32 s35, 0
	s_wait_kmcnt 0x0
	s_lshr_b32 s7, s2, 16
	s_and_b32 s2, s2, 0xffff
	s_and_b32 s3, s3, 0xffff
	s_mul_i32 s2, s7, s2
	s_cmp_eq_u32 s4, 0
	s_mul_i32 s2, s2, s3
	s_cselect_b32 s34, s5, s6
	s_cmp_lg_u32 s2, 0x100
	s_cselect_b32 s2, -1, 0
	s_cmp_ge_u32 s34, s33
	s_cselect_b32 s3, -1, 0
	s_delay_alu instid0(SALU_CYCLE_1) | instskip(NEXT) | instid1(SALU_CYCLE_1)
	s_or_b32 s2, s2, s3
	s_and_b32 vcc_lo, exec_lo, s2
	s_cbranch_vccnz .LBB108_79
; %bb.1:
	s_clause 0x5
	s_load_b32 s2, s[0:1], 0x0
	s_load_b32 s86, s[0:1], 0x28
	s_load_b256 s[20:27], s[0:1], 0x8
	s_load_b128 s[28:31], s[0:1], 0x30
	s_load_b96 s[16:18], s[0:1], 0x40
	s_load_b256 s[36:43], s[0:1], 0x50
	s_add_nc_u64 s[6:7], s[0:1], 0x78
	s_wait_xcnt 0x0
	s_bfe_u32 s1, ttmp6, 0x4000c
	s_load_b32 s8, s[6:7], 0x0
	s_add_co_i32 s1, s1, 1
	s_and_b32 s0, ttmp6, 15
	s_mul_i32 s1, ttmp9, s1
	v_and_b32_e32 v32, 0x3ff, v0
	s_add_co_i32 s0, s0, s1
	v_bfe_u32 v1, v0, 10, 10
	s_mov_b32 s9, s35
	s_mov_b64 s[88:89], 0xfffffffffffffef8
	s_mov_b64 s[90:91], 0xffffffffffffff00
	v_mov_b32_e32 v35, 0
	v_lshl_add_u32 v6, v1, 6, v32
	v_and_b32_e32 v34, 31, v0
	v_lshl_add_u32 v96, v1, 5, 0x2180
	s_wait_kmcnt 0x0
	s_ashr_i32 s3, s2, 31
	s_ashr_i32 s87, s86, 31
	s_cmp_eq_u32 s4, 0
	v_lshrrev_b32_e32 v7, 5, v6
	s_cselect_b32 s100, ttmp9, s0
	s_lshr_b32 s1, s3, 26
	s_lshl_b32 s50, s100, 6
	s_delay_alu instid0(SALU_CYCLE_1)
	v_dual_lshlrev_b32 v88, 3, v32 :: v_dual_add_nc_u32 v36, s50, v32
	s_add_co_i32 s1, s2, s1
	v_mad_u32 v2, s86, v7, v34
	s_and_not1_b32 s1, s1, 63
	s_add_co_i32 s6, s8, -1
	v_mul_lo_u32 v4, s18, v36
	s_lshl_b64 s[4:5], s[16:17], 3
	s_lshl_b64 s[10:11], s[26:27], 3
	s_sub_co_i32 s1, s2, s1
	s_cmp_eq_u32 s100, s6
	s_mul_u64 s[26:27], s[8:9], s[2:3]
	s_cselect_b32 s44, s1, 0
	s_mul_i32 s2, s2, s100
	v_cmp_gt_i32_e32 vcc_lo, s44, v32
	s_cmp_eq_u32 s44, 0
	v_dual_lshlrev_b32 v10, 2, v7 :: v_dual_add_nc_u32 v11, 24, v7
	v_dual_ashrrev_i32 v5, 31, v4 :: v_dual_ashrrev_i32 v3, 31, v2
	s_add_nc_u64 s[6:7], s[30:31], s[4:5]
	s_cselect_b32 s1, -1, 0
	s_ashr_i32 s51, s50, 31
	s_ashr_i32 s3, s2, 31
	s_mul_i32 s52, s86, s50
	s_or_b32 s101, s1, vcc_lo
	v_lshl_add_u64 v[38:39], v[4:5], 3, s[6:7]
	s_lshl_b64 s[6:7], s[50:51], 3
	s_lshl_b64 s[2:3], s[2:3], 3
	s_ashr_i32 s53, s52, 31
	v_dual_add_nc_u32 v8, 8, v7 :: v_dual_add_nc_u32 v9, 16, v7
	s_cmp_lg_u32 s44, 0
	v_dual_lshlrev_b32 v17, 3, v7 :: v_dual_bitop2_b32 v15, 2, v10 bitop3:0x54
	v_mul_u32_u24_e32 v16, 33, v34
	s_add_nc_u64 s[4:5], s[24:25], s[10:11]
	s_cselect_b32 s17, -1, 0
	s_sub_co_i32 s15, s44, 32
	s_add_nc_u64 s[4:5], s[4:5], s[6:7]
	s_add_nc_u64 s[24:25], s[42:43], s[2:3]
	v_cmp_gt_i32_e64 s3, s44, v8
	v_cmp_gt_i32_e64 s13, s15, v8
	v_mul_lo_u32 v8, v1, s86
	v_lshl_add_u64 v[4:5], v[2:3], 3, s[4:5]
	v_lshl_add_u32 v94, v16, 3, v17
	v_cmp_gt_i32_e64 s2, s44, v7
	v_cmp_gt_i32_e64 s4, s44, v9
	v_mul_u32_u24_e32 v14, 0x420, v7
	v_lshl_add_u64 v[40:41], s[52:53], 3, v[4:5]
	v_lshlrev_b32_e32 v4, 3, v34
	v_mul_u32_u24_e32 v5, 0x108, v7
	v_cmp_gt_i32_e64 s12, s15, v7
	v_cmp_gt_i32_e64 s14, s15, v9
	v_cmp_eq_u32_e64 s16, 1, v7
	v_mul_i32_i24_e32 v9, 0xffffffe8, v7
	v_mad_u32_u24 v95, v7, 24, v94
	v_lshrrev_b32_e32 v7, 4, v6
	v_lshl_or_b32 v91, v34, 8, v4
	v_and_b32_e32 v12, 0x7fe0, v6
	v_or_b32_e32 v13, 1, v10
	v_cmp_lt_u32_e64 s6, v10, v34
	v_dual_mov_b32 v33, v35 :: v_dual_bitop2_b32 v10, 3, v10 bitop3:0x54
	v_cmp_le_i32_e32 vcc_lo, s44, v32
	v_lshl_add_u32 v44, v8, 2, v32
	v_and_b32_e32 v8, 15, v0
	v_sub_nc_u64_e32 v[46:47], 0, v[2:3]
	v_dual_lshlrev_b32 v2, 5, v7 :: v_dual_bitop2_b32 v0, 48, v0 bitop3:0x40
	s_lshl_b32 s30, s86, 3
	s_lshl_b32 s42, s86, 4
	s_mul_i32 s46, s86, 24
	v_add_nc_u32_e32 v92, v91, v12
	v_cmp_lt_u32_e64 s7, v13, v34
	v_mul_u32_u24_e32 v13, 0x108, v13
	v_cmp_lt_u32_e64 s9, v10, v34
	v_add_nc_u32_e32 v93, 0x2380, v12
	v_dual_ashrrev_i32 v45, 31, v44 :: v_dual_bitop2_b32 v10, 32, v34 bitop3:0x54
	s_lshl_b32 s48, s86, 5
	s_and_b32 s17, s17, vcc_lo
	s_mul_i32 s50, s18, s50
	v_mad_u32_u24 v97, 0x860, v1, v88
	v_dual_lshlrev_b32 v0, 3, v0 :: v_dual_add_nc_u32 v103, v4, v5
	v_or_b32_e32 v3, 0x78, v88
	v_mad_u32_u24 v98, 0x218, v8, v2
	v_mul_i32_i24_e32 v2, 0xffffffe8, v7
	s_ashr_i32 s31, s30, 31
	s_ashr_i32 s43, s42, 31
	;; [unrolled: 1-line block ×5, first 2 shown]
	s_xor_b32 s19, s17, -1
	s_ashr_i32 s51, s50, 31
	v_cmp_eq_u32_e64 s0, 0, v1
	v_sub_nc_u64_e32 v[42:43], 0, v[34:35]
	s_cmp_gt_i32 s100, 0
	v_sub_nc_u64_e32 v[48:49], 0, v[32:33]
	v_add_nc_u32_e32 v89, 0x2380, v88
	v_cndmask_b32_e64 v90, 0, 1, s1
	v_cmp_gt_i32_e64 s1, s44, v34
	v_cmp_gt_i32_e64 s5, s44, v11
	v_cmp_lt_u32_e64 s8, v15, v34
	v_cmp_gt_u32_e64 s10, 32, v6
	v_cmp_gt_i32_e64 s11, s44, v10
	v_cmp_gt_i32_e64 s15, s15, v11
	s_cselect_b32 s102, -1, 0
	s_lshl_b32 s103, s18, 6
	v_add_nc_u32_e32 v33, 0x2180, v88
	v_cmp_gt_u32_e64 s18, 64, v6
	v_mad_u32_u24 v99, 0x218, v8, v0
	v_mad_u32_u24 v100, 0x218, v8, v3
	v_mad_i32_i24 v101, 0xfffff9b8, v1, v97
	v_dual_ashrrev_i32 v37, 31, v36 :: v_dual_add_nc_u32 v104, v4, v14
	v_add_nc_u32_e32 v102, 0x2380, v17
	v_dual_add_nc_u32 v105, v4, v13 :: v_dual_add_nc_u32 v107, v98, v2
	v_dual_add_nc_u32 v106, v93, v9 :: v_dual_lshlrev_b32 v34, 3, v34
	s_sub_nc_u64 s[50:51], 0, s[50:51]
	s_sub_nc_u64 s[52:53], 0, s[52:53]
	s_and_b32 s104, s0, s19
	s_lshl_b64 s[54:55], s[86:87], 6
	s_lshl_b64 s[56:57], s[86:87], 3
	;; [unrolled: 1-line block ×4, first 2 shown]
	s_mul_u64 s[62:63], s[86:87], 24
	s_mul_u64 s[64:65], s[86:87], 0x90
	;; [unrolled: 1-line block ×10, first 2 shown]
	s_lshl_b64 s[82:83], s[86:87], 8
	s_mul_u64 s[84:85], s[86:87], 0x88
	s_lshl_b64 s[86:87], s[86:87], 7
	s_sub_nc_u64 s[92:93], 0, s[48:49]
	s_sub_nc_u64 s[94:95], 0, s[44:45]
	s_branch .LBB108_4
.LBB108_2:                              ;   in Loop: Header=BB108_4 Depth=1
	s_wait_xcnt 0x0
	s_or_b32 exec_lo, exec_lo, s19
.LBB108_3:                              ;   in Loop: Header=BB108_4 Depth=1
	s_add_co_i32 s34, s34, 0x10000
	s_delay_alu instid0(SALU_CYCLE_1)
	s_cmp_lt_u32 s34, s33
	s_cbranch_scc0 .LBB108_79
.LBB108_4:                              ; =>This Loop Header: Depth=1
                                        ;     Child Loop BB108_67 Depth 2
	s_mul_u64 s[96:97], s[22:23], s[34:35]
	s_wait_xcnt 0x0
	s_mul_u64 s[98:99], s[40:41], s[34:35]
	s_lshl_b64 s[96:97], s[96:97], 3
	s_lshl_b64 s[98:99], s[98:99], 3
	s_add_nc_u64 s[96:97], s[20:21], s[96:97]
	s_add_nc_u64 s[98:99], s[38:39], s[98:99]
	s_clause 0x1
	global_load_b64 v[0:1], v35, s[96:97]
	global_load_b64 v[2:3], v35, s[98:99]
	s_wait_loadcnt 0x1
	v_cmp_eq_f64_e64 s19, 0, v[0:1]
	s_wait_loadcnt 0x0
	v_cmp_eq_f64_e32 vcc_lo, 1.0, v[2:3]
	s_wait_xcnt 0x1
	s_and_b32 s96, s19, vcc_lo
	s_delay_alu instid0(SALU_CYCLE_1)
	s_and_b32 vcc_lo, exec_lo, s96
	s_cbranch_vccnz .LBB108_3
; %bb.5:                                ;   in Loop: Header=BB108_4 Depth=1
	s_and_b32 vcc_lo, exec_lo, s19
	s_cbranch_vccnz .LBB108_3
; %bb.6:                                ;   in Loop: Header=BB108_4 Depth=1
	s_mul_u64 s[96:97], s[36:37], s[34:35]
	s_delay_alu instid0(SALU_CYCLE_1)
	v_lshl_add_u64 v[16:17], s[96:97], 3, v[38:39]
	s_wait_xcnt 0x0
	s_and_saveexec_b32 s19, s0
	s_cbranch_execz .LBB108_10
; %bb.7:                                ;   in Loop: Header=BB108_4 Depth=1
	v_mov_b64_e32 v[0:1], 0
	s_and_saveexec_b32 s96, s101
	s_cbranch_execz .LBB108_9
; %bb.8:                                ;   in Loop: Header=BB108_4 Depth=1
	global_load_b64 v[0:1], v[16:17], off
.LBB108_9:                              ;   in Loop: Header=BB108_4 Depth=1
	s_wait_xcnt 0x0
	s_or_b32 exec_lo, exec_lo, s96
	s_wait_loadcnt 0x0
	ds_store_b64 v89, v[0:1]
.LBB108_10:                             ;   in Loop: Header=BB108_4 Depth=1
	s_or_b32 exec_lo, exec_lo, s19
	v_cmp_ne_u32_e32 vcc_lo, 1, v90
	s_mul_u64 s[96:97], s[28:29], s[34:35]
	s_mov_b32 s19, -1
	v_lshl_add_u64 v[0:1], s[96:97], 3, v[40:41]
	s_cbranch_vccnz .LBB108_12
; %bb.11:                               ;   in Loop: Header=BB108_4 Depth=1
	s_delay_alu instid0(VALU_DEP_1) | instskip(SKIP_1) | instid1(VALU_DEP_1)
	v_lshl_add_u64 v[2:3], s[30:31], 3, v[0:1]
	s_mov_b32 s19, 0
	v_add_nc_u64_e32 v[4:5], s[54:55], v[2:3]
	s_delay_alu instid0(VALU_DEP_1)
	v_add_nc_u64_e32 v[6:7], s[54:55], v[4:5]
	s_clause 0x3
	global_load_b64 v[8:9], v[0:1], off
	global_load_b64 v[2:3], v[2:3], off
	;; [unrolled: 1-line block ×4, first 2 shown]
	s_wait_loadcnt 0x3
	ds_store_b64 v103, v[8:9]
	s_wait_loadcnt 0x2
	ds_store_b64 v103, v[2:3] offset:2112
	s_wait_loadcnt 0x1
	ds_store_b64 v103, v[4:5] offset:4224
	;; [unrolled: 2-line block ×3, first 2 shown]
.LBB108_12:                             ;   in Loop: Header=BB108_4 Depth=1
	s_and_not1_b32 vcc_lo, exec_lo, s19
	s_cbranch_vccnz .LBB108_22
; %bb.13:                               ;   in Loop: Header=BB108_4 Depth=1
	s_wait_xcnt 0x2
	v_lshl_add_u64 v[2:3], v[42:43], 3, v[0:1]
	s_wait_xcnt 0x0
	v_mov_b64_e32 v[6:7], 0
	v_mov_b64_e32 v[4:5], 0
	s_delay_alu instid0(VALU_DEP_3) | instskip(NEXT) | instid1(VALU_DEP_1)
	v_lshl_add_u64 v[2:3], s[44:45], 3, v[2:3]
	v_add_nc_u64_e32 v[2:3], -8, v[2:3]
	s_delay_alu instid0(VALU_DEP_1)
	v_dual_cndmask_b32 v3, v3, v1, s1 :: v_dual_cndmask_b32 v2, v2, v0, s1
	s_and_saveexec_b32 s19, s2
	s_cbranch_execz .LBB108_15
; %bb.14:                               ;   in Loop: Header=BB108_4 Depth=1
	global_load_b64 v[4:5], v[2:3], off
.LBB108_15:                             ;   in Loop: Header=BB108_4 Depth=1
	s_wait_xcnt 0x0
	s_or_b32 exec_lo, exec_lo, s19
	s_wait_loadcnt 0x0
	ds_store_b64 v103, v[4:5]
	s_and_saveexec_b32 s19, s3
	s_cbranch_execz .LBB108_17
; %bb.16:                               ;   in Loop: Header=BB108_4 Depth=1
	v_lshl_add_u64 v[4:5], s[30:31], 3, v[2:3]
	global_load_b64 v[6:7], v[4:5], off
.LBB108_17:                             ;   in Loop: Header=BB108_4 Depth=1
	s_wait_xcnt 0x0
	s_or_b32 exec_lo, exec_lo, s19
	v_mov_b64_e32 v[4:5], 0
	v_mov_b64_e32 v[8:9], 0
	s_wait_loadcnt 0x0
	ds_store_b64 v103, v[6:7] offset:2112
	s_and_saveexec_b32 s19, s4
	s_cbranch_execz .LBB108_19
; %bb.18:                               ;   in Loop: Header=BB108_4 Depth=1
	v_lshl_add_u64 v[6:7], s[42:43], 3, v[2:3]
	global_load_b64 v[8:9], v[6:7], off
.LBB108_19:                             ;   in Loop: Header=BB108_4 Depth=1
	s_wait_xcnt 0x0
	s_or_b32 exec_lo, exec_lo, s19
	s_wait_loadcnt 0x0
	ds_store_b64 v103, v[8:9] offset:4224
	s_and_saveexec_b32 s19, s5
	s_cbranch_execz .LBB108_21
; %bb.20:                               ;   in Loop: Header=BB108_4 Depth=1
	v_lshl_add_u64 v[4:5], s[46:47], 3, v[2:3]
	global_load_b64 v[4:5], v[4:5], off
.LBB108_21:                             ;   in Loop: Header=BB108_4 Depth=1
	s_wait_xcnt 0x0
	s_or_b32 exec_lo, exec_lo, s19
	v_add_nc_u64_e32 v[2:3], v[2:3], v[34:35]
	s_wait_loadcnt 0x0
	ds_store_b64 v103, v[4:5] offset:6336
	v_lshl_add_u64 v[2:3], s[94:95], 3, v[2:3]
	s_delay_alu instid0(VALU_DEP_1) | instskip(NEXT) | instid1(VALU_DEP_1)
	v_add_nc_u64_e32 v[2:3], 8, v[2:3]
	v_dual_cndmask_b32 v1, v3, v1, s1 :: v_dual_cndmask_b32 v0, v2, v0, s1
.LBB108_22:                             ;   in Loop: Header=BB108_4 Depth=1
	s_wait_dscnt 0x0
	s_barrier_signal -1
	s_barrier_wait -1
	s_wait_xcnt 0x0
	s_and_saveexec_b32 s19, s6
	s_cbranch_execnz .LBB108_73
; %bb.23:                               ;   in Loop: Header=BB108_4 Depth=1
	s_or_b32 exec_lo, exec_lo, s19
	s_and_saveexec_b32 s19, s7
	s_cbranch_execnz .LBB108_74
.LBB108_24:                             ;   in Loop: Header=BB108_4 Depth=1
	s_or_b32 exec_lo, exec_lo, s19
	s_and_saveexec_b32 s19, s8
	s_cbranch_execnz .LBB108_75
.LBB108_25:                             ;   in Loop: Header=BB108_4 Depth=1
	s_or_b32 exec_lo, exec_lo, s19
	s_and_saveexec_b32 s19, s9
	s_cbranch_execz .LBB108_27
.LBB108_26:                             ;   in Loop: Header=BB108_4 Depth=1
	ds_load_b64 v[2:3], v105 offset:528
	s_wait_dscnt 0x0
	ds_store_b64 v92, v[2:3] offset:24
.LBB108_27:                             ;   in Loop: Header=BB108_4 Depth=1
	s_or_b32 exec_lo, exec_lo, s19
	s_wait_dscnt 0x0
	s_barrier_signal -1
	s_barrier_wait -1
	ds_load_b64 v[10:11], v104
	ds_load_b128 v[2:5], v93
	ds_load_b128 v[6:9], v93 offset:16
	ds_load_b64 v[14:15], v105 offset:528
	v_mov_b64_e32 v[50:51], 0
	s_wait_dscnt 0x2
	v_fma_f64 v[2:3], v[10:11], v[2:3], 0
	ds_load_2addr_b64 v[10:13], v105 offset1:33
	s_wait_dscnt 0x0
	s_barrier_signal -1
	s_barrier_wait -1
	v_fmac_f64_e32 v[2:3], v[10:11], v[4:5]
	s_delay_alu instid0(VALU_DEP_1) | instskip(NEXT) | instid1(VALU_DEP_1)
	v_fmac_f64_e32 v[2:3], v[12:13], v[6:7]
	v_fmac_f64_e32 v[2:3], v[14:15], v[8:9]
	ds_store_b64 v94, v[2:3]
	s_wait_dscnt 0x0
	s_barrier_signal -1
	s_barrier_wait -1
	s_and_saveexec_b32 s19, s10
	s_cbranch_execz .LBB108_29
; %bb.28:                               ;   in Loop: Header=BB108_4 Depth=1
	ds_load_2addr_b64 v[2:5], v91 offset1:1
	ds_load_2addr_b64 v[6:9], v91 offset0:2 offset1:3
	s_wait_dscnt 0x1
	v_add_f64_e32 v[2:3], v[2:3], v[4:5]
	s_wait_dscnt 0x0
	s_delay_alu instid0(VALU_DEP_1) | instskip(NEXT) | instid1(VALU_DEP_1)
	v_add_f64_e32 v[2:3], v[2:3], v[6:7]
	v_add_f64_e32 v[10:11], v[2:3], v[8:9]
	ds_load_2addr_b64 v[2:5], v91 offset0:4 offset1:5
	ds_load_2addr_b64 v[6:9], v91 offset0:6 offset1:7
	s_wait_dscnt 0x1
	v_add_f64_e32 v[2:3], v[10:11], v[2:3]
	s_delay_alu instid0(VALU_DEP_1) | instskip(SKIP_1) | instid1(VALU_DEP_1)
	v_add_f64_e32 v[2:3], v[2:3], v[4:5]
	s_wait_dscnt 0x0
	v_add_f64_e32 v[2:3], v[2:3], v[6:7]
	s_delay_alu instid0(VALU_DEP_1)
	v_add_f64_e32 v[50:51], v[2:3], v[8:9]
.LBB108_29:                             ;   in Loop: Header=BB108_4 Depth=1
	s_or_b32 exec_lo, exec_lo, s19
	v_cmp_ne_u32_e32 vcc_lo, 1, v90
	v_lshl_add_u64 v[2:3], s[48:49], 3, v[0:1]
	s_mov_b32 s19, -1
	s_barrier_signal -1
	s_barrier_wait -1
	s_cbranch_vccnz .LBB108_31
; %bb.30:                               ;   in Loop: Header=BB108_4 Depth=1
	v_lshl_add_u64 v[0:1], s[30:31], 3, v[2:3]
	s_mov_b32 s19, 0
	s_delay_alu instid0(VALU_DEP_1) | instskip(NEXT) | instid1(VALU_DEP_1)
	v_add_nc_u64_e32 v[4:5], s[54:55], v[0:1]
	v_add_nc_u64_e32 v[6:7], s[54:55], v[4:5]
	s_clause 0x3
	global_load_b64 v[8:9], v[2:3], off offset:256
	global_load_b64 v[0:1], v[0:1], off offset:256
	;; [unrolled: 1-line block ×4, first 2 shown]
	s_wait_loadcnt 0x3
	ds_store_b64 v103, v[8:9]
	s_wait_loadcnt 0x2
	ds_store_b64 v103, v[0:1] offset:2112
	s_wait_loadcnt 0x1
	ds_store_b64 v103, v[4:5] offset:4224
	;; [unrolled: 2-line block ×3, first 2 shown]
.LBB108_31:                             ;   in Loop: Header=BB108_4 Depth=1
	s_wait_xcnt 0x2
	v_add_nc_u64_e32 v[0:1], 0x100, v[2:3]
	s_and_not1_b32 vcc_lo, exec_lo, s19
	s_cbranch_vccnz .LBB108_41
; %bb.32:                               ;   in Loop: Header=BB108_4 Depth=1
	v_lshl_add_u64 v[2:3], v[42:43], 3, v[2:3]
	s_wait_xcnt 0x0
	v_mov_b64_e32 v[6:7], 0
	v_mov_b64_e32 v[4:5], 0
	s_delay_alu instid0(VALU_DEP_3) | instskip(NEXT) | instid1(VALU_DEP_1)
	v_lshl_add_u64 v[2:3], s[44:45], 3, v[2:3]
	v_add_nc_u64_e32 v[2:3], -8, v[2:3]
	s_delay_alu instid0(VALU_DEP_1)
	v_dual_cndmask_b32 v3, v3, v1, s11 :: v_dual_cndmask_b32 v2, v2, v0, s11
	s_and_saveexec_b32 s19, s12
	s_cbranch_execz .LBB108_34
; %bb.33:                               ;   in Loop: Header=BB108_4 Depth=1
	global_load_b64 v[4:5], v[2:3], off
.LBB108_34:                             ;   in Loop: Header=BB108_4 Depth=1
	s_wait_xcnt 0x0
	s_or_b32 exec_lo, exec_lo, s19
	s_wait_loadcnt 0x0
	ds_store_b64 v103, v[4:5]
	s_and_saveexec_b32 s19, s13
	s_cbranch_execz .LBB108_36
; %bb.35:                               ;   in Loop: Header=BB108_4 Depth=1
	v_lshl_add_u64 v[4:5], s[30:31], 3, v[2:3]
	global_load_b64 v[6:7], v[4:5], off
.LBB108_36:                             ;   in Loop: Header=BB108_4 Depth=1
	s_wait_xcnt 0x0
	s_or_b32 exec_lo, exec_lo, s19
	v_mov_b64_e32 v[4:5], 0
	v_mov_b64_e32 v[8:9], 0
	s_wait_loadcnt 0x0
	ds_store_b64 v103, v[6:7] offset:2112
	s_and_saveexec_b32 s19, s14
	s_cbranch_execz .LBB108_38
; %bb.37:                               ;   in Loop: Header=BB108_4 Depth=1
	v_lshl_add_u64 v[6:7], s[42:43], 3, v[2:3]
	global_load_b64 v[8:9], v[6:7], off
.LBB108_38:                             ;   in Loop: Header=BB108_4 Depth=1
	s_wait_xcnt 0x0
	s_or_b32 exec_lo, exec_lo, s19
	s_wait_loadcnt 0x0
	ds_store_b64 v103, v[8:9] offset:4224
	s_and_saveexec_b32 s19, s15
	s_cbranch_execz .LBB108_40
; %bb.39:                               ;   in Loop: Header=BB108_4 Depth=1
	v_lshl_add_u64 v[4:5], s[46:47], 3, v[2:3]
	global_load_b64 v[4:5], v[4:5], off
.LBB108_40:                             ;   in Loop: Header=BB108_4 Depth=1
	s_wait_xcnt 0x0
	s_or_b32 exec_lo, exec_lo, s19
	v_add_nc_u64_e32 v[2:3], v[2:3], v[34:35]
	s_wait_loadcnt 0x0
	ds_store_b64 v103, v[4:5] offset:6336
	v_lshl_add_u64 v[2:3], s[94:95], 3, v[2:3]
	s_delay_alu instid0(VALU_DEP_1) | instskip(NEXT) | instid1(VALU_DEP_1)
	v_add_nc_u64_e32 v[2:3], 0x108, v[2:3]
	v_dual_cndmask_b32 v1, v3, v1, s11 :: v_dual_cndmask_b32 v0, v2, v0, s11
.LBB108_41:                             ;   in Loop: Header=BB108_4 Depth=1
	s_wait_dscnt 0x0
	s_barrier_signal -1
	s_barrier_wait -1
	s_wait_xcnt 0x0
	s_and_saveexec_b32 s19, s6
	s_cbranch_execnz .LBB108_76
; %bb.42:                               ;   in Loop: Header=BB108_4 Depth=1
	s_or_b32 exec_lo, exec_lo, s19
	s_and_saveexec_b32 s19, s7
	s_cbranch_execnz .LBB108_77
.LBB108_43:                             ;   in Loop: Header=BB108_4 Depth=1
	s_or_b32 exec_lo, exec_lo, s19
	s_and_saveexec_b32 s19, s8
	s_cbranch_execnz .LBB108_78
.LBB108_44:                             ;   in Loop: Header=BB108_4 Depth=1
	s_or_b32 exec_lo, exec_lo, s19
	s_and_saveexec_b32 s19, s9
	s_cbranch_execz .LBB108_46
.LBB108_45:                             ;   in Loop: Header=BB108_4 Depth=1
	ds_load_b64 v[2:3], v105 offset:528
	s_wait_dscnt 0x0
	ds_store_b64 v92, v[2:3] offset:24
.LBB108_46:                             ;   in Loop: Header=BB108_4 Depth=1
	s_or_b32 exec_lo, exec_lo, s19
	s_wait_dscnt 0x0
	s_barrier_signal -1
	s_barrier_wait -1
	ds_load_b64 v[10:11], v104
	ds_load_b128 v[2:5], v93 offset:256
	ds_load_b128 v[6:9], v93 offset:272
	ds_load_b64 v[14:15], v105 offset:528
	s_wait_dscnt 0x2
	v_fma_f64 v[2:3], v[10:11], v[2:3], 0
	ds_load_2addr_b64 v[10:13], v105 offset1:33
	s_wait_dscnt 0x0
	s_barrier_signal -1
	s_barrier_wait -1
	v_fmac_f64_e32 v[2:3], v[10:11], v[4:5]
	s_delay_alu instid0(VALU_DEP_1) | instskip(NEXT) | instid1(VALU_DEP_1)
	v_fmac_f64_e32 v[2:3], v[12:13], v[6:7]
	v_fmac_f64_e32 v[2:3], v[14:15], v[8:9]
	ds_store_b64 v94, v[2:3]
	s_wait_dscnt 0x0
	s_barrier_signal -1
	s_barrier_wait -1
	s_and_saveexec_b32 s19, s16
	s_cbranch_execz .LBB108_48
; %bb.47:                               ;   in Loop: Header=BB108_4 Depth=1
	ds_load_2addr_b64 v[2:5], v91 offset1:1
	ds_load_2addr_b64 v[6:9], v91 offset0:2 offset1:3
	s_wait_dscnt 0x1
	v_add_f64_e32 v[2:3], v[2:3], v[4:5]
	s_wait_dscnt 0x0
	s_delay_alu instid0(VALU_DEP_1) | instskip(NEXT) | instid1(VALU_DEP_1)
	v_add_f64_e32 v[2:3], v[2:3], v[6:7]
	v_add_f64_e32 v[10:11], v[2:3], v[8:9]
	ds_load_2addr_b64 v[2:5], v91 offset0:4 offset1:5
	ds_load_2addr_b64 v[6:9], v91 offset0:6 offset1:7
	s_wait_dscnt 0x1
	v_add_f64_e32 v[2:3], v[10:11], v[2:3]
	s_delay_alu instid0(VALU_DEP_1) | instskip(SKIP_1) | instid1(VALU_DEP_1)
	v_add_f64_e32 v[2:3], v[2:3], v[4:5]
	s_wait_dscnt 0x0
	v_add_f64_e32 v[2:3], v[2:3], v[6:7]
	s_delay_alu instid0(VALU_DEP_1)
	v_add_f64_e32 v[50:51], v[2:3], v[8:9]
.LBB108_48:                             ;   in Loop: Header=BB108_4 Depth=1
	s_or_b32 exec_lo, exec_lo, s19
	v_cmp_ne_u32_e32 vcc_lo, 1, v90
	v_lshl_add_u64 v[18:19], s[92:93], 3, v[0:1]
	s_mov_b32 s19, -1
	s_barrier_signal -1
	s_barrier_wait -1
	s_cbranch_vccnz .LBB108_50
; %bb.49:                               ;   in Loop: Header=BB108_4 Depth=1
	v_lshl_add_u64 v[0:1], s[30:31], 3, v[18:19]
	s_mov_b32 s19, 0
	s_delay_alu instid0(VALU_DEP_1) | instskip(NEXT) | instid1(VALU_DEP_1)
	v_add_nc_u64_e32 v[2:3], s[54:55], v[0:1]
	v_add_nc_u64_e32 v[4:5], s[54:55], v[2:3]
	s_clause 0x3
	global_load_b64 v[6:7], v[18:19], off
	global_load_b64 v[0:1], v[0:1], off
	;; [unrolled: 1-line block ×4, first 2 shown]
	s_wait_loadcnt 0x3
	ds_store_b64 v103, v[6:7]
	s_wait_loadcnt 0x2
	ds_store_b64 v103, v[0:1] offset:2112
	s_wait_loadcnt 0x1
	ds_store_b64 v103, v[2:3] offset:4224
	s_wait_loadcnt 0x0
	ds_store_b64 v103, v[4:5] offset:6336
.LBB108_50:                             ;   in Loop: Header=BB108_4 Depth=1
	s_and_not1_b32 vcc_lo, exec_lo, s19
	s_cbranch_vccnz .LBB108_60
; %bb.51:                               ;   in Loop: Header=BB108_4 Depth=1
	s_wait_xcnt 0x2
	v_lshl_add_u64 v[0:1], v[42:43], 3, v[18:19]
	s_wait_xcnt 0x0
	v_mov_b64_e32 v[4:5], 0
	v_mov_b64_e32 v[2:3], 0
	s_delay_alu instid0(VALU_DEP_3) | instskip(NEXT) | instid1(VALU_DEP_1)
	v_lshl_add_u64 v[0:1], s[44:45], 3, v[0:1]
	v_add_nc_u64_e32 v[0:1], s[88:89], v[0:1]
	s_delay_alu instid0(VALU_DEP_1)
	v_dual_cndmask_b32 v1, v1, v19, s11 :: v_dual_cndmask_b32 v0, v0, v18, s11
	s_and_saveexec_b32 s19, s2
	s_cbranch_execz .LBB108_53
; %bb.52:                               ;   in Loop: Header=BB108_4 Depth=1
	global_load_b64 v[2:3], v[0:1], off
.LBB108_53:                             ;   in Loop: Header=BB108_4 Depth=1
	s_wait_xcnt 0x0
	s_or_b32 exec_lo, exec_lo, s19
	s_wait_loadcnt 0x0
	ds_store_b64 v103, v[2:3]
	s_and_saveexec_b32 s19, s3
	s_cbranch_execz .LBB108_55
; %bb.54:                               ;   in Loop: Header=BB108_4 Depth=1
	v_lshl_add_u64 v[2:3], s[30:31], 3, v[0:1]
	global_load_b64 v[4:5], v[2:3], off
.LBB108_55:                             ;   in Loop: Header=BB108_4 Depth=1
	s_wait_xcnt 0x0
	s_or_b32 exec_lo, exec_lo, s19
	v_mov_b64_e32 v[2:3], 0
	v_mov_b64_e32 v[6:7], 0
	s_wait_loadcnt 0x0
	ds_store_b64 v103, v[4:5] offset:2112
	s_and_saveexec_b32 s19, s4
	s_cbranch_execz .LBB108_57
; %bb.56:                               ;   in Loop: Header=BB108_4 Depth=1
	v_lshl_add_u64 v[4:5], s[42:43], 3, v[0:1]
	global_load_b64 v[6:7], v[4:5], off
.LBB108_57:                             ;   in Loop: Header=BB108_4 Depth=1
	s_wait_xcnt 0x0
	s_or_b32 exec_lo, exec_lo, s19
	s_wait_loadcnt 0x0
	ds_store_b64 v103, v[6:7] offset:4224
	s_and_saveexec_b32 s19, s5
	s_cbranch_execz .LBB108_59
; %bb.58:                               ;   in Loop: Header=BB108_4 Depth=1
	v_lshl_add_u64 v[2:3], s[46:47], 3, v[0:1]
	global_load_b64 v[2:3], v[2:3], off
.LBB108_59:                             ;   in Loop: Header=BB108_4 Depth=1
	s_wait_xcnt 0x0
	s_or_b32 exec_lo, exec_lo, s19
	v_add_nc_u64_e32 v[0:1], v[0:1], v[34:35]
	s_wait_loadcnt 0x0
	ds_store_b64 v103, v[2:3] offset:6336
	v_lshl_add_u64 v[0:1], s[94:95], 3, v[0:1]
	s_delay_alu instid0(VALU_DEP_1) | instskip(NEXT) | instid1(VALU_DEP_1)
	v_add_nc_u64_e32 v[0:1], 0x108, v[0:1]
	v_dual_cndmask_b32 v19, v1, v19, s11 :: v_dual_cndmask_b32 v18, v0, v18, s11
.LBB108_60:                             ;   in Loop: Header=BB108_4 Depth=1
	s_wait_dscnt 0x0
	s_barrier_signal -1
	s_barrier_wait -1
	s_wait_xcnt 0x2
	ds_load_b64 v[0:1], v103
	s_wait_xcnt 0x1
	ds_load_b64 v[2:3], v106
	s_wait_xcnt 0x0
	ds_load_b64 v[4:5], v103 offset:6336
	ds_load_b64 v[6:7], v103 offset:2112
	ds_load_b64 v[8:9], v103 offset:4224
	ds_load_b64 v[10:11], v102 offset:192
	s_wait_dscnt 0x4
	v_fma_f64 v[20:21], v[0:1], v[2:3], 0
	ds_load_2addr_b64 v[0:3], v102 offset0:8 offset1:16
	s_wait_dscnt 0x0
	v_fmac_f64_e32 v[20:21], v[6:7], v[0:1]
	s_delay_alu instid0(VALU_DEP_1) | instskip(NEXT) | instid1(VALU_DEP_1)
	v_fmac_f64_e32 v[20:21], v[8:9], v[2:3]
	v_fmac_f64_e32 v[20:21], v[4:5], v[10:11]
	ds_load_b128 v[8:11], v93 offset:256
	ds_load_b128 v[0:3], v93 offset:272
	ds_load_2addr_b64 v[12:15], v95 offset1:1
	ds_load_2addr_b64 v[4:7], v95 offset0:2 offset1:3
	s_wait_dscnt 0x0
	s_barrier_signal -1
	s_barrier_wait -1
	ds_store_b64 v94, v[20:21]
	s_wait_dscnt 0x0
	s_barrier_signal -1
	s_barrier_wait -1
	s_and_saveexec_b32 s19, s16
	s_cbranch_execz .LBB108_62
; %bb.61:                               ;   in Loop: Header=BB108_4 Depth=1
	ds_load_2addr_b64 v[20:23], v91 offset1:1
	ds_load_2addr_b64 v[24:27], v91 offset0:2 offset1:3
	s_wait_dscnt 0x1
	v_add_f64_e32 v[20:21], v[50:51], v[20:21]
	s_delay_alu instid0(VALU_DEP_1) | instskip(SKIP_1) | instid1(VALU_DEP_1)
	v_add_f64_e32 v[20:21], v[20:21], v[22:23]
	s_wait_dscnt 0x0
	v_add_f64_e32 v[20:21], v[20:21], v[24:25]
	s_delay_alu instid0(VALU_DEP_1) | instskip(SKIP_4) | instid1(VALU_DEP_1)
	v_add_f64_e32 v[28:29], v[20:21], v[26:27]
	ds_load_2addr_b64 v[20:23], v91 offset0:4 offset1:5
	ds_load_2addr_b64 v[24:27], v91 offset0:6 offset1:7
	s_wait_dscnt 0x1
	v_add_f64_e32 v[20:21], v[28:29], v[20:21]
	v_add_f64_e32 v[20:21], v[20:21], v[22:23]
	s_wait_dscnt 0x0
	s_delay_alu instid0(VALU_DEP_1) | instskip(NEXT) | instid1(VALU_DEP_1)
	v_add_f64_e32 v[20:21], v[20:21], v[24:25]
	v_add_f64_e32 v[50:51], v[20:21], v[26:27]
.LBB108_62:                             ;   in Loop: Header=BB108_4 Depth=1
	s_or_b32 exec_lo, exec_lo, s19
	v_fma_f64 v[8:9], v[12:13], v[8:9], 0
	s_barrier_signal -1
	s_barrier_wait -1
	s_delay_alu instid0(VALU_DEP_1) | instskip(NEXT) | instid1(VALU_DEP_1)
	v_fmac_f64_e32 v[8:9], v[14:15], v[10:11]
	v_fmac_f64_e32 v[8:9], v[4:5], v[0:1]
	s_delay_alu instid0(VALU_DEP_1)
	v_fmac_f64_e32 v[8:9], v[6:7], v[2:3]
	ds_store_b64 v94, v[8:9]
	s_wait_dscnt 0x0
	s_barrier_signal -1
	s_barrier_wait -1
	s_and_saveexec_b32 s19, s10
	s_cbranch_execz .LBB108_64
; %bb.63:                               ;   in Loop: Header=BB108_4 Depth=1
	ds_load_2addr_b64 v[0:3], v91 offset1:1
	ds_load_2addr_b64 v[4:7], v91 offset0:2 offset1:3
	s_wait_dscnt 0x1
	v_add_f64_e32 v[0:1], v[50:51], v[0:1]
	s_delay_alu instid0(VALU_DEP_1) | instskip(SKIP_1) | instid1(VALU_DEP_1)
	v_add_f64_e32 v[0:1], v[0:1], v[2:3]
	s_wait_dscnt 0x0
	v_add_f64_e32 v[0:1], v[0:1], v[4:5]
	s_delay_alu instid0(VALU_DEP_1) | instskip(SKIP_4) | instid1(VALU_DEP_1)
	v_add_f64_e32 v[8:9], v[0:1], v[6:7]
	ds_load_2addr_b64 v[0:3], v91 offset0:4 offset1:5
	ds_load_2addr_b64 v[4:7], v91 offset0:6 offset1:7
	s_wait_dscnt 0x1
	v_add_f64_e32 v[0:1], v[8:9], v[0:1]
	v_add_f64_e32 v[0:1], v[0:1], v[2:3]
	s_wait_dscnt 0x0
	s_delay_alu instid0(VALU_DEP_1) | instskip(NEXT) | instid1(VALU_DEP_1)
	v_add_f64_e32 v[0:1], v[0:1], v[4:5]
	v_add_f64_e32 v[50:51], v[0:1], v[6:7]
.LBB108_64:                             ;   in Loop: Header=BB108_4 Depth=1
	s_or_b32 exec_lo, exec_lo, s19
	s_mul_u64 s[96:97], s[26:27], s[34:35]
	s_and_not1_b32 vcc_lo, exec_lo, s102
	s_lshl_b64 s[96:97], s[96:97], 3
	s_delay_alu instid0(SALU_CYCLE_1)
	s_add_nc_u64 s[96:97], s[24:25], s[96:97]
	s_barrier_signal -1
	s_barrier_wait -1
	s_cbranch_vccnz .LBB108_71
; %bb.65:                               ;   in Loop: Header=BB108_4 Depth=1
	v_lshl_add_u64 v[0:1], s[52:53], 3, v[18:19]
	v_lshl_add_u64 v[52:53], s[50:51], 3, v[16:17]
	v_mov_b32_e32 v108, v32
	s_mov_b32 s98, 0
	s_mov_b32 s19, s100
	v_lshl_add_u64 v[0:1], v[46:47], 3, v[0:1]
	s_delay_alu instid0(VALU_DEP_1) | instskip(NEXT) | instid1(VALU_DEP_1)
	v_lshl_add_u64 v[0:1], v[44:45], 3, v[0:1]
	v_lshl_add_u64 v[2:3], v[48:49], 3, v[0:1]
	v_add_nc_u64_e32 v[0:1], s[90:91], v[0:1]
	s_delay_alu instid0(VALU_DEP_2) | instskip(NEXT) | instid1(VALU_DEP_1)
	v_lshl_add_u64 v[2:3], s[44:45], 3, v[2:3]
	v_add_nc_u64_e32 v[2:3], s[88:89], v[2:3]
	s_delay_alu instid0(VALU_DEP_1)
	v_dual_cndmask_b32 v55, v1, v3, s17 :: v_dual_cndmask_b32 v54, v0, v2, s17
	s_branch .LBB108_67
.LBB108_66:                             ;   in Loop: Header=BB108_67 Depth=2
	s_wait_xcnt 0x0
	s_or_b32 exec_lo, exec_lo, s99
	v_fmac_f64_e32 v[50:51], v[56:57], v[4:5]
	v_add_nc_u64_e32 v[54:55], s[58:59], v[54:55]
	v_add_nc_u32_e32 v108, 64, v108
	s_add_co_i32 s19, s19, -1
	s_add_co_i32 s98, s98, s103
	s_cmp_eq_u32 s19, 0
	s_wait_storecnt 0x0
	s_barrier_signal -1
	s_barrier_wait -1
	s_delay_alu instid0(VALU_DEP_3) | instskip(NEXT) | instid1(VALU_DEP_1)
	v_fmac_f64_e32 v[50:51], v[58:59], v[6:7]
	v_fmac_f64_e32 v[50:51], v[60:61], v[0:1]
	s_delay_alu instid0(VALU_DEP_1) | instskip(NEXT) | instid1(VALU_DEP_1)
	v_fmac_f64_e32 v[50:51], v[62:63], v[2:3]
	v_fmac_f64_e32 v[50:51], v[64:65], v[12:13]
	s_delay_alu instid0(VALU_DEP_1) | instskip(NEXT) | instid1(VALU_DEP_1)
	;; [unrolled: 3-line block ×6, first 2 shown]
	v_fmac_f64_e32 v[50:51], v[82:83], v[30:31]
	v_fmac_f64_e32 v[50:51], v[84:85], v[24:25]
	s_delay_alu instid0(VALU_DEP_1)
	v_fmac_f64_e32 v[50:51], v[86:87], v[26:27]
	s_cbranch_scc1 .LBB108_71
.LBB108_67:                             ;   Parent Loop BB108_4 Depth=1
                                        ; =>  This Inner Loop Header: Depth=2
	s_and_saveexec_b32 vcc_lo, s0
	s_cbranch_execz .LBB108_69
; %bb.68:                               ;   in Loop: Header=BB108_67 Depth=2
	s_ashr_i32 s99, s98, 31
	s_delay_alu instid0(SALU_CYCLE_1)
	v_lshl_add_u64 v[0:1], s[98:99], 3, v[52:53]
	global_load_b64 v[0:1], v[0:1], off
	s_wait_loadcnt 0x0
	ds_store_b64 v33, v[0:1]
.LBB108_69:                             ;   in Loop: Header=BB108_67 Depth=2
	s_wait_xcnt 0x0
	s_or_b32 exec_lo, exec_lo, vcc_lo
	v_add_nc_u64_e32 v[0:1], s[56:57], v[54:55]
	s_wait_dscnt 0x0
	s_barrier_signal -1
	s_barrier_wait -1
	s_clause 0x1
	global_load_b64 v[56:57], v[54:55], off
	global_load_b64 v[58:59], v[0:1], off
	s_wait_xcnt 0x0
	v_add_nc_u64_e32 v[0:1], s[60:61], v[54:55]
	global_load_b64 v[60:61], v[0:1], off
	s_wait_xcnt 0x0
	v_add_nc_u64_e32 v[0:1], s[62:63], v[54:55]
	global_load_b64 v[62:63], v[0:1], off
	ds_load_b64 v[8:9], v89
	ds_load_b128 v[4:7], v96
	s_wait_xcnt 0x0
	ds_load_b128 v[0:3], v96 offset:16
	s_wait_loadcnt_dscnt 0x302
	v_mul_f64_e32 v[10:11], v[56:57], v[8:9]
	s_wait_loadcnt 0x2
	v_mul_f64_e32 v[12:13], v[58:59], v[8:9]
	ds_store_2addr_b64 v97, v[10:11], v[12:13] offset1:67
	s_wait_loadcnt 0x1
	v_mul_f64_e32 v[10:11], v[60:61], v[8:9]
	s_wait_loadcnt 0x0
	v_mul_f64_e32 v[8:9], v[62:63], v[8:9]
	ds_store_2addr_b64 v97, v[10:11], v[8:9] offset0:134 offset1:201
	s_wait_dscnt 0x0
	s_barrier_signal -1
	s_barrier_wait -1
	ds_load_2addr_b64 v[8:11], v98 offset1:1
	s_wait_dscnt 0x0
	v_add_f64_e32 v[8:9], 0, v[8:9]
	s_delay_alu instid0(VALU_DEP_1)
	v_add_f64_e32 v[12:13], v[8:9], v[10:11]
	ds_load_2addr_b64 v[8:11], v98 offset0:2 offset1:3
	s_wait_dscnt 0x0
	s_barrier_signal -1
	s_barrier_wait -1
	v_add_f64_e32 v[8:9], v[12:13], v[8:9]
	s_delay_alu instid0(VALU_DEP_1)
	v_add_f64_e32 v[114:115], v[8:9], v[10:11]
	v_add_nc_u64_e32 v[8:9], s[86:87], v[54:55]
	global_load_b64 v[64:65], v[8:9], off
	s_wait_xcnt 0x0
	v_add_nc_u64_e32 v[8:9], s[84:85], v[54:55]
	global_load_b64 v[66:67], v[8:9], off
	s_wait_xcnt 0x0
	v_add_nc_u64_e32 v[8:9], s[64:65], v[54:55]
	global_load_b64 v[68:69], v[8:9], off
	s_wait_xcnt 0x0
	v_add_nc_u64_e32 v[8:9], s[66:67], v[54:55]
	global_load_b64 v[70:71], v[8:9], off
	ds_load_b64 v[16:17], v89
	ds_load_b128 v[12:15], v96 offset:128
	s_wait_xcnt 0x0
	ds_load_b128 v[8:11], v96 offset:144
	s_wait_loadcnt_dscnt 0x302
	v_mul_f64_e32 v[18:19], v[64:65], v[16:17]
	s_wait_loadcnt 0x2
	v_mul_f64_e32 v[20:21], v[66:67], v[16:17]
	ds_store_2addr_b64 v97, v[18:19], v[20:21] offset1:67
	s_wait_loadcnt 0x1
	v_mul_f64_e32 v[18:19], v[68:69], v[16:17]
	s_wait_loadcnt 0x0
	v_mul_f64_e32 v[16:17], v[70:71], v[16:17]
	ds_store_2addr_b64 v97, v[18:19], v[16:17] offset0:134 offset1:201
	s_wait_dscnt 0x0
	s_barrier_signal -1
	s_barrier_wait -1
	ds_load_2addr_b64 v[16:19], v98 offset1:1
	s_wait_dscnt 0x0
	v_add_f64_e32 v[16:17], 0, v[16:17]
	s_delay_alu instid0(VALU_DEP_1)
	v_add_f64_e32 v[20:21], v[16:17], v[18:19]
	ds_load_2addr_b64 v[16:19], v98 offset0:2 offset1:3
	s_wait_dscnt 0x0
	s_barrier_signal -1
	s_barrier_wait -1
	v_add_f64_e32 v[16:17], v[20:21], v[16:17]
	s_delay_alu instid0(VALU_DEP_1)
	v_add_f64_e32 v[116:117], v[16:17], v[18:19]
	v_add_nc_u64_e32 v[16:17], s[82:83], v[54:55]
	global_load_b64 v[72:73], v[16:17], off
	s_wait_xcnt 0x0
	v_add_nc_u64_e32 v[16:17], s[80:81], v[54:55]
	global_load_b64 v[74:75], v[16:17], off
	s_wait_xcnt 0x0
	v_add_nc_u64_e32 v[16:17], s[68:69], v[54:55]
	global_load_b64 v[76:77], v[16:17], off
	s_wait_xcnt 0x0
	v_add_nc_u64_e32 v[16:17], s[70:71], v[54:55]
	global_load_b64 v[78:79], v[16:17], off
	ds_load_b64 v[24:25], v89
	ds_load_b128 v[20:23], v96 offset:256
	;; [unrolled: 40-line block ×3, first 2 shown]
	s_wait_xcnt 0x0
	ds_load_b128 v[24:27], v96 offset:400
	s_wait_loadcnt_dscnt 0x302
	v_mul_f64_e32 v[112:113], v[80:81], v[110:111]
	s_wait_loadcnt 0x2
	v_mul_f64_e32 v[120:121], v[82:83], v[110:111]
	ds_store_2addr_b64 v97, v[112:113], v[120:121] offset1:67
	s_wait_loadcnt 0x1
	v_mul_f64_e32 v[112:113], v[84:85], v[110:111]
	s_wait_loadcnt 0x0
	v_mul_f64_e32 v[110:111], v[86:87], v[110:111]
	ds_store_2addr_b64 v97, v[112:113], v[110:111] offset0:134 offset1:201
	s_wait_dscnt 0x0
	s_barrier_signal -1
	s_barrier_wait -1
	ds_load_2addr_b64 v[110:113], v98 offset1:1
	s_wait_dscnt 0x0
	v_add_f64_e32 v[110:111], 0, v[110:111]
	s_delay_alu instid0(VALU_DEP_1)
	v_add_f64_e32 v[120:121], v[110:111], v[112:113]
	ds_load_2addr_b64 v[110:113], v98 offset0:2 offset1:3
	s_wait_dscnt 0x0
	s_barrier_signal -1
	s_barrier_wait -1
	v_add_f64_e32 v[110:111], v[120:121], v[110:111]
	s_delay_alu instid0(VALU_DEP_1)
	v_add_f64_e32 v[110:111], v[110:111], v[112:113]
	ds_store_2addr_b64 v107, v[114:115], v[116:117] offset1:16
	ds_store_2addr_b64 v107, v[118:119], v[110:111] offset0:32 offset1:48
	s_wait_dscnt 0x0
	s_barrier_signal -1
	s_barrier_wait -1
	s_and_saveexec_b32 s99, s18
	s_cbranch_execz .LBB108_66
; %bb.70:                               ;   in Loop: Header=BB108_67 Depth=2
	ds_load_2addr_b64 v[110:113], v99 offset1:1
	ds_load_2addr_b64 v[114:117], v99 offset0:2 offset1:3
	s_wait_dscnt 0x1
	v_add_f64_e32 v[110:111], v[110:111], v[112:113]
	s_wait_dscnt 0x0
	s_delay_alu instid0(VALU_DEP_1) | instskip(NEXT) | instid1(VALU_DEP_1)
	v_add_f64_e32 v[110:111], v[110:111], v[114:115]
	v_add_f64_e32 v[118:119], v[110:111], v[116:117]
	ds_load_2addr_b64 v[110:113], v99 offset0:4 offset1:5
	ds_load_2addr_b64 v[114:117], v99 offset0:6 offset1:7
	s_wait_dscnt 0x1
	v_add_f64_e32 v[110:111], v[118:119], v[110:111]
	s_delay_alu instid0(VALU_DEP_1) | instskip(SKIP_1) | instid1(VALU_DEP_1)
	v_add_f64_e32 v[110:111], v[110:111], v[112:113]
	s_wait_dscnt 0x0
	v_add_f64_e32 v[110:111], v[110:111], v[114:115]
	s_delay_alu instid0(VALU_DEP_1) | instskip(SKIP_4) | instid1(VALU_DEP_1)
	v_add_f64_e32 v[118:119], v[110:111], v[116:117]
	ds_load_2addr_b64 v[110:113], v99 offset0:8 offset1:9
	ds_load_2addr_b64 v[114:117], v99 offset0:10 offset1:11
	s_wait_dscnt 0x1
	v_add_f64_e32 v[110:111], v[118:119], v[110:111]
	v_add_f64_e32 v[110:111], v[110:111], v[112:113]
	s_wait_dscnt 0x0
	s_delay_alu instid0(VALU_DEP_1) | instskip(NEXT) | instid1(VALU_DEP_1)
	v_add_f64_e32 v[110:111], v[110:111], v[114:115]
	v_add_f64_e32 v[114:115], v[110:111], v[116:117]
	ds_load_2addr_b64 v[110:113], v99 offset0:12 offset1:13
	ds_load_b64 v[116:117], v99 offset:112
	s_wait_dscnt 0x1
	v_add_f64_e32 v[110:111], v[114:115], v[110:111]
	s_delay_alu instid0(VALU_DEP_1) | instskip(SKIP_4) | instid1(VALU_DEP_1)
	v_add_f64_e32 v[110:111], v[110:111], v[112:113]
	ds_load_b64 v[112:113], v100
	s_wait_dscnt 0x1
	v_add_f64_e32 v[110:111], v[110:111], v[116:117]
	s_wait_dscnt 0x0
	v_add_f64_e32 v[110:111], v[110:111], v[112:113]
	global_store_b64 v108, v[110:111], s[96:97] scale_offset
	s_branch .LBB108_66
.LBB108_71:                             ;   in Loop: Header=BB108_4 Depth=1
	ds_store_b64 v101, v[50:51]
	s_wait_dscnt 0x0
	s_barrier_signal -1
	s_barrier_wait -1
	s_and_saveexec_b32 s19, s104
	s_cbranch_execz .LBB108_2
; %bb.72:                               ;   in Loop: Header=BB108_4 Depth=1
	ds_load_2addr_b64 v[0:3], v88 offset1:67
	s_wait_dscnt 0x0
	v_add_f64_e32 v[4:5], v[0:1], v[2:3]
	ds_load_2addr_b64 v[0:3], v88 offset0:134 offset1:201
	s_wait_dscnt 0x0
	v_add_f64_e32 v[0:1], v[4:5], v[0:1]
	s_delay_alu instid0(VALU_DEP_1)
	v_add_f64_e32 v[0:1], v[0:1], v[2:3]
	v_lshl_add_u64 v[2:3], v[36:37], 3, s[96:97]
	global_store_b64 v[2:3], v[0:1], off
	s_branch .LBB108_2
.LBB108_73:                             ;   in Loop: Header=BB108_4 Depth=1
	ds_load_b64 v[2:3], v104
	s_wait_dscnt 0x0
	ds_store_b64 v92, v[2:3]
	s_or_b32 exec_lo, exec_lo, s19
	s_and_saveexec_b32 s19, s7
	s_cbranch_execz .LBB108_24
.LBB108_74:                             ;   in Loop: Header=BB108_4 Depth=1
	ds_load_b64 v[2:3], v105
	s_wait_dscnt 0x0
	ds_store_b64 v92, v[2:3] offset:8
	s_or_b32 exec_lo, exec_lo, s19
	s_and_saveexec_b32 s19, s8
	s_cbranch_execz .LBB108_25
.LBB108_75:                             ;   in Loop: Header=BB108_4 Depth=1
	ds_load_b64 v[2:3], v105 offset:264
	s_wait_dscnt 0x0
	ds_store_b64 v92, v[2:3] offset:16
	s_or_b32 exec_lo, exec_lo, s19
	s_and_saveexec_b32 s19, s9
	s_cbranch_execnz .LBB108_26
	s_branch .LBB108_27
.LBB108_76:                             ;   in Loop: Header=BB108_4 Depth=1
	ds_load_b64 v[2:3], v104
	s_wait_dscnt 0x0
	ds_store_b64 v92, v[2:3]
	s_or_b32 exec_lo, exec_lo, s19
	s_and_saveexec_b32 s19, s7
	s_cbranch_execz .LBB108_43
.LBB108_77:                             ;   in Loop: Header=BB108_4 Depth=1
	ds_load_b64 v[2:3], v105
	s_wait_dscnt 0x0
	ds_store_b64 v92, v[2:3] offset:8
	s_or_b32 exec_lo, exec_lo, s19
	s_and_saveexec_b32 s19, s8
	s_cbranch_execz .LBB108_44
.LBB108_78:                             ;   in Loop: Header=BB108_4 Depth=1
	ds_load_b64 v[2:3], v105 offset:264
	s_wait_dscnt 0x0
	ds_store_b64 v92, v[2:3] offset:16
	s_or_b32 exec_lo, exec_lo, s19
	s_and_saveexec_b32 s19, s9
	s_cbranch_execnz .LBB108_45
	s_branch .LBB108_46
.LBB108_79:
	s_sendmsg sendmsg(MSG_DEALLOC_VGPRS)
	s_endpgm
	.section	.rodata,"a",@progbits
	.p2align	6, 0x0
	.amdhsa_kernel _ZL26rocblas_hemvn_kernel_lowerILb0ELi64ELi4ELi33ELi32ELi16EiPKdS1_PdEviT6_lT7_lT5_lS4_lS5_lS3_lT8_i
		.amdhsa_group_segment_fixed_size 9600
		.amdhsa_private_segment_fixed_size 0
		.amdhsa_kernarg_size 376
		.amdhsa_user_sgpr_count 2
		.amdhsa_user_sgpr_dispatch_ptr 0
		.amdhsa_user_sgpr_queue_ptr 0
		.amdhsa_user_sgpr_kernarg_segment_ptr 1
		.amdhsa_user_sgpr_dispatch_id 0
		.amdhsa_user_sgpr_kernarg_preload_length 0
		.amdhsa_user_sgpr_kernarg_preload_offset 0
		.amdhsa_user_sgpr_private_segment_size 0
		.amdhsa_wavefront_size32 1
		.amdhsa_uses_dynamic_stack 0
		.amdhsa_enable_private_segment 0
		.amdhsa_system_sgpr_workgroup_id_x 1
		.amdhsa_system_sgpr_workgroup_id_y 0
		.amdhsa_system_sgpr_workgroup_id_z 1
		.amdhsa_system_sgpr_workgroup_info 0
		.amdhsa_system_vgpr_workitem_id 1
		.amdhsa_next_free_vgpr 122
		.amdhsa_next_free_sgpr 105
		.amdhsa_named_barrier_count 0
		.amdhsa_reserve_vcc 1
		.amdhsa_float_round_mode_32 0
		.amdhsa_float_round_mode_16_64 0
		.amdhsa_float_denorm_mode_32 3
		.amdhsa_float_denorm_mode_16_64 3
		.amdhsa_fp16_overflow 0
		.amdhsa_memory_ordered 1
		.amdhsa_forward_progress 1
		.amdhsa_inst_pref_size 44
		.amdhsa_round_robin_scheduling 0
		.amdhsa_exception_fp_ieee_invalid_op 0
		.amdhsa_exception_fp_denorm_src 0
		.amdhsa_exception_fp_ieee_div_zero 0
		.amdhsa_exception_fp_ieee_overflow 0
		.amdhsa_exception_fp_ieee_underflow 0
		.amdhsa_exception_fp_ieee_inexact 0
		.amdhsa_exception_int_div_zero 0
	.end_amdhsa_kernel
	.section	.text._ZL26rocblas_hemvn_kernel_lowerILb0ELi64ELi4ELi33ELi32ELi16EiPKdS1_PdEviT6_lT7_lT5_lS4_lS5_lS3_lT8_i,"axG",@progbits,_ZL26rocblas_hemvn_kernel_lowerILb0ELi64ELi4ELi33ELi32ELi16EiPKdS1_PdEviT6_lT7_lT5_lS4_lS5_lS3_lT8_i,comdat
.Lfunc_end108:
	.size	_ZL26rocblas_hemvn_kernel_lowerILb0ELi64ELi4ELi33ELi32ELi16EiPKdS1_PdEviT6_lT7_lT5_lS4_lS5_lS3_lT8_i, .Lfunc_end108-_ZL26rocblas_hemvn_kernel_lowerILb0ELi64ELi4ELi33ELi32ELi16EiPKdS1_PdEviT6_lT7_lT5_lS4_lS5_lS3_lT8_i
                                        ; -- End function
	.set _ZL26rocblas_hemvn_kernel_lowerILb0ELi64ELi4ELi33ELi32ELi16EiPKdS1_PdEviT6_lT7_lT5_lS4_lS5_lS3_lT8_i.num_vgpr, 122
	.set _ZL26rocblas_hemvn_kernel_lowerILb0ELi64ELi4ELi33ELi32ELi16EiPKdS1_PdEviT6_lT7_lT5_lS4_lS5_lS3_lT8_i.num_agpr, 0
	.set _ZL26rocblas_hemvn_kernel_lowerILb0ELi64ELi4ELi33ELi32ELi16EiPKdS1_PdEviT6_lT7_lT5_lS4_lS5_lS3_lT8_i.numbered_sgpr, 105
	.set _ZL26rocblas_hemvn_kernel_lowerILb0ELi64ELi4ELi33ELi32ELi16EiPKdS1_PdEviT6_lT7_lT5_lS4_lS5_lS3_lT8_i.num_named_barrier, 0
	.set _ZL26rocblas_hemvn_kernel_lowerILb0ELi64ELi4ELi33ELi32ELi16EiPKdS1_PdEviT6_lT7_lT5_lS4_lS5_lS3_lT8_i.private_seg_size, 0
	.set _ZL26rocblas_hemvn_kernel_lowerILb0ELi64ELi4ELi33ELi32ELi16EiPKdS1_PdEviT6_lT7_lT5_lS4_lS5_lS3_lT8_i.uses_vcc, 1
	.set _ZL26rocblas_hemvn_kernel_lowerILb0ELi64ELi4ELi33ELi32ELi16EiPKdS1_PdEviT6_lT7_lT5_lS4_lS5_lS3_lT8_i.uses_flat_scratch, 0
	.set _ZL26rocblas_hemvn_kernel_lowerILb0ELi64ELi4ELi33ELi32ELi16EiPKdS1_PdEviT6_lT7_lT5_lS4_lS5_lS3_lT8_i.has_dyn_sized_stack, 0
	.set _ZL26rocblas_hemvn_kernel_lowerILb0ELi64ELi4ELi33ELi32ELi16EiPKdS1_PdEviT6_lT7_lT5_lS4_lS5_lS3_lT8_i.has_recursion, 0
	.set _ZL26rocblas_hemvn_kernel_lowerILb0ELi64ELi4ELi33ELi32ELi16EiPKdS1_PdEviT6_lT7_lT5_lS4_lS5_lS3_lT8_i.has_indirect_call, 0
	.section	.AMDGPU.csdata,"",@progbits
; Kernel info:
; codeLenInByte = 5532
; TotalNumSgprs: 107
; NumVgprs: 122
; ScratchSize: 0
; MemoryBound: 0
; FloatMode: 240
; IeeeMode: 1
; LDSByteSize: 9600 bytes/workgroup (compile time only)
; SGPRBlocks: 0
; VGPRBlocks: 7
; NumSGPRsForWavesPerEU: 107
; NumVGPRsForWavesPerEU: 122
; NamedBarCnt: 0
; Occupancy: 8
; WaveLimiterHint : 0
; COMPUTE_PGM_RSRC2:SCRATCH_EN: 0
; COMPUTE_PGM_RSRC2:USER_SGPR: 2
; COMPUTE_PGM_RSRC2:TRAP_HANDLER: 0
; COMPUTE_PGM_RSRC2:TGID_X_EN: 1
; COMPUTE_PGM_RSRC2:TGID_Y_EN: 0
; COMPUTE_PGM_RSRC2:TGID_Z_EN: 1
; COMPUTE_PGM_RSRC2:TIDIG_COMP_CNT: 1
	.section	.text._ZL36rocblas_hemvn_kernel_lower_block_sumILi64EiPKdPddEviT1_lS3_lT2_lT0_lPT3_i,"axG",@progbits,_ZL36rocblas_hemvn_kernel_lower_block_sumILi64EiPKdPddEviT1_lS3_lT2_lT0_lPT3_i,comdat
	.globl	_ZL36rocblas_hemvn_kernel_lower_block_sumILi64EiPKdPddEviT1_lS3_lT2_lT0_lPT3_i ; -- Begin function _ZL36rocblas_hemvn_kernel_lower_block_sumILi64EiPKdPddEviT1_lS3_lT2_lT0_lPT3_i
	.p2align	8
	.type	_ZL36rocblas_hemvn_kernel_lower_block_sumILi64EiPKdPddEviT1_lS3_lT2_lT0_lPT3_i,@function
_ZL36rocblas_hemvn_kernel_lower_block_sumILi64EiPKdPddEviT1_lS3_lT2_lT0_lPT3_i: ; @_ZL36rocblas_hemvn_kernel_lower_block_sumILi64EiPKdPddEviT1_lS3_lT2_lT0_lPT3_i
; %bb.0:
	s_load_b32 s3, s[0:1], 0x50
	s_bfe_u32 s2, ttmp6, 0x40014
	s_lshr_b32 s4, ttmp7, 16
	s_add_co_i32 s2, s2, 1
	s_bfe_u32 s6, ttmp6, 0x40008
	s_mul_i32 s5, s4, s2
	s_getreg_b32 s2, hwreg(HW_REG_IB_STS2, 6, 4)
	s_add_co_i32 s6, s6, s5
	s_cmp_eq_u32 s2, 0
	s_mov_b32 s17, 0
	s_cselect_b32 s16, s4, s6
	s_wait_kmcnt 0x0
	s_cmp_ge_u32 s16, s3
	s_cbranch_scc1 .LBB109_24
; %bb.1:
	s_clause 0x1
	s_load_b128 s[20:23], s[0:1], 0x28
	s_load_b32 s24, s[0:1], 0x0
	s_bfe_u32 s4, ttmp6, 0x4000c
	s_clause 0x1
	s_load_b32 s25, s[0:1], 0x38
	s_load_b128 s[12:15], s[0:1], 0x40
	s_add_co_i32 s4, s4, 1
	s_and_b32 s5, ttmp6, 15
	s_mul_i32 s4, ttmp9, s4
	s_delay_alu instid0(SALU_CYCLE_1)
	s_add_co_i32 s5, s5, s4
	s_wait_kmcnt 0x0
	s_lshl_b64 s[18:19], s[22:23], 3
	s_cmp_eq_u32 s2, 0
	s_add_nc_u64 s[18:19], s[20:21], s[18:19]
	s_cselect_b32 s28, ttmp9, s5
	s_load_b256 s[4:11], s[0:1], 0x8
	v_lshl_or_b32 v1, s28, 6, v0
	s_wait_xcnt 0x0
	s_add_nc_u64 s[0:1], s[0:1], 0x58
	s_delay_alu instid0(VALU_DEP_1) | instskip(SKIP_4) | instid1(VALU_DEP_1)
	v_mad_u32 v2, s24, s28, v1
	v_mul_lo_u32 v0, s25, v1
	v_cmp_gt_i32_e64 s2, s24, v1
	s_ashr_i32 s25, s24, 31
	v_dual_ashrrev_i32 v3, 31, v2 :: v_dual_ashrrev_i32 v1, 31, v0
	v_lshl_add_u64 v[2:3], v[2:3], 3, s[14:15]
	s_lshl_b64 s[14:15], s[24:25], 3
	s_branch .LBB109_4
.LBB109_2:                              ;   in Loop: Header=BB109_4 Depth=1
	s_wait_xcnt 0x0
	s_or_b32 exec_lo, exec_lo, s22
.LBB109_3:                              ;   in Loop: Header=BB109_4 Depth=1
	s_add_co_i32 s16, s16, 0x10000
	s_delay_alu instid0(SALU_CYCLE_1)
	s_cmp_lt_u32 s16, s3
	s_cbranch_scc0 .LBB109_24
.LBB109_4:                              ; =>This Loop Header: Depth=1
                                        ;     Child Loop BB109_15 Depth 2
	s_wait_kmcnt 0x0
	s_mul_u64 s[20:21], s[6:7], s[16:17]
	s_mul_u64 s[22:23], s[10:11], s[16:17]
	s_lshl_b64 s[20:21], s[20:21], 3
	s_lshl_b64 s[22:23], s[22:23], 3
	s_add_nc_u64 s[20:21], s[4:5], s[20:21]
	s_add_nc_u64 s[26:27], s[8:9], s[22:23]
	s_load_b64 s[22:23], s[20:21], 0x0
	s_load_b64 s[24:25], s[26:27], 0x0
	s_wait_kmcnt 0x0
	s_wait_xcnt 0x0
	v_cmp_eq_f64_e64 s20, s[22:23], 0
	v_cmp_eq_f64_e64 s21, s[24:25], 1.0
	s_and_b32 s20, s20, s21
	s_delay_alu instid0(SALU_CYCLE_1)
	s_and_b32 vcc_lo, exec_lo, s20
	s_cbranch_vccnz .LBB109_3
; %bb.5:                                ;   in Loop: Header=BB109_4 Depth=1
	v_cmp_neq_f64_e64 s26, s[22:23], 0
	s_mul_u64 s[20:21], s[12:13], s[16:17]
	s_delay_alu instid0(SALU_CYCLE_1) | instskip(NEXT) | instid1(SALU_CYCLE_1)
	s_lshl_b64 s[20:21], s[20:21], 3
	s_add_nc_u64 s[20:21], s[18:19], s[20:21]
	s_and_b32 vcc_lo, exec_lo, s26
	s_cbranch_vccnz .LBB109_10
; %bb.6:                                ;   in Loop: Header=BB109_4 Depth=1
	s_mov_b32 s26, 0
	s_mov_b32 s29, 0
                                        ; implicit-def: $vgpr4_vgpr5
	s_and_saveexec_b32 s27, s2
	s_cbranch_execz .LBB109_11
; %bb.7:                                ;   in Loop: Header=BB109_4 Depth=1
	v_cmp_eq_f64_e64 s29, s[24:25], 0
	v_mov_b64_e32 v[4:5], 0
	s_and_b32 vcc_lo, exec_lo, s29
	s_cbranch_vccnz .LBB109_9
; %bb.8:                                ;   in Loop: Header=BB109_4 Depth=1
	v_lshl_add_u64 v[4:5], v[0:1], 3, s[20:21]
	global_load_b64 v[4:5], v[4:5], off
	s_wait_loadcnt 0x0
	s_wait_xcnt 0x0
	v_mul_f64_e32 v[4:5], s[24:25], v[4:5]
.LBB109_9:                              ;   in Loop: Header=BB109_4 Depth=1
	s_mov_b32 s29, exec_lo
	s_or_b32 exec_lo, exec_lo, s27
	s_delay_alu instid0(SALU_CYCLE_1)
	s_and_b32 vcc_lo, exec_lo, s26
	s_cbranch_vccnz .LBB109_12
	s_branch .LBB109_21
.LBB109_10:                             ;   in Loop: Header=BB109_4 Depth=1
	s_mov_b32 s29, 0
                                        ; implicit-def: $vgpr4_vgpr5
	s_cbranch_execnz .LBB109_12
	s_branch .LBB109_21
.LBB109_11:                             ;   in Loop: Header=BB109_4 Depth=1
	s_or_b32 exec_lo, exec_lo, s27
	s_delay_alu instid0(SALU_CYCLE_1)
	s_and_b32 vcc_lo, exec_lo, s26
	s_cbranch_vccz .LBB109_21
.LBB109_12:                             ;   in Loop: Header=BB109_4 Depth=1
                                        ; implicit-def: $vgpr4_vgpr5
	s_and_saveexec_b32 s30, s2
	s_cbranch_execz .LBB109_20
; %bb.13:                               ;   in Loop: Header=BB109_4 Depth=1
	s_load_b32 s26, s[0:1], 0x0
	v_mov_b64_e32 v[6:7], 0
	s_wait_kmcnt 0x0
	s_cmp_ge_i32 s28, s26
	s_cbranch_scc1 .LBB109_16
; %bb.14:                               ;   in Loop: Header=BB109_4 Depth=1
	s_mov_b32 s27, s17
	v_mov_b64_e32 v[6:7], 0
	s_mul_u64 s[34:35], s[14:15], s[26:27]
	s_mov_b32 s27, s28
	v_mad_nc_u64_u32 v[4:5], s34, s16, v[2:3]
	s_delay_alu instid0(VALU_DEP_1)
	v_mad_u32 v5, s35, s16, v5
.LBB109_15:                             ;   Parent Loop BB109_4 Depth=1
                                        ; =>  This Inner Loop Header: Depth=2
	global_load_b64 v[8:9], v[4:5], off
	s_wait_xcnt 0x0
	v_add_nc_u64_e32 v[4:5], s[14:15], v[4:5]
	s_add_co_i32 s27, s27, 1
	s_delay_alu instid0(SALU_CYCLE_1)
	s_cmp_ge_i32 s27, s26
	s_wait_loadcnt 0x0
	v_add_f64_e32 v[6:7], v[6:7], v[8:9]
	s_cbranch_scc0 .LBB109_15
.LBB109_16:                             ;   in Loop: Header=BB109_4 Depth=1
	v_cmp_eq_f64_e64 s26, s[24:25], 0
	s_and_b32 vcc_lo, exec_lo, s26
	s_cbranch_vccz .LBB109_23
; %bb.17:                               ;   in Loop: Header=BB109_4 Depth=1
	v_mul_f64_e32 v[4:5], s[22:23], v[6:7]
	s_cbranch_execnz .LBB109_19
.LBB109_18:                             ;   in Loop: Header=BB109_4 Depth=1
	v_lshl_add_u64 v[4:5], v[0:1], 3, s[20:21]
	global_load_b64 v[4:5], v[4:5], off
	s_wait_loadcnt 0x0
	s_wait_xcnt 0x0
	v_mul_f64_e32 v[4:5], s[24:25], v[4:5]
	s_delay_alu instid0(VALU_DEP_1)
	v_fmac_f64_e32 v[4:5], s[22:23], v[6:7]
.LBB109_19:                             ;   in Loop: Header=BB109_4 Depth=1
	s_or_b32 s29, s29, exec_lo
.LBB109_20:                             ;   in Loop: Header=BB109_4 Depth=1
	s_or_b32 exec_lo, exec_lo, s30
.LBB109_21:                             ;   in Loop: Header=BB109_4 Depth=1
	s_and_saveexec_b32 s22, s29
	s_cbranch_execz .LBB109_2
; %bb.22:                               ;   in Loop: Header=BB109_4 Depth=1
	v_lshl_add_u64 v[6:7], v[0:1], 3, s[20:21]
	global_store_b64 v[6:7], v[4:5], off
	s_branch .LBB109_2
.LBB109_23:                             ;   in Loop: Header=BB109_4 Depth=1
                                        ; implicit-def: $vgpr4_vgpr5
	s_branch .LBB109_18
.LBB109_24:
	s_endpgm
	.section	.rodata,"a",@progbits
	.p2align	6, 0x0
	.amdhsa_kernel _ZL36rocblas_hemvn_kernel_lower_block_sumILi64EiPKdPddEviT1_lS3_lT2_lT0_lPT3_i
		.amdhsa_group_segment_fixed_size 0
		.amdhsa_private_segment_fixed_size 0
		.amdhsa_kernarg_size 344
		.amdhsa_user_sgpr_count 2
		.amdhsa_user_sgpr_dispatch_ptr 0
		.amdhsa_user_sgpr_queue_ptr 0
		.amdhsa_user_sgpr_kernarg_segment_ptr 1
		.amdhsa_user_sgpr_dispatch_id 0
		.amdhsa_user_sgpr_kernarg_preload_length 0
		.amdhsa_user_sgpr_kernarg_preload_offset 0
		.amdhsa_user_sgpr_private_segment_size 0
		.amdhsa_wavefront_size32 1
		.amdhsa_uses_dynamic_stack 0
		.amdhsa_enable_private_segment 0
		.amdhsa_system_sgpr_workgroup_id_x 1
		.amdhsa_system_sgpr_workgroup_id_y 0
		.amdhsa_system_sgpr_workgroup_id_z 1
		.amdhsa_system_sgpr_workgroup_info 0
		.amdhsa_system_vgpr_workitem_id 0
		.amdhsa_next_free_vgpr 10
		.amdhsa_next_free_sgpr 36
		.amdhsa_named_barrier_count 0
		.amdhsa_reserve_vcc 1
		.amdhsa_float_round_mode_32 0
		.amdhsa_float_round_mode_16_64 0
		.amdhsa_float_denorm_mode_32 3
		.amdhsa_float_denorm_mode_16_64 3
		.amdhsa_fp16_overflow 0
		.amdhsa_memory_ordered 1
		.amdhsa_forward_progress 1
		.amdhsa_inst_pref_size 6
		.amdhsa_round_robin_scheduling 0
		.amdhsa_exception_fp_ieee_invalid_op 0
		.amdhsa_exception_fp_denorm_src 0
		.amdhsa_exception_fp_ieee_div_zero 0
		.amdhsa_exception_fp_ieee_overflow 0
		.amdhsa_exception_fp_ieee_underflow 0
		.amdhsa_exception_fp_ieee_inexact 0
		.amdhsa_exception_int_div_zero 0
	.end_amdhsa_kernel
	.section	.text._ZL36rocblas_hemvn_kernel_lower_block_sumILi64EiPKdPddEviT1_lS3_lT2_lT0_lPT3_i,"axG",@progbits,_ZL36rocblas_hemvn_kernel_lower_block_sumILi64EiPKdPddEviT1_lS3_lT2_lT0_lPT3_i,comdat
.Lfunc_end109:
	.size	_ZL36rocblas_hemvn_kernel_lower_block_sumILi64EiPKdPddEviT1_lS3_lT2_lT0_lPT3_i, .Lfunc_end109-_ZL36rocblas_hemvn_kernel_lower_block_sumILi64EiPKdPddEviT1_lS3_lT2_lT0_lPT3_i
                                        ; -- End function
	.set _ZL36rocblas_hemvn_kernel_lower_block_sumILi64EiPKdPddEviT1_lS3_lT2_lT0_lPT3_i.num_vgpr, 10
	.set _ZL36rocblas_hemvn_kernel_lower_block_sumILi64EiPKdPddEviT1_lS3_lT2_lT0_lPT3_i.num_agpr, 0
	.set _ZL36rocblas_hemvn_kernel_lower_block_sumILi64EiPKdPddEviT1_lS3_lT2_lT0_lPT3_i.numbered_sgpr, 36
	.set _ZL36rocblas_hemvn_kernel_lower_block_sumILi64EiPKdPddEviT1_lS3_lT2_lT0_lPT3_i.num_named_barrier, 0
	.set _ZL36rocblas_hemvn_kernel_lower_block_sumILi64EiPKdPddEviT1_lS3_lT2_lT0_lPT3_i.private_seg_size, 0
	.set _ZL36rocblas_hemvn_kernel_lower_block_sumILi64EiPKdPddEviT1_lS3_lT2_lT0_lPT3_i.uses_vcc, 1
	.set _ZL36rocblas_hemvn_kernel_lower_block_sumILi64EiPKdPddEviT1_lS3_lT2_lT0_lPT3_i.uses_flat_scratch, 0
	.set _ZL36rocblas_hemvn_kernel_lower_block_sumILi64EiPKdPddEviT1_lS3_lT2_lT0_lPT3_i.has_dyn_sized_stack, 0
	.set _ZL36rocblas_hemvn_kernel_lower_block_sumILi64EiPKdPddEviT1_lS3_lT2_lT0_lPT3_i.has_recursion, 0
	.set _ZL36rocblas_hemvn_kernel_lower_block_sumILi64EiPKdPddEviT1_lS3_lT2_lT0_lPT3_i.has_indirect_call, 0
	.section	.AMDGPU.csdata,"",@progbits
; Kernel info:
; codeLenInByte = 732
; TotalNumSgprs: 38
; NumVgprs: 10
; ScratchSize: 0
; MemoryBound: 0
; FloatMode: 240
; IeeeMode: 1
; LDSByteSize: 0 bytes/workgroup (compile time only)
; SGPRBlocks: 0
; VGPRBlocks: 0
; NumSGPRsForWavesPerEU: 38
; NumVGPRsForWavesPerEU: 10
; NamedBarCnt: 0
; Occupancy: 16
; WaveLimiterHint : 0
; COMPUTE_PGM_RSRC2:SCRATCH_EN: 0
; COMPUTE_PGM_RSRC2:USER_SGPR: 2
; COMPUTE_PGM_RSRC2:TRAP_HANDLER: 0
; COMPUTE_PGM_RSRC2:TGID_X_EN: 1
; COMPUTE_PGM_RSRC2:TGID_Y_EN: 0
; COMPUTE_PGM_RSRC2:TGID_Z_EN: 1
; COMPUTE_PGM_RSRC2:TIDIG_COMP_CNT: 0
	.section	.text._ZL26rocblas_hemvn_kernel_lowerILb0ELi64ELi4ELi33ELi32ELi16EldPKdPdEviT6_lT7_lT5_lS4_lS5_lS3_lT8_i,"axG",@progbits,_ZL26rocblas_hemvn_kernel_lowerILb0ELi64ELi4ELi33ELi32ELi16EldPKdPdEviT6_lT7_lT5_lS4_lS5_lS3_lT8_i,comdat
	.globl	_ZL26rocblas_hemvn_kernel_lowerILb0ELi64ELi4ELi33ELi32ELi16EldPKdPdEviT6_lT7_lT5_lS4_lS5_lS3_lT8_i ; -- Begin function _ZL26rocblas_hemvn_kernel_lowerILb0ELi64ELi4ELi33ELi32ELi16EldPKdPdEviT6_lT7_lT5_lS4_lS5_lS3_lT8_i
	.p2align	8
	.type	_ZL26rocblas_hemvn_kernel_lowerILb0ELi64ELi4ELi33ELi32ELi16EldPKdPdEviT6_lT7_lT5_lS4_lS5_lS3_lT8_i,@function
_ZL26rocblas_hemvn_kernel_lowerILb0ELi64ELi4ELi33ELi32ELi16EldPKdPdEviT6_lT7_lT5_lS4_lS5_lS3_lT8_i: ; @_ZL26rocblas_hemvn_kernel_lowerILb0ELi64ELi4ELi33ELi32ELi16EldPKdPdEviT6_lT7_lT5_lS4_lS5_lS3_lT8_i
; %bb.0:
	s_clause 0x1
	s_load_b64 s[2:3], s[0:1], 0x84
	s_load_b32 s33, s[0:1], 0x70
	s_bfe_u32 s4, ttmp6, 0x40014
	s_lshr_b32 s5, ttmp7, 16
	s_add_co_i32 s4, s4, 1
	s_bfe_u32 s7, ttmp6, 0x40008
	s_mul_i32 s4, s5, s4
	s_getreg_b32 s6, hwreg(HW_REG_IB_STS2, 6, 4)
	s_add_co_i32 s7, s7, s4
	s_mov_b32 s37, 0
	s_wait_kmcnt 0x0
	s_lshr_b32 s4, s2, 16
	s_and_b32 s2, s2, 0xffff
	s_and_b32 s3, s3, 0xffff
	s_mul_i32 s2, s4, s2
	s_cmp_eq_u32 s6, 0
	s_mul_i32 s2, s2, s3
	s_cselect_b32 s34, s5, s7
	s_cmp_lg_u32 s2, 0x100
	s_cselect_b32 s2, -1, 0
	s_cmp_ge_u32 s34, s33
	s_cselect_b32 s3, -1, 0
	s_delay_alu instid0(SALU_CYCLE_1) | instskip(NEXT) | instid1(SALU_CYCLE_1)
	s_or_b32 s2, s2, s3
	s_and_b32 vcc_lo, exec_lo, s2
	s_cbranch_vccnz .LBB110_79
; %bb.1:
	s_clause 0x2
	s_load_b64 s[8:9], s[0:1], 0x58
	s_load_b64 s[10:11], s[0:1], 0x8
	s_load_b32 s4, s[0:1], 0x0
	s_add_nc_u64 s[12:13], s[0:1], 0x78
	s_clause 0x1
	s_load_b512 s[16:31], s[0:1], 0x18
	s_load_b64 s[2:3], s[0:1], 0x68
	s_wait_xcnt 0x0
	s_bfe_u32 s0, ttmp6, 0x4000c
	v_and_b32_e32 v32, 0x3ff, v0
	s_add_co_i32 s0, s0, 1
	v_bfe_u32 v1, v0, 10, 10
	s_and_b32 s1, ttmp6, 15
	s_mul_i32 s5, ttmp9, s0
	s_load_b32 s36, s[12:13], 0x0
	s_add_co_i32 s1, s1, s5
	v_lshl_add_u32 v8, v1, 6, v32
	v_dual_mov_b32 v35, 0 :: v_dual_bitop2_b32 v34, 31, v0 bitop3:0x40
	v_lshlrev_b32_e32 v33, 3, v32
	v_cmp_eq_u32_e64 s0, 0, v1
	s_delay_alu instid0(VALU_DEP_3)
	v_dual_lshrrev_b32 v9, 5, v8 :: v_dual_lshlrev_b32 v10, 3, v34
	s_wait_kmcnt 0x0
	v_cmp_neq_f64_e64 s14, s[8:9], 1.0
	v_cmp_neq_f64_e64 s10, s[10:11], 0
	s_ashr_i32 s5, s4, 31
	s_cmp_eq_u32 s6, 0
	v_lshl_or_b32 v89, v34, 8, v10
	s_cselect_b32 s90, ttmp9, s1
	s_lshl_b64 s[6:7], s[26:27], 3
	s_lshl_b32 s50, s90, 6
	s_add_nc_u64 s[6:7], s[24:25], s[6:7]
	v_add_nc_u32_e32 v36, s50, v32
	s_lshr_b32 s1, s5, 26
	s_mul_u64 s[40:41], s[36:37], s[4:5]
	s_add_co_i32 s1, s4, s1
	s_add_co_i32 s5, s36, -1
	v_ashrrev_i32_e32 v37, 31, v36
	s_and_not1_b32 s1, s1, 63
	s_lshl_b64 s[8:9], s[18:19], 3
	s_sub_co_i32 s1, s4, s1
	s_mul_i32 s4, s4, s90
	v_mul_u64_e32 v[4:5], s[28:29], v[36:37]
	s_add_nc_u64 s[8:9], s[16:17], s[8:9]
	v_mul_u32_u24_e32 v16, 33, v34
	v_add_nc_u32_e32 v86, 0x2380, v33
	v_mad_u32_u24 v96, 0x860, v1, v33
	v_sub_nc_u64_e32 v[42:43], 0, v[34:35]
	v_add_nc_u32_e32 v94, 0x2180, v33
	v_lshl_add_u32 v95, v1, 5, 0x2180
	v_cmp_gt_u32_e64 s18, 64, v8
	v_mad_i32_i24 v100, 0xfffff9b8, v1, v96
	s_mul_u64 s[38:39], s[20:21], 0xc0
	s_mul_u64 s[62:63], s[20:21], 24
	;; [unrolled: 1-line block ×4, first 2 shown]
	s_or_b32 s19, s10, s14
	s_cmp_eq_u32 s90, s5
	v_cndmask_b32_e64 v87, 0, 1, s10
	s_cselect_b32 s24, s1, 0
	s_mul_u64 s[68:69], s[20:21], 0x110
	s_cmp_eq_u32 s24, 0
	v_cmp_gt_i32_e32 vcc_lo, s24, v32
	s_cselect_b32 s12, -1, 0
	s_ashr_i32 s5, s4, 31
	s_ashr_i32 s51, s50, 31
	s_lshl_b64 s[4:5], s[4:5], 3
	s_lshl_b64 s[10:11], s[50:51], 3
	s_add_nc_u64 s[26:27], s[2:3], s[4:5]
	s_add_nc_u64 s[2:3], s[8:9], s[10:11]
	s_mul_u64 s[52:53], s[20:21], s[50:51]
	s_or_b32 s91, s12, vcc_lo
	s_cmp_lg_u32 s24, 0
	v_cndmask_b32_e64 v88, 0, 1, s12
	v_lshl_add_u64 v[38:39], v[4:5], 3, s[6:7]
	v_lshlrev_b32_e32 v5, 2, v9
	s_cselect_b32 s17, -1, 0
	s_sub_co_i32 s15, s24, 32
	v_cmp_le_i32_e32 vcc_lo, s24, v32
	v_cmp_gt_i32_e64 s1, s24, v34
	v_or_b32_e32 v13, 1, v5
	v_mad_nc_u64_u32 v[2:3], s20, v9, v[34:35]
	v_dual_add_nc_u32 v4, 16, v9 :: v_dual_lshlrev_b32 v17, 3, v9
	v_add_nc_u32_e32 v12, 8, v9
	v_mul_u32_u24_e32 v11, 0x108, v9
	v_mul_u32_u24_e32 v14, 0x420, v9
	s_delay_alu instid0(VALU_DEP_4)
	v_cmp_gt_i32_e64 s4, s24, v4
	v_cmp_gt_i32_e64 s14, s15, v4
	v_lshlrev_b32_e32 v4, 2, v1
	v_cmp_gt_i32_e64 s12, s15, v9
	v_cmp_gt_i32_e64 s13, s15, v12
	v_mad_u32 v3, s21, v9, v3
	v_cmp_eq_u32_e64 s16, 1, v9
	v_cmp_lt_u32_e64 s7, v13, v34
	v_mul_u32_u24_e32 v13, 0x108, v13
	s_and_b32 s17, s17, vcc_lo
	s_lshl_b64 s[42:43], s[20:21], 6
	s_lshl_b64 s[44:45], s[20:21], 7
	s_ashr_i32 s25, s24, 31
	v_cmp_gt_u32_e64 s10, 32, v8
	s_lshl_b64 s[46:47], s[20:21], 5
	s_xor_b32 s35, s17, -1
	v_lshl_add_u64 v[6:7], v[2:3], 3, s[2:3]
	v_cmp_gt_i32_e64 s2, s24, v9
	v_sub_nc_u64_e32 v[44:45], 0, v[2:3]
	v_or_b32_e32 v3, 0x78, v33
	v_cmp_gt_i32_e64 s3, s24, v12
	v_lshl_add_u64 v[40:41], s[52:53], 3, v[6:7]
	v_and_b32_e32 v7, 0x7fe0, v8
	v_add_nc_u32_e32 v6, 24, v9
	v_cmp_lt_u32_e64 s6, v5, v34
	v_or_b32_e32 v15, 2, v5
	s_delay_alu instid0(VALU_DEP_4) | instskip(SKIP_3) | instid1(VALU_DEP_4)
	v_dual_add_nc_u32 v90, v89, v7 :: v_dual_bitop2_b32 v5, 3, v5 bitop3:0x54
	v_add_nc_u32_e32 v91, 0x2380, v7
	v_lshrrev_b32_e32 v7, 4, v8
	v_cmp_gt_i32_e64 s5, s24, v6
	v_cmp_lt_u32_e64 s9, v5, v34
	v_or_b32_e32 v5, 32, v34
	v_lshl_add_u32 v92, v16, 3, v17
	v_cmp_gt_i32_e64 s15, s15, v6
	v_mul_i32_i24_e32 v6, 0xffffffe8, v9
	v_lshlrev_b32_e32 v2, 5, v7
	v_cmp_gt_i32_e64 s11, s24, v5
	v_mov_b32_e32 v5, v35
	v_mad_u32_u24 v93, v9, 24, v92
	v_and_b32_e32 v9, 15, v0
	v_and_b32_e32 v0, 48, v0
	v_cmp_lt_u32_e64 s8, v15, v34
	v_mul_u64_e32 v[46:47], s[20:21], v[4:5]
	v_add_nc_u32_e32 v101, 0x2380, v17
	v_mad_u32_u24 v97, 0x218, v9, v2
	v_dual_lshlrev_b32 v0, 3, v0 :: v_dual_add_nc_u32 v102, v10, v11
	v_mul_i32_i24_e32 v2, 0xffffffe8, v7
	v_mad_u32_u24 v99, 0x218, v9, v3
	v_dual_add_nc_u32 v103, v10, v14 :: v_dual_add_nc_u32 v104, v10, v13
	s_delay_alu instid0(VALU_DEP_4)
	v_mad_u32_u24 v98, 0x218, v9, v0
	v_add_nc_u32_e32 v105, v91, v6
	v_add_nc_u32_e32 v106, v97, v2
	v_lshlrev_b32_e32 v34, 3, v34
	s_mul_u64 s[50:51], s[28:29], s[50:51]
	s_cmp_gt_i32 s90, 0
	s_sub_nc_u64 s[48:49], 0, s[46:47]
	s_sub_nc_u64 s[50:51], 0, s[50:51]
	s_cselect_b32 s92, -1, 0
	s_sub_nc_u64 s[52:53], 0, s[52:53]
	s_and_b32 s93, s0, s35
	s_sub_nc_u64 s[54:55], 0, s[24:25]
	s_lshl_b64 s[56:57], s[20:21], 3
	s_lshl_b64 s[58:59], s[20:21], 9
	;; [unrolled: 1-line block ×3, first 2 shown]
	s_mul_u64 s[70:71], s[20:21], 0x118
	s_mul_u64 s[72:73], s[20:21], 0x190
	;; [unrolled: 1-line block ×5, first 2 shown]
	s_mov_b64 s[80:81], 0xfffffffffffffef8
	s_mov_b64 s[82:83], 0xffffffffffffff00
	s_mul_u64 s[84:85], s[20:21], 0x108
	s_lshl_b64 s[86:87], s[20:21], 8
	s_mul_u64 s[20:21], s[20:21], 0x88
	s_branch .LBB110_4
.LBB110_2:                              ;   in Loop: Header=BB110_4 Depth=1
	s_wait_xcnt 0x0
	s_or_b32 exec_lo, exec_lo, s35
.LBB110_3:                              ;   in Loop: Header=BB110_4 Depth=1
	s_add_co_i32 s34, s34, 0x10000
	s_delay_alu instid0(SALU_CYCLE_1)
	s_cmp_lt_u32 s34, s33
	s_cbranch_scc0 .LBB110_79
.LBB110_4:                              ; =>This Loop Header: Depth=1
                                        ;     Child Loop BB110_67 Depth 2
	s_and_not1_b32 vcc_lo, exec_lo, s19
	s_cbranch_vccnz .LBB110_3
; %bb.5:                                ;   in Loop: Header=BB110_4 Depth=1
	v_cmp_ne_u32_e32 vcc_lo, 1, v87
	s_cbranch_vccnz .LBB110_3
; %bb.6:                                ;   in Loop: Header=BB110_4 Depth=1
	s_mov_b32 s35, s37
	s_delay_alu instid0(SALU_CYCLE_1) | instskip(NEXT) | instid1(SALU_CYCLE_1)
	s_mul_u64 s[88:89], s[30:31], s[34:35]
	v_lshl_add_u64 v[16:17], s[88:89], 3, v[38:39]
	s_and_saveexec_b32 s36, s0
	s_cbranch_execz .LBB110_10
; %bb.7:                                ;   in Loop: Header=BB110_4 Depth=1
	v_mov_b64_e32 v[0:1], 0
	s_and_saveexec_b32 s88, s91
	s_cbranch_execz .LBB110_9
; %bb.8:                                ;   in Loop: Header=BB110_4 Depth=1
	global_load_b64 v[0:1], v[16:17], off
.LBB110_9:                              ;   in Loop: Header=BB110_4 Depth=1
	s_wait_xcnt 0x0
	s_or_b32 exec_lo, exec_lo, s88
	s_wait_loadcnt 0x0
	ds_store_b64 v86, v[0:1]
.LBB110_10:                             ;   in Loop: Header=BB110_4 Depth=1
	s_or_b32 exec_lo, exec_lo, s36
	v_cmp_ne_u32_e32 vcc_lo, 1, v88
	s_mul_u64 s[88:89], s[22:23], s[34:35]
	s_mov_b32 s36, -1
	v_lshl_add_u64 v[0:1], s[88:89], 3, v[40:41]
	s_cbranch_vccnz .LBB110_12
; %bb.11:                               ;   in Loop: Header=BB110_4 Depth=1
	s_delay_alu instid0(VALU_DEP_1) | instskip(SKIP_1) | instid1(VALU_DEP_1)
	v_add_nc_u64_e32 v[2:3], s[42:43], v[0:1]
	s_mov_b32 s36, 0
	v_add_nc_u64_e32 v[4:5], s[42:43], v[2:3]
	s_delay_alu instid0(VALU_DEP_1)
	v_add_nc_u64_e32 v[6:7], s[42:43], v[4:5]
	s_clause 0x3
	global_load_b64 v[8:9], v[0:1], off
	global_load_b64 v[2:3], v[2:3], off
	;; [unrolled: 1-line block ×4, first 2 shown]
	s_wait_loadcnt 0x3
	ds_store_b64 v102, v[8:9]
	s_wait_loadcnt 0x2
	ds_store_b64 v102, v[2:3] offset:2112
	s_wait_loadcnt 0x1
	ds_store_b64 v102, v[4:5] offset:4224
	;; [unrolled: 2-line block ×3, first 2 shown]
.LBB110_12:                             ;   in Loop: Header=BB110_4 Depth=1
	s_and_not1_b32 vcc_lo, exec_lo, s36
	s_cbranch_vccnz .LBB110_22
; %bb.13:                               ;   in Loop: Header=BB110_4 Depth=1
	s_wait_xcnt 0x2
	v_lshl_add_u64 v[2:3], v[42:43], 3, v[0:1]
	s_wait_xcnt 0x0
	v_mov_b64_e32 v[6:7], 0
	v_mov_b64_e32 v[4:5], 0
	s_delay_alu instid0(VALU_DEP_3) | instskip(NEXT) | instid1(VALU_DEP_1)
	v_lshl_add_u64 v[2:3], s[24:25], 3, v[2:3]
	v_add_nc_u64_e32 v[2:3], -8, v[2:3]
	s_delay_alu instid0(VALU_DEP_1)
	v_dual_cndmask_b32 v3, v3, v1, s1 :: v_dual_cndmask_b32 v2, v2, v0, s1
	s_and_saveexec_b32 s36, s2
	s_cbranch_execz .LBB110_15
; %bb.14:                               ;   in Loop: Header=BB110_4 Depth=1
	global_load_b64 v[4:5], v[2:3], off
.LBB110_15:                             ;   in Loop: Header=BB110_4 Depth=1
	s_wait_xcnt 0x0
	s_or_b32 exec_lo, exec_lo, s36
	s_wait_loadcnt 0x0
	ds_store_b64 v102, v[4:5]
	s_and_saveexec_b32 s36, s3
	s_cbranch_execz .LBB110_17
; %bb.16:                               ;   in Loop: Header=BB110_4 Depth=1
	v_add_nc_u64_e32 v[4:5], s[42:43], v[2:3]
	global_load_b64 v[6:7], v[4:5], off
.LBB110_17:                             ;   in Loop: Header=BB110_4 Depth=1
	s_wait_xcnt 0x0
	s_or_b32 exec_lo, exec_lo, s36
	v_mov_b64_e32 v[4:5], 0
	v_mov_b64_e32 v[8:9], 0
	s_wait_loadcnt 0x0
	ds_store_b64 v102, v[6:7] offset:2112
	s_and_saveexec_b32 s36, s4
	s_cbranch_execz .LBB110_19
; %bb.18:                               ;   in Loop: Header=BB110_4 Depth=1
	v_add_nc_u64_e32 v[6:7], s[44:45], v[2:3]
	global_load_b64 v[8:9], v[6:7], off
.LBB110_19:                             ;   in Loop: Header=BB110_4 Depth=1
	s_wait_xcnt 0x0
	s_or_b32 exec_lo, exec_lo, s36
	s_wait_loadcnt 0x0
	ds_store_b64 v102, v[8:9] offset:4224
	s_and_saveexec_b32 s36, s5
	s_cbranch_execz .LBB110_21
; %bb.20:                               ;   in Loop: Header=BB110_4 Depth=1
	v_add_nc_u64_e32 v[4:5], s[38:39], v[2:3]
	global_load_b64 v[4:5], v[4:5], off
.LBB110_21:                             ;   in Loop: Header=BB110_4 Depth=1
	s_wait_xcnt 0x0
	s_or_b32 exec_lo, exec_lo, s36
	v_add_nc_u64_e32 v[2:3], v[2:3], v[34:35]
	s_wait_loadcnt 0x0
	ds_store_b64 v102, v[4:5] offset:6336
	v_lshl_add_u64 v[2:3], s[54:55], 3, v[2:3]
	s_delay_alu instid0(VALU_DEP_1) | instskip(NEXT) | instid1(VALU_DEP_1)
	v_add_nc_u64_e32 v[2:3], 8, v[2:3]
	v_dual_cndmask_b32 v1, v3, v1, s1 :: v_dual_cndmask_b32 v0, v2, v0, s1
.LBB110_22:                             ;   in Loop: Header=BB110_4 Depth=1
	s_wait_dscnt 0x0
	s_barrier_signal -1
	s_barrier_wait -1
	s_wait_xcnt 0x0
	s_and_saveexec_b32 s36, s6
	s_cbranch_execnz .LBB110_73
; %bb.23:                               ;   in Loop: Header=BB110_4 Depth=1
	s_or_b32 exec_lo, exec_lo, s36
	s_and_saveexec_b32 s36, s7
	s_cbranch_execnz .LBB110_74
.LBB110_24:                             ;   in Loop: Header=BB110_4 Depth=1
	s_or_b32 exec_lo, exec_lo, s36
	s_and_saveexec_b32 s36, s8
	s_cbranch_execnz .LBB110_75
.LBB110_25:                             ;   in Loop: Header=BB110_4 Depth=1
	s_or_b32 exec_lo, exec_lo, s36
	s_and_saveexec_b32 s36, s9
	s_cbranch_execz .LBB110_27
.LBB110_26:                             ;   in Loop: Header=BB110_4 Depth=1
	ds_load_b64 v[2:3], v104 offset:528
	s_wait_dscnt 0x0
	ds_store_b64 v90, v[2:3] offset:24
.LBB110_27:                             ;   in Loop: Header=BB110_4 Depth=1
	s_or_b32 exec_lo, exec_lo, s36
	s_wait_dscnt 0x0
	s_barrier_signal -1
	s_barrier_wait -1
	ds_load_b64 v[10:11], v103
	ds_load_b128 v[2:5], v91
	ds_load_b128 v[6:9], v91 offset:16
	ds_load_b64 v[14:15], v104 offset:528
	v_mov_b64_e32 v[48:49], 0
	s_wait_dscnt 0x2
	v_fma_f64 v[2:3], v[10:11], v[2:3], 0
	ds_load_2addr_b64 v[10:13], v104 offset1:33
	s_wait_dscnt 0x0
	s_barrier_signal -1
	s_barrier_wait -1
	v_fmac_f64_e32 v[2:3], v[10:11], v[4:5]
	s_delay_alu instid0(VALU_DEP_1) | instskip(NEXT) | instid1(VALU_DEP_1)
	v_fmac_f64_e32 v[2:3], v[12:13], v[6:7]
	v_fmac_f64_e32 v[2:3], v[14:15], v[8:9]
	ds_store_b64 v92, v[2:3]
	s_wait_dscnt 0x0
	s_barrier_signal -1
	s_barrier_wait -1
	s_and_saveexec_b32 s36, s10
	s_cbranch_execz .LBB110_29
; %bb.28:                               ;   in Loop: Header=BB110_4 Depth=1
	ds_load_2addr_b64 v[2:5], v89 offset1:1
	ds_load_2addr_b64 v[6:9], v89 offset0:2 offset1:3
	s_wait_dscnt 0x1
	v_add_f64_e32 v[2:3], v[2:3], v[4:5]
	s_wait_dscnt 0x0
	s_delay_alu instid0(VALU_DEP_1) | instskip(NEXT) | instid1(VALU_DEP_1)
	v_add_f64_e32 v[2:3], v[2:3], v[6:7]
	v_add_f64_e32 v[10:11], v[2:3], v[8:9]
	ds_load_2addr_b64 v[2:5], v89 offset0:4 offset1:5
	ds_load_2addr_b64 v[6:9], v89 offset0:6 offset1:7
	s_wait_dscnt 0x1
	v_add_f64_e32 v[2:3], v[10:11], v[2:3]
	s_delay_alu instid0(VALU_DEP_1) | instskip(SKIP_1) | instid1(VALU_DEP_1)
	v_add_f64_e32 v[2:3], v[2:3], v[4:5]
	s_wait_dscnt 0x0
	v_add_f64_e32 v[2:3], v[2:3], v[6:7]
	s_delay_alu instid0(VALU_DEP_1)
	v_add_f64_e32 v[48:49], v[2:3], v[8:9]
.LBB110_29:                             ;   in Loop: Header=BB110_4 Depth=1
	s_or_b32 exec_lo, exec_lo, s36
	v_cmp_ne_u32_e32 vcc_lo, 1, v88
	v_lshl_add_u64 v[2:3], s[46:47], 3, v[0:1]
	s_mov_b32 s36, -1
	s_barrier_signal -1
	s_barrier_wait -1
	s_cbranch_vccnz .LBB110_31
; %bb.30:                               ;   in Loop: Header=BB110_4 Depth=1
	v_add_nc_u64_e32 v[0:1], s[42:43], v[2:3]
	s_mov_b32 s36, 0
	s_delay_alu instid0(VALU_DEP_1) | instskip(NEXT) | instid1(VALU_DEP_1)
	v_add_nc_u64_e32 v[4:5], s[42:43], v[0:1]
	v_add_nc_u64_e32 v[6:7], s[42:43], v[4:5]
	s_clause 0x3
	global_load_b64 v[8:9], v[2:3], off offset:256
	global_load_b64 v[0:1], v[0:1], off offset:256
	global_load_b64 v[4:5], v[4:5], off offset:256
	global_load_b64 v[6:7], v[6:7], off offset:256
	s_wait_loadcnt 0x3
	ds_store_b64 v102, v[8:9]
	s_wait_loadcnt 0x2
	ds_store_b64 v102, v[0:1] offset:2112
	s_wait_loadcnt 0x1
	ds_store_b64 v102, v[4:5] offset:4224
	;; [unrolled: 2-line block ×3, first 2 shown]
.LBB110_31:                             ;   in Loop: Header=BB110_4 Depth=1
	s_wait_xcnt 0x2
	v_add_nc_u64_e32 v[0:1], 0x100, v[2:3]
	s_and_not1_b32 vcc_lo, exec_lo, s36
	s_cbranch_vccnz .LBB110_41
; %bb.32:                               ;   in Loop: Header=BB110_4 Depth=1
	v_lshl_add_u64 v[2:3], v[42:43], 3, v[2:3]
	s_wait_xcnt 0x0
	v_mov_b64_e32 v[6:7], 0
	v_mov_b64_e32 v[4:5], 0
	s_delay_alu instid0(VALU_DEP_3) | instskip(NEXT) | instid1(VALU_DEP_1)
	v_lshl_add_u64 v[2:3], s[24:25], 3, v[2:3]
	v_add_nc_u64_e32 v[2:3], -8, v[2:3]
	s_delay_alu instid0(VALU_DEP_1)
	v_dual_cndmask_b32 v3, v3, v1, s11 :: v_dual_cndmask_b32 v2, v2, v0, s11
	s_and_saveexec_b32 s36, s12
	s_cbranch_execz .LBB110_34
; %bb.33:                               ;   in Loop: Header=BB110_4 Depth=1
	global_load_b64 v[4:5], v[2:3], off
.LBB110_34:                             ;   in Loop: Header=BB110_4 Depth=1
	s_wait_xcnt 0x0
	s_or_b32 exec_lo, exec_lo, s36
	s_wait_loadcnt 0x0
	ds_store_b64 v102, v[4:5]
	s_and_saveexec_b32 s36, s13
	s_cbranch_execz .LBB110_36
; %bb.35:                               ;   in Loop: Header=BB110_4 Depth=1
	v_add_nc_u64_e32 v[4:5], s[42:43], v[2:3]
	global_load_b64 v[6:7], v[4:5], off
.LBB110_36:                             ;   in Loop: Header=BB110_4 Depth=1
	s_wait_xcnt 0x0
	s_or_b32 exec_lo, exec_lo, s36
	v_mov_b64_e32 v[4:5], 0
	v_mov_b64_e32 v[8:9], 0
	s_wait_loadcnt 0x0
	ds_store_b64 v102, v[6:7] offset:2112
	s_and_saveexec_b32 s36, s14
	s_cbranch_execz .LBB110_38
; %bb.37:                               ;   in Loop: Header=BB110_4 Depth=1
	v_add_nc_u64_e32 v[6:7], s[44:45], v[2:3]
	global_load_b64 v[8:9], v[6:7], off
.LBB110_38:                             ;   in Loop: Header=BB110_4 Depth=1
	s_wait_xcnt 0x0
	s_or_b32 exec_lo, exec_lo, s36
	s_wait_loadcnt 0x0
	ds_store_b64 v102, v[8:9] offset:4224
	s_and_saveexec_b32 s36, s15
	s_cbranch_execz .LBB110_40
; %bb.39:                               ;   in Loop: Header=BB110_4 Depth=1
	v_add_nc_u64_e32 v[4:5], s[38:39], v[2:3]
	global_load_b64 v[4:5], v[4:5], off
.LBB110_40:                             ;   in Loop: Header=BB110_4 Depth=1
	s_wait_xcnt 0x0
	s_or_b32 exec_lo, exec_lo, s36
	v_add_nc_u64_e32 v[2:3], v[2:3], v[34:35]
	s_wait_loadcnt 0x0
	ds_store_b64 v102, v[4:5] offset:6336
	v_lshl_add_u64 v[2:3], s[54:55], 3, v[2:3]
	s_delay_alu instid0(VALU_DEP_1) | instskip(NEXT) | instid1(VALU_DEP_1)
	v_add_nc_u64_e32 v[2:3], 0x108, v[2:3]
	v_dual_cndmask_b32 v1, v3, v1, s11 :: v_dual_cndmask_b32 v0, v2, v0, s11
.LBB110_41:                             ;   in Loop: Header=BB110_4 Depth=1
	s_wait_dscnt 0x0
	s_barrier_signal -1
	s_barrier_wait -1
	s_wait_xcnt 0x0
	s_and_saveexec_b32 s36, s6
	s_cbranch_execnz .LBB110_76
; %bb.42:                               ;   in Loop: Header=BB110_4 Depth=1
	s_or_b32 exec_lo, exec_lo, s36
	s_and_saveexec_b32 s36, s7
	s_cbranch_execnz .LBB110_77
.LBB110_43:                             ;   in Loop: Header=BB110_4 Depth=1
	s_or_b32 exec_lo, exec_lo, s36
	s_and_saveexec_b32 s36, s8
	s_cbranch_execnz .LBB110_78
.LBB110_44:                             ;   in Loop: Header=BB110_4 Depth=1
	s_or_b32 exec_lo, exec_lo, s36
	s_and_saveexec_b32 s36, s9
	s_cbranch_execz .LBB110_46
.LBB110_45:                             ;   in Loop: Header=BB110_4 Depth=1
	ds_load_b64 v[2:3], v104 offset:528
	s_wait_dscnt 0x0
	ds_store_b64 v90, v[2:3] offset:24
.LBB110_46:                             ;   in Loop: Header=BB110_4 Depth=1
	s_or_b32 exec_lo, exec_lo, s36
	s_wait_dscnt 0x0
	s_barrier_signal -1
	s_barrier_wait -1
	ds_load_b64 v[10:11], v103
	ds_load_b128 v[2:5], v91 offset:256
	ds_load_b128 v[6:9], v91 offset:272
	ds_load_b64 v[14:15], v104 offset:528
	s_wait_dscnt 0x2
	v_fma_f64 v[2:3], v[10:11], v[2:3], 0
	ds_load_2addr_b64 v[10:13], v104 offset1:33
	s_wait_dscnt 0x0
	s_barrier_signal -1
	s_barrier_wait -1
	v_fmac_f64_e32 v[2:3], v[10:11], v[4:5]
	s_delay_alu instid0(VALU_DEP_1) | instskip(NEXT) | instid1(VALU_DEP_1)
	v_fmac_f64_e32 v[2:3], v[12:13], v[6:7]
	v_fmac_f64_e32 v[2:3], v[14:15], v[8:9]
	ds_store_b64 v92, v[2:3]
	s_wait_dscnt 0x0
	s_barrier_signal -1
	s_barrier_wait -1
	s_and_saveexec_b32 s36, s16
	s_cbranch_execz .LBB110_48
; %bb.47:                               ;   in Loop: Header=BB110_4 Depth=1
	ds_load_2addr_b64 v[2:5], v89 offset1:1
	ds_load_2addr_b64 v[6:9], v89 offset0:2 offset1:3
	s_wait_dscnt 0x1
	v_add_f64_e32 v[2:3], v[2:3], v[4:5]
	s_wait_dscnt 0x0
	s_delay_alu instid0(VALU_DEP_1) | instskip(NEXT) | instid1(VALU_DEP_1)
	v_add_f64_e32 v[2:3], v[2:3], v[6:7]
	v_add_f64_e32 v[10:11], v[2:3], v[8:9]
	ds_load_2addr_b64 v[2:5], v89 offset0:4 offset1:5
	ds_load_2addr_b64 v[6:9], v89 offset0:6 offset1:7
	s_wait_dscnt 0x1
	v_add_f64_e32 v[2:3], v[10:11], v[2:3]
	s_delay_alu instid0(VALU_DEP_1) | instskip(SKIP_1) | instid1(VALU_DEP_1)
	v_add_f64_e32 v[2:3], v[2:3], v[4:5]
	s_wait_dscnt 0x0
	v_add_f64_e32 v[2:3], v[2:3], v[6:7]
	s_delay_alu instid0(VALU_DEP_1)
	v_add_f64_e32 v[48:49], v[2:3], v[8:9]
.LBB110_48:                             ;   in Loop: Header=BB110_4 Depth=1
	s_or_b32 exec_lo, exec_lo, s36
	v_cmp_ne_u32_e32 vcc_lo, 1, v88
	v_lshl_add_u64 v[18:19], s[48:49], 3, v[0:1]
	s_mov_b32 s36, -1
	s_barrier_signal -1
	s_barrier_wait -1
	s_cbranch_vccnz .LBB110_50
; %bb.49:                               ;   in Loop: Header=BB110_4 Depth=1
	v_add_nc_u64_e32 v[0:1], s[42:43], v[18:19]
	s_mov_b32 s36, 0
	s_delay_alu instid0(VALU_DEP_1) | instskip(NEXT) | instid1(VALU_DEP_1)
	v_add_nc_u64_e32 v[2:3], s[42:43], v[0:1]
	v_add_nc_u64_e32 v[4:5], s[42:43], v[2:3]
	s_clause 0x3
	global_load_b64 v[6:7], v[18:19], off
	global_load_b64 v[0:1], v[0:1], off
	;; [unrolled: 1-line block ×4, first 2 shown]
	s_wait_loadcnt 0x3
	ds_store_b64 v102, v[6:7]
	s_wait_loadcnt 0x2
	ds_store_b64 v102, v[0:1] offset:2112
	s_wait_loadcnt 0x1
	ds_store_b64 v102, v[2:3] offset:4224
	;; [unrolled: 2-line block ×3, first 2 shown]
.LBB110_50:                             ;   in Loop: Header=BB110_4 Depth=1
	s_and_not1_b32 vcc_lo, exec_lo, s36
	s_cbranch_vccnz .LBB110_60
; %bb.51:                               ;   in Loop: Header=BB110_4 Depth=1
	s_wait_xcnt 0x2
	v_lshl_add_u64 v[0:1], v[42:43], 3, v[18:19]
	s_wait_xcnt 0x0
	v_mov_b64_e32 v[4:5], 0
	v_mov_b64_e32 v[2:3], 0
	s_delay_alu instid0(VALU_DEP_3) | instskip(NEXT) | instid1(VALU_DEP_1)
	v_lshl_add_u64 v[0:1], s[24:25], 3, v[0:1]
	v_add_nc_u64_e32 v[0:1], s[80:81], v[0:1]
	s_delay_alu instid0(VALU_DEP_1)
	v_dual_cndmask_b32 v1, v1, v19, s11 :: v_dual_cndmask_b32 v0, v0, v18, s11
	s_and_saveexec_b32 s36, s2
	s_cbranch_execz .LBB110_53
; %bb.52:                               ;   in Loop: Header=BB110_4 Depth=1
	global_load_b64 v[2:3], v[0:1], off
.LBB110_53:                             ;   in Loop: Header=BB110_4 Depth=1
	s_wait_xcnt 0x0
	s_or_b32 exec_lo, exec_lo, s36
	s_wait_loadcnt 0x0
	ds_store_b64 v102, v[2:3]
	s_and_saveexec_b32 s36, s3
	s_cbranch_execz .LBB110_55
; %bb.54:                               ;   in Loop: Header=BB110_4 Depth=1
	v_add_nc_u64_e32 v[2:3], s[42:43], v[0:1]
	global_load_b64 v[4:5], v[2:3], off
.LBB110_55:                             ;   in Loop: Header=BB110_4 Depth=1
	s_wait_xcnt 0x0
	s_or_b32 exec_lo, exec_lo, s36
	v_mov_b64_e32 v[2:3], 0
	v_mov_b64_e32 v[6:7], 0
	s_wait_loadcnt 0x0
	ds_store_b64 v102, v[4:5] offset:2112
	s_and_saveexec_b32 s36, s4
	s_cbranch_execz .LBB110_57
; %bb.56:                               ;   in Loop: Header=BB110_4 Depth=1
	v_add_nc_u64_e32 v[4:5], s[44:45], v[0:1]
	global_load_b64 v[6:7], v[4:5], off
.LBB110_57:                             ;   in Loop: Header=BB110_4 Depth=1
	s_wait_xcnt 0x0
	s_or_b32 exec_lo, exec_lo, s36
	s_wait_loadcnt 0x0
	ds_store_b64 v102, v[6:7] offset:4224
	s_and_saveexec_b32 s36, s5
	s_cbranch_execz .LBB110_59
; %bb.58:                               ;   in Loop: Header=BB110_4 Depth=1
	v_add_nc_u64_e32 v[2:3], s[38:39], v[0:1]
	global_load_b64 v[2:3], v[2:3], off
.LBB110_59:                             ;   in Loop: Header=BB110_4 Depth=1
	s_wait_xcnt 0x0
	s_or_b32 exec_lo, exec_lo, s36
	v_add_nc_u64_e32 v[0:1], v[0:1], v[34:35]
	s_wait_loadcnt 0x0
	ds_store_b64 v102, v[2:3] offset:6336
	v_lshl_add_u64 v[0:1], s[54:55], 3, v[0:1]
	s_delay_alu instid0(VALU_DEP_1) | instskip(NEXT) | instid1(VALU_DEP_1)
	v_add_nc_u64_e32 v[0:1], 0x108, v[0:1]
	v_dual_cndmask_b32 v19, v1, v19, s11 :: v_dual_cndmask_b32 v18, v0, v18, s11
.LBB110_60:                             ;   in Loop: Header=BB110_4 Depth=1
	s_wait_dscnt 0x0
	s_barrier_signal -1
	s_barrier_wait -1
	s_wait_xcnt 0x2
	ds_load_b64 v[0:1], v102
	s_wait_xcnt 0x1
	ds_load_b64 v[2:3], v105
	s_wait_xcnt 0x0
	ds_load_b64 v[4:5], v102 offset:6336
	ds_load_b64 v[6:7], v102 offset:2112
	;; [unrolled: 1-line block ×4, first 2 shown]
	s_wait_dscnt 0x4
	v_fma_f64 v[20:21], v[0:1], v[2:3], 0
	ds_load_2addr_b64 v[0:3], v101 offset0:8 offset1:16
	s_wait_dscnt 0x0
	v_fmac_f64_e32 v[20:21], v[6:7], v[0:1]
	s_delay_alu instid0(VALU_DEP_1) | instskip(NEXT) | instid1(VALU_DEP_1)
	v_fmac_f64_e32 v[20:21], v[8:9], v[2:3]
	v_fmac_f64_e32 v[20:21], v[4:5], v[10:11]
	ds_load_b128 v[8:11], v91 offset:256
	ds_load_b128 v[0:3], v91 offset:272
	ds_load_2addr_b64 v[12:15], v93 offset1:1
	ds_load_2addr_b64 v[4:7], v93 offset0:2 offset1:3
	s_wait_dscnt 0x0
	s_barrier_signal -1
	s_barrier_wait -1
	ds_store_b64 v92, v[20:21]
	s_wait_dscnt 0x0
	s_barrier_signal -1
	s_barrier_wait -1
	s_and_saveexec_b32 s36, s16
	s_cbranch_execz .LBB110_62
; %bb.61:                               ;   in Loop: Header=BB110_4 Depth=1
	ds_load_2addr_b64 v[20:23], v89 offset1:1
	ds_load_2addr_b64 v[24:27], v89 offset0:2 offset1:3
	s_wait_dscnt 0x1
	v_add_f64_e32 v[20:21], v[48:49], v[20:21]
	s_delay_alu instid0(VALU_DEP_1) | instskip(SKIP_1) | instid1(VALU_DEP_1)
	v_add_f64_e32 v[20:21], v[20:21], v[22:23]
	s_wait_dscnt 0x0
	v_add_f64_e32 v[20:21], v[20:21], v[24:25]
	s_delay_alu instid0(VALU_DEP_1) | instskip(SKIP_4) | instid1(VALU_DEP_1)
	v_add_f64_e32 v[28:29], v[20:21], v[26:27]
	ds_load_2addr_b64 v[20:23], v89 offset0:4 offset1:5
	ds_load_2addr_b64 v[24:27], v89 offset0:6 offset1:7
	s_wait_dscnt 0x1
	v_add_f64_e32 v[20:21], v[28:29], v[20:21]
	v_add_f64_e32 v[20:21], v[20:21], v[22:23]
	s_wait_dscnt 0x0
	s_delay_alu instid0(VALU_DEP_1) | instskip(NEXT) | instid1(VALU_DEP_1)
	v_add_f64_e32 v[20:21], v[20:21], v[24:25]
	v_add_f64_e32 v[48:49], v[20:21], v[26:27]
.LBB110_62:                             ;   in Loop: Header=BB110_4 Depth=1
	s_or_b32 exec_lo, exec_lo, s36
	v_fma_f64 v[8:9], v[12:13], v[8:9], 0
	s_barrier_signal -1
	s_barrier_wait -1
	s_delay_alu instid0(VALU_DEP_1) | instskip(NEXT) | instid1(VALU_DEP_1)
	v_fmac_f64_e32 v[8:9], v[14:15], v[10:11]
	v_fmac_f64_e32 v[8:9], v[4:5], v[0:1]
	s_delay_alu instid0(VALU_DEP_1)
	v_fmac_f64_e32 v[8:9], v[6:7], v[2:3]
	ds_store_b64 v92, v[8:9]
	s_wait_dscnt 0x0
	s_barrier_signal -1
	s_barrier_wait -1
	s_and_saveexec_b32 s36, s10
	s_cbranch_execz .LBB110_64
; %bb.63:                               ;   in Loop: Header=BB110_4 Depth=1
	ds_load_2addr_b64 v[0:3], v89 offset1:1
	ds_load_2addr_b64 v[4:7], v89 offset0:2 offset1:3
	s_wait_dscnt 0x1
	v_add_f64_e32 v[0:1], v[48:49], v[0:1]
	s_delay_alu instid0(VALU_DEP_1) | instskip(SKIP_1) | instid1(VALU_DEP_1)
	v_add_f64_e32 v[0:1], v[0:1], v[2:3]
	s_wait_dscnt 0x0
	v_add_f64_e32 v[0:1], v[0:1], v[4:5]
	s_delay_alu instid0(VALU_DEP_1) | instskip(SKIP_4) | instid1(VALU_DEP_1)
	v_add_f64_e32 v[8:9], v[0:1], v[6:7]
	ds_load_2addr_b64 v[0:3], v89 offset0:4 offset1:5
	ds_load_2addr_b64 v[4:7], v89 offset0:6 offset1:7
	s_wait_dscnt 0x1
	v_add_f64_e32 v[0:1], v[8:9], v[0:1]
	v_add_f64_e32 v[0:1], v[0:1], v[2:3]
	s_wait_dscnt 0x0
	s_delay_alu instid0(VALU_DEP_1) | instskip(NEXT) | instid1(VALU_DEP_1)
	v_add_f64_e32 v[0:1], v[0:1], v[4:5]
	v_add_f64_e32 v[48:49], v[0:1], v[6:7]
.LBB110_64:                             ;   in Loop: Header=BB110_4 Depth=1
	s_or_b32 exec_lo, exec_lo, s36
	s_mul_u64 s[88:89], s[40:41], s[34:35]
	s_and_not1_b32 vcc_lo, exec_lo, s92
	s_lshl_b64 s[88:89], s[88:89], 3
	s_delay_alu instid0(SALU_CYCLE_1)
	s_add_nc_u64 s[88:89], s[26:27], s[88:89]
	s_barrier_signal -1
	s_barrier_wait -1
	s_cbranch_vccnz .LBB110_71
; %bb.65:                               ;   in Loop: Header=BB110_4 Depth=1
	v_lshl_add_u64 v[0:1], s[52:53], 3, v[18:19]
	v_dual_mov_b32 v3, v35 :: v_dual_lshlrev_b32 v2, 3, v32
	v_lshl_add_u64 v[50:51], s[50:51], 3, v[16:17]
	s_mov_b32 s36, 0
	s_delay_alu instid0(VALU_DEP_3) | instskip(SKIP_1) | instid1(VALU_DEP_1)
	v_lshl_add_u64 v[0:1], v[44:45], 3, v[0:1]
	s_mov_b32 s35, s90
	v_lshl_add_u64 v[0:1], v[46:47], 3, v[0:1]
	s_delay_alu instid0(VALU_DEP_1) | instskip(SKIP_1) | instid1(VALU_DEP_1)
	v_add_nc_u64_e32 v[2:3], v[0:1], v[2:3]
	v_lshl_add_u64 v[0:1], s[24:25], 3, v[0:1]
	v_add_nc_u64_e32 v[0:1], s[80:81], v[0:1]
	s_delay_alu instid0(VALU_DEP_3) | instskip(NEXT) | instid1(VALU_DEP_1)
	v_add_nc_u64_e32 v[2:3], s[82:83], v[2:3]
	v_dual_cndmask_b32 v53, v3, v1, s17 :: v_dual_cndmask_b32 v52, v2, v0, s17
	s_branch .LBB110_67
.LBB110_66:                             ;   in Loop: Header=BB110_67 Depth=2
	s_wait_xcnt 0x0
	s_or_b32 exec_lo, exec_lo, s94
	v_fmac_f64_e32 v[48:49], v[60:61], v[0:1]
	v_add_nc_u64_e32 v[52:53], s[58:59], v[52:53]
	s_add_co_i32 s35, s35, -1
	s_add_co_i32 s36, s36, 64
	s_cmp_eq_u32 s35, 0
	s_wait_storecnt 0x0
	s_barrier_signal -1
	s_barrier_wait -1
	s_delay_alu instid0(VALU_DEP_2) | instskip(NEXT) | instid1(VALU_DEP_1)
	v_fmac_f64_e32 v[48:49], v[58:59], v[2:3]
	v_fmac_f64_e32 v[48:49], v[56:57], v[4:5]
	s_delay_alu instid0(VALU_DEP_1) | instskip(NEXT) | instid1(VALU_DEP_1)
	v_fmac_f64_e32 v[48:49], v[54:55], v[6:7]
	v_fmac_f64_e32 v[48:49], v[68:69], v[8:9]
	s_delay_alu instid0(VALU_DEP_1) | instskip(NEXT) | instid1(VALU_DEP_1)
	;; [unrolled: 3-line block ×6, first 2 shown]
	v_fmac_f64_e32 v[48:49], v[78:79], v[26:27]
	v_fmac_f64_e32 v[48:49], v[84:85], v[28:29]
	s_delay_alu instid0(VALU_DEP_1)
	v_fmac_f64_e32 v[48:49], v[82:83], v[30:31]
	s_cbranch_scc1 .LBB110_71
.LBB110_67:                             ;   Parent Loop BB110_4 Depth=1
                                        ; =>  This Inner Loop Header: Depth=2
	s_and_saveexec_b32 s94, s0
	s_cbranch_execz .LBB110_69
; %bb.68:                               ;   in Loop: Header=BB110_67 Depth=2
	s_mul_u64 s[96:97], s[28:29], s[36:37]
	s_delay_alu instid0(SALU_CYCLE_1)
	v_lshl_add_u64 v[0:1], s[96:97], 3, v[50:51]
	global_load_b64 v[0:1], v[0:1], off
	s_wait_loadcnt 0x0
	ds_store_b64 v94, v[0:1]
.LBB110_69:                             ;   in Loop: Header=BB110_67 Depth=2
	s_wait_xcnt 0x0
	s_or_b32 exec_lo, exec_lo, s94
	v_add_nc_u64_e32 v[0:1], s[56:57], v[52:53]
	v_add_nc_u64_e32 v[2:3], s[60:61], v[52:53]
	;; [unrolled: 1-line block ×3, first 2 shown]
	s_wait_dscnt 0x0
	s_barrier_signal -1
	s_barrier_wait -1
	s_clause 0x3
	global_load_b64 v[60:61], v[52:53], off
	global_load_b64 v[58:59], v[0:1], off
	;; [unrolled: 1-line block ×4, first 2 shown]
	s_wait_xcnt 0x0
	ds_load_b64 v[4:5], v86
	ds_load_b128 v[0:3], v95
	v_add_nc_u64_e32 v[20:21], s[44:45], v[52:53]
	v_add_nc_u64_e32 v[26:27], s[20:21], v[52:53]
	;; [unrolled: 1-line block ×8, first 2 shown]
	s_wait_loadcnt_dscnt 0x301
	v_mul_f64_e32 v[8:9], v[60:61], v[4:5]
	s_wait_loadcnt 0x2
	v_mul_f64_e32 v[10:11], v[58:59], v[4:5]
	s_wait_loadcnt 0x1
	v_mul_f64_e32 v[12:13], v[56:57], v[4:5]
	s_wait_loadcnt 0x0
	v_mul_f64_e32 v[14:15], v[54:55], v[4:5]
	ds_load_b128 v[4:7], v95 offset:16
	ds_store_2addr_b64 v96, v[8:9], v[10:11] offset1:67
	ds_store_2addr_b64 v96, v[12:13], v[14:15] offset0:134 offset1:201
	s_wait_dscnt 0x0
	s_barrier_signal -1
	s_barrier_wait -1
	ds_load_2addr_b64 v[16:19], v97 offset1:1
	ds_load_2addr_b64 v[22:25], v97 offset0:2 offset1:3
	s_wait_dscnt 0x0
	s_barrier_signal -1
	s_barrier_wait -1
	s_clause 0x3
	global_load_b64 v[68:69], v[20:21], off
	global_load_b64 v[66:67], v[26:27], off
	;; [unrolled: 1-line block ×4, first 2 shown]
	ds_load_b64 v[12:13], v86
	ds_load_b128 v[8:11], v95 offset:128
	v_add_f64_e32 v[16:17], 0, v[16:17]
	s_wait_loadcnt_dscnt 0x301
	s_wait_xcnt 0x3
	v_mul_f64_e32 v[20:21], v[68:69], v[12:13]
	s_wait_loadcnt 0x2
	s_wait_xcnt 0x2
	v_mul_f64_e32 v[26:27], v[66:67], v[12:13]
	s_wait_loadcnt 0x1
	;; [unrolled: 3-line block ×3, first 2 shown]
	s_wait_xcnt 0x0
	v_mul_f64_e32 v[30:31], v[62:63], v[12:13]
	ds_load_b128 v[12:15], v95 offset:144
	ds_store_2addr_b64 v96, v[20:21], v[26:27] offset1:67
	ds_store_2addr_b64 v96, v[28:29], v[30:31] offset0:134 offset1:201
	s_wait_dscnt 0x0
	s_barrier_signal -1
	s_barrier_wait -1
	ds_load_2addr_b64 v[26:29], v97 offset1:1
	ds_load_2addr_b64 v[78:81], v97 offset0:2 offset1:3
	s_wait_dscnt 0x0
	s_barrier_signal -1
	s_barrier_wait -1
	s_clause 0x3
	global_load_b64 v[76:77], v[70:71], off
	global_load_b64 v[74:75], v[72:73], off
	global_load_b64 v[72:73], v[82:83], off
	global_load_b64 v[70:71], v[84:85], off
	v_add_f64_e32 v[30:31], v[16:17], v[18:19]
	ds_load_b128 v[16:19], v95 offset:256
	v_add_f64_e32 v[20:21], 0, v[26:27]
	ds_load_b64 v[26:27], v86
	v_add_f64_e32 v[30:31], v[30:31], v[22:23]
	v_add_f64_e32 v[20:21], v[20:21], v[28:29]
	s_delay_alu instid0(VALU_DEP_2) | instskip(NEXT) | instid1(VALU_DEP_2)
	v_add_f64_e32 v[120:121], v[30:31], v[24:25]
	v_add_f64_e32 v[78:79], v[20:21], v[78:79]
	ds_load_b128 v[20:23], v95 offset:272
	v_add_f64_e32 v[122:123], v[78:79], v[80:81]
	s_wait_loadcnt_dscnt 0x301
	v_mul_f64_e32 v[28:29], v[76:77], v[26:27]
	s_wait_loadcnt 0x2
	s_wait_xcnt 0x1
	v_mul_f64_e32 v[82:83], v[74:75], v[26:27]
	s_wait_loadcnt 0x1
	s_wait_xcnt 0x0
	v_mul_f64_e32 v[84:85], v[72:73], v[26:27]
	s_wait_loadcnt 0x0
	v_mul_f64_e32 v[26:27], v[70:71], v[26:27]
	ds_store_2addr_b64 v96, v[28:29], v[82:83] offset1:67
	ds_store_2addr_b64 v96, v[84:85], v[26:27] offset0:134 offset1:201
	s_wait_dscnt 0x0
	s_barrier_signal -1
	s_barrier_wait -1
	ds_load_2addr_b64 v[26:29], v97 offset1:1
	ds_load_2addr_b64 v[108:111], v97 offset0:2 offset1:3
	v_add_nc_u64_e32 v[82:83], s[78:79], v[52:53]
	v_add_nc_u64_e32 v[84:85], s[76:77], v[52:53]
	s_wait_dscnt 0x0
	s_barrier_signal -1
	s_barrier_wait -1
	s_clause 0x1
	global_load_b64 v[80:81], v[82:83], off
	global_load_b64 v[78:79], v[84:85], off
	v_add_f64_e32 v[24:25], 0, v[26:27]
	v_add_nc_u64_e32 v[26:27], s[72:73], v[52:53]
	s_delay_alu instid0(VALU_DEP_2)
	v_add_f64_e32 v[124:125], v[24:25], v[28:29]
	v_add_nc_u64_e32 v[24:25], s[74:75], v[52:53]
	s_clause 0x1
	global_load_b64 v[84:85], v[26:27], off
	global_load_b64 v[82:83], v[24:25], off
	ds_load_b64 v[28:29], v86
	s_wait_xcnt 0x0
	ds_load_b128 v[24:27], v95 offset:384
	v_add_f64_e32 v[108:109], v[124:125], v[108:109]
	s_delay_alu instid0(VALU_DEP_1)
	v_add_f64_e32 v[108:109], v[108:109], v[110:111]
	s_wait_loadcnt_dscnt 0x301
	v_mul_f64_e32 v[30:31], v[80:81], v[28:29]
	s_wait_loadcnt 0x2
	v_mul_f64_e32 v[112:113], v[78:79], v[28:29]
	ds_store_2addr_b64 v96, v[30:31], v[112:113] offset1:67
	s_wait_loadcnt 0x1
	v_mul_f64_e32 v[30:31], v[84:85], v[28:29]
	s_wait_loadcnt 0x0
	v_mul_f64_e32 v[28:29], v[82:83], v[28:29]
	ds_store_2addr_b64 v96, v[30:31], v[28:29] offset0:134 offset1:201
	ds_load_b128 v[28:31], v95 offset:400
	s_wait_dscnt 0x0
	s_barrier_signal -1
	s_barrier_wait -1
	ds_load_2addr_b64 v[112:115], v97 offset1:1
	ds_load_2addr_b64 v[116:119], v97 offset0:2 offset1:3
	s_wait_dscnt 0x0
	s_barrier_signal -1
	s_barrier_wait -1
	v_add_f64_e32 v[112:113], 0, v[112:113]
	s_delay_alu instid0(VALU_DEP_1) | instskip(NEXT) | instid1(VALU_DEP_1)
	v_add_f64_e32 v[112:113], v[112:113], v[114:115]
	v_add_f64_e32 v[110:111], v[112:113], v[116:117]
	s_delay_alu instid0(VALU_DEP_1)
	v_add_f64_e32 v[110:111], v[110:111], v[118:119]
	ds_store_2addr_b64 v106, v[120:121], v[122:123] offset1:16
	ds_store_2addr_b64 v106, v[108:109], v[110:111] offset0:32 offset1:48
	s_wait_dscnt 0x0
	s_barrier_signal -1
	s_barrier_wait -1
	s_and_saveexec_b32 s94, s18
	s_cbranch_execz .LBB110_66
; %bb.70:                               ;   in Loop: Header=BB110_67 Depth=2
	ds_load_2addr_b64 v[108:111], v98 offset1:1
	ds_load_2addr_b64 v[112:115], v98 offset0:2 offset1:3
	s_wait_dscnt 0x1
	v_dual_add_f64 v[108:109], v[108:109], v[110:111] :: v_dual_add_nc_u32 v107, s36, v32
	s_wait_dscnt 0x0
	s_delay_alu instid0(VALU_DEP_1) | instskip(NEXT) | instid1(VALU_DEP_1)
	v_add_f64_e32 v[108:109], v[108:109], v[112:113]
	v_add_f64_e32 v[116:117], v[108:109], v[114:115]
	ds_load_2addr_b64 v[108:111], v98 offset0:4 offset1:5
	ds_load_2addr_b64 v[112:115], v98 offset0:6 offset1:7
	s_wait_dscnt 0x1
	v_add_f64_e32 v[108:109], v[116:117], v[108:109]
	s_delay_alu instid0(VALU_DEP_1) | instskip(SKIP_1) | instid1(VALU_DEP_1)
	v_add_f64_e32 v[108:109], v[108:109], v[110:111]
	s_wait_dscnt 0x0
	v_add_f64_e32 v[108:109], v[108:109], v[112:113]
	s_delay_alu instid0(VALU_DEP_1) | instskip(SKIP_4) | instid1(VALU_DEP_1)
	v_add_f64_e32 v[116:117], v[108:109], v[114:115]
	ds_load_2addr_b64 v[108:111], v98 offset0:8 offset1:9
	ds_load_2addr_b64 v[112:115], v98 offset0:10 offset1:11
	s_wait_dscnt 0x1
	v_add_f64_e32 v[108:109], v[116:117], v[108:109]
	v_add_f64_e32 v[108:109], v[108:109], v[110:111]
	s_wait_dscnt 0x0
	s_delay_alu instid0(VALU_DEP_1) | instskip(NEXT) | instid1(VALU_DEP_1)
	v_add_f64_e32 v[108:109], v[108:109], v[112:113]
	v_add_f64_e32 v[112:113], v[108:109], v[114:115]
	ds_load_2addr_b64 v[108:111], v98 offset0:12 offset1:13
	ds_load_b64 v[114:115], v98 offset:112
	s_wait_dscnt 0x1
	v_add_f64_e32 v[108:109], v[112:113], v[108:109]
	s_delay_alu instid0(VALU_DEP_1) | instskip(SKIP_4) | instid1(VALU_DEP_1)
	v_add_f64_e32 v[108:109], v[108:109], v[110:111]
	ds_load_b64 v[110:111], v99
	s_wait_dscnt 0x1
	v_add_f64_e32 v[108:109], v[108:109], v[114:115]
	s_wait_dscnt 0x0
	v_add_f64_e32 v[108:109], v[108:109], v[110:111]
	global_store_b64 v107, v[108:109], s[88:89] scale_offset
	s_branch .LBB110_66
.LBB110_71:                             ;   in Loop: Header=BB110_4 Depth=1
	ds_store_b64 v100, v[48:49]
	s_wait_dscnt 0x0
	s_barrier_signal -1
	s_barrier_wait -1
	s_and_saveexec_b32 s35, s93
	s_cbranch_execz .LBB110_2
; %bb.72:                               ;   in Loop: Header=BB110_4 Depth=1
	ds_load_2addr_b64 v[0:3], v33 offset1:67
	s_wait_dscnt 0x0
	v_add_f64_e32 v[4:5], v[0:1], v[2:3]
	ds_load_2addr_b64 v[0:3], v33 offset0:134 offset1:201
	s_wait_dscnt 0x0
	v_add_f64_e32 v[0:1], v[4:5], v[0:1]
	s_delay_alu instid0(VALU_DEP_1)
	v_add_f64_e32 v[0:1], v[0:1], v[2:3]
	v_lshl_add_u64 v[2:3], v[36:37], 3, s[88:89]
	global_store_b64 v[2:3], v[0:1], off
	s_branch .LBB110_2
.LBB110_73:                             ;   in Loop: Header=BB110_4 Depth=1
	ds_load_b64 v[2:3], v103
	s_wait_dscnt 0x0
	ds_store_b64 v90, v[2:3]
	s_or_b32 exec_lo, exec_lo, s36
	s_and_saveexec_b32 s36, s7
	s_cbranch_execz .LBB110_24
.LBB110_74:                             ;   in Loop: Header=BB110_4 Depth=1
	ds_load_b64 v[2:3], v104
	s_wait_dscnt 0x0
	ds_store_b64 v90, v[2:3] offset:8
	s_or_b32 exec_lo, exec_lo, s36
	s_and_saveexec_b32 s36, s8
	s_cbranch_execz .LBB110_25
.LBB110_75:                             ;   in Loop: Header=BB110_4 Depth=1
	ds_load_b64 v[2:3], v104 offset:264
	s_wait_dscnt 0x0
	ds_store_b64 v90, v[2:3] offset:16
	s_or_b32 exec_lo, exec_lo, s36
	s_and_saveexec_b32 s36, s9
	s_cbranch_execnz .LBB110_26
	s_branch .LBB110_27
.LBB110_76:                             ;   in Loop: Header=BB110_4 Depth=1
	ds_load_b64 v[2:3], v103
	s_wait_dscnt 0x0
	ds_store_b64 v90, v[2:3]
	s_or_b32 exec_lo, exec_lo, s36
	s_and_saveexec_b32 s36, s7
	s_cbranch_execz .LBB110_43
.LBB110_77:                             ;   in Loop: Header=BB110_4 Depth=1
	ds_load_b64 v[2:3], v104
	s_wait_dscnt 0x0
	ds_store_b64 v90, v[2:3] offset:8
	s_or_b32 exec_lo, exec_lo, s36
	s_and_saveexec_b32 s36, s8
	s_cbranch_execz .LBB110_44
.LBB110_78:                             ;   in Loop: Header=BB110_4 Depth=1
	ds_load_b64 v[2:3], v104 offset:264
	s_wait_dscnt 0x0
	ds_store_b64 v90, v[2:3] offset:16
	s_or_b32 exec_lo, exec_lo, s36
	s_and_saveexec_b32 s36, s9
	s_cbranch_execnz .LBB110_45
	s_branch .LBB110_46
.LBB110_79:
	s_sendmsg sendmsg(MSG_DEALLOC_VGPRS)
	s_endpgm
	.section	.rodata,"a",@progbits
	.p2align	6, 0x0
	.amdhsa_kernel _ZL26rocblas_hemvn_kernel_lowerILb0ELi64ELi4ELi33ELi32ELi16EldPKdPdEviT6_lT7_lT5_lS4_lS5_lS3_lT8_i
		.amdhsa_group_segment_fixed_size 9600
		.amdhsa_private_segment_fixed_size 0
		.amdhsa_kernarg_size 376
		.amdhsa_user_sgpr_count 2
		.amdhsa_user_sgpr_dispatch_ptr 0
		.amdhsa_user_sgpr_queue_ptr 0
		.amdhsa_user_sgpr_kernarg_segment_ptr 1
		.amdhsa_user_sgpr_dispatch_id 0
		.amdhsa_user_sgpr_kernarg_preload_length 0
		.amdhsa_user_sgpr_kernarg_preload_offset 0
		.amdhsa_user_sgpr_private_segment_size 0
		.amdhsa_wavefront_size32 1
		.amdhsa_uses_dynamic_stack 0
		.amdhsa_enable_private_segment 0
		.amdhsa_system_sgpr_workgroup_id_x 1
		.amdhsa_system_sgpr_workgroup_id_y 0
		.amdhsa_system_sgpr_workgroup_id_z 1
		.amdhsa_system_sgpr_workgroup_info 0
		.amdhsa_system_vgpr_workitem_id 1
		.amdhsa_next_free_vgpr 126
		.amdhsa_next_free_sgpr 98
		.amdhsa_named_barrier_count 0
		.amdhsa_reserve_vcc 1
		.amdhsa_float_round_mode_32 0
		.amdhsa_float_round_mode_16_64 0
		.amdhsa_float_denorm_mode_32 3
		.amdhsa_float_denorm_mode_16_64 3
		.amdhsa_fp16_overflow 0
		.amdhsa_memory_ordered 1
		.amdhsa_forward_progress 1
		.amdhsa_inst_pref_size 42
		.amdhsa_round_robin_scheduling 0
		.amdhsa_exception_fp_ieee_invalid_op 0
		.amdhsa_exception_fp_denorm_src 0
		.amdhsa_exception_fp_ieee_div_zero 0
		.amdhsa_exception_fp_ieee_overflow 0
		.amdhsa_exception_fp_ieee_underflow 0
		.amdhsa_exception_fp_ieee_inexact 0
		.amdhsa_exception_int_div_zero 0
	.end_amdhsa_kernel
	.section	.text._ZL26rocblas_hemvn_kernel_lowerILb0ELi64ELi4ELi33ELi32ELi16EldPKdPdEviT6_lT7_lT5_lS4_lS5_lS3_lT8_i,"axG",@progbits,_ZL26rocblas_hemvn_kernel_lowerILb0ELi64ELi4ELi33ELi32ELi16EldPKdPdEviT6_lT7_lT5_lS4_lS5_lS3_lT8_i,comdat
.Lfunc_end110:
	.size	_ZL26rocblas_hemvn_kernel_lowerILb0ELi64ELi4ELi33ELi32ELi16EldPKdPdEviT6_lT7_lT5_lS4_lS5_lS3_lT8_i, .Lfunc_end110-_ZL26rocblas_hemvn_kernel_lowerILb0ELi64ELi4ELi33ELi32ELi16EldPKdPdEviT6_lT7_lT5_lS4_lS5_lS3_lT8_i
                                        ; -- End function
	.set _ZL26rocblas_hemvn_kernel_lowerILb0ELi64ELi4ELi33ELi32ELi16EldPKdPdEviT6_lT7_lT5_lS4_lS5_lS3_lT8_i.num_vgpr, 126
	.set _ZL26rocblas_hemvn_kernel_lowerILb0ELi64ELi4ELi33ELi32ELi16EldPKdPdEviT6_lT7_lT5_lS4_lS5_lS3_lT8_i.num_agpr, 0
	.set _ZL26rocblas_hemvn_kernel_lowerILb0ELi64ELi4ELi33ELi32ELi16EldPKdPdEviT6_lT7_lT5_lS4_lS5_lS3_lT8_i.numbered_sgpr, 98
	.set _ZL26rocblas_hemvn_kernel_lowerILb0ELi64ELi4ELi33ELi32ELi16EldPKdPdEviT6_lT7_lT5_lS4_lS5_lS3_lT8_i.num_named_barrier, 0
	.set _ZL26rocblas_hemvn_kernel_lowerILb0ELi64ELi4ELi33ELi32ELi16EldPKdPdEviT6_lT7_lT5_lS4_lS5_lS3_lT8_i.private_seg_size, 0
	.set _ZL26rocblas_hemvn_kernel_lowerILb0ELi64ELi4ELi33ELi32ELi16EldPKdPdEviT6_lT7_lT5_lS4_lS5_lS3_lT8_i.uses_vcc, 1
	.set _ZL26rocblas_hemvn_kernel_lowerILb0ELi64ELi4ELi33ELi32ELi16EldPKdPdEviT6_lT7_lT5_lS4_lS5_lS3_lT8_i.uses_flat_scratch, 0
	.set _ZL26rocblas_hemvn_kernel_lowerILb0ELi64ELi4ELi33ELi32ELi16EldPKdPdEviT6_lT7_lT5_lS4_lS5_lS3_lT8_i.has_dyn_sized_stack, 0
	.set _ZL26rocblas_hemvn_kernel_lowerILb0ELi64ELi4ELi33ELi32ELi16EldPKdPdEviT6_lT7_lT5_lS4_lS5_lS3_lT8_i.has_recursion, 0
	.set _ZL26rocblas_hemvn_kernel_lowerILb0ELi64ELi4ELi33ELi32ELi16EldPKdPdEviT6_lT7_lT5_lS4_lS5_lS3_lT8_i.has_indirect_call, 0
	.section	.AMDGPU.csdata,"",@progbits
; Kernel info:
; codeLenInByte = 5312
; TotalNumSgprs: 100
; NumVgprs: 126
; ScratchSize: 0
; MemoryBound: 0
; FloatMode: 240
; IeeeMode: 1
; LDSByteSize: 9600 bytes/workgroup (compile time only)
; SGPRBlocks: 0
; VGPRBlocks: 7
; NumSGPRsForWavesPerEU: 100
; NumVGPRsForWavesPerEU: 126
; NamedBarCnt: 0
; Occupancy: 8
; WaveLimiterHint : 0
; COMPUTE_PGM_RSRC2:SCRATCH_EN: 0
; COMPUTE_PGM_RSRC2:USER_SGPR: 2
; COMPUTE_PGM_RSRC2:TRAP_HANDLER: 0
; COMPUTE_PGM_RSRC2:TGID_X_EN: 1
; COMPUTE_PGM_RSRC2:TGID_Y_EN: 0
; COMPUTE_PGM_RSRC2:TGID_Z_EN: 1
; COMPUTE_PGM_RSRC2:TIDIG_COMP_CNT: 1
	.section	.text._ZL36rocblas_hemvn_kernel_lower_block_sumILi64EldPddEviT1_lS1_lT2_lT0_lPT3_i,"axG",@progbits,_ZL36rocblas_hemvn_kernel_lower_block_sumILi64EldPddEviT1_lS1_lT2_lT0_lPT3_i,comdat
	.globl	_ZL36rocblas_hemvn_kernel_lower_block_sumILi64EldPddEviT1_lS1_lT2_lT0_lPT3_i ; -- Begin function _ZL36rocblas_hemvn_kernel_lower_block_sumILi64EldPddEviT1_lS1_lT2_lT0_lPT3_i
	.p2align	8
	.type	_ZL36rocblas_hemvn_kernel_lower_block_sumILi64EldPddEviT1_lS1_lT2_lT0_lPT3_i,@function
_ZL36rocblas_hemvn_kernel_lower_block_sumILi64EldPddEviT1_lS1_lT2_lT0_lPT3_i: ; @_ZL36rocblas_hemvn_kernel_lower_block_sumILi64EldPddEviT1_lS1_lT2_lT0_lPT3_i
; %bb.0:
	s_load_b32 s3, s[0:1], 0x50
	s_bfe_u32 s2, ttmp6, 0x40014
	s_lshr_b32 s4, ttmp7, 16
	s_add_co_i32 s2, s2, 1
	s_bfe_u32 s6, ttmp6, 0x40008
	s_mul_i32 s5, s4, s2
	s_getreg_b32 s2, hwreg(HW_REG_IB_STS2, 6, 4)
	s_add_co_i32 s6, s6, s5
	s_cmp_eq_u32 s2, 0
	s_mov_b32 s13, 0
	s_cselect_b32 s12, s4, s6
	s_wait_kmcnt 0x0
	s_cmp_ge_u32 s12, s3
	s_cbranch_scc1 .LBB111_25
; %bb.1:
	s_clause 0x4
	s_load_b64 s[14:15], s[0:1], 0x8
	s_load_b64 s[16:17], s[0:1], 0x18
	s_load_b256 s[4:11], s[0:1], 0x30
	s_load_b32 s18, s[0:1], 0x0
	s_load_b64 s[24:25], s[0:1], 0x28
	s_bfe_u32 s21, ttmp6, 0x4000c
	s_and_b32 s22, ttmp6, 15
	s_add_co_i32 s21, s21, 1
	s_wait_xcnt 0x0
	s_add_nc_u64 s[0:1], s[0:1], 0x58
	s_mul_i32 s21, ttmp9, s21
	s_delay_alu instid0(SALU_CYCLE_1)
	s_add_co_i32 s22, s22, s21
	s_wait_kmcnt 0x0
	v_cmp_neq_f64_e64 s19, s[14:15], 0
	v_cmp_neq_f64_e64 s20, s[16:17], 1.0
	s_lshl_b64 s[4:5], s[4:5], 3
	v_cmp_eq_f64_e64 s23, s[14:15], 0
	s_add_nc_u64 s[4:5], s[24:25], s[4:5]
	v_cmp_neq_f64_e64 s24, s[16:17], 0
	s_or_b32 s20, s19, s20
	s_cmp_eq_u32 s2, 0
	s_cselect_b32 s21, ttmp9, s22
	v_cmp_eq_f64_e64 s22, s[16:17], 0
	v_lshl_or_b32 v2, s21, 6, v0
	s_ashr_i32 s19, s18, 31
	s_delay_alu instid0(VALU_DEP_1) | instskip(SKIP_2) | instid1(VALU_DEP_3)
	v_mad_u32 v4, s18, s21, v2
	v_ashrrev_i32_e32 v3, 31, v2
	v_cmp_gt_i32_e64 s2, s18, v2
	v_ashrrev_i32_e32 v5, 31, v4
	s_delay_alu instid0(VALU_DEP_3) | instskip(SKIP_1) | instid1(VALU_DEP_2)
	v_mul_u64_e32 v[0:1], s[6:7], v[2:3]
	s_lshl_b64 s[6:7], s[18:19], 3
	v_lshl_add_u64 v[2:3], v[4:5], 3, s[10:11]
	s_branch .LBB111_4
.LBB111_2:                              ;   in Loop: Header=BB111_4 Depth=1
	s_wait_xcnt 0x0
	s_or_b32 exec_lo, exec_lo, s18
.LBB111_3:                              ;   in Loop: Header=BB111_4 Depth=1
	s_add_co_i32 s12, s12, 0x10000
	s_delay_alu instid0(SALU_CYCLE_1)
	s_cmp_lt_u32 s12, s3
	s_cbranch_scc0 .LBB111_25
.LBB111_4:                              ; =>This Loop Header: Depth=1
                                        ;     Child Loop BB111_16 Depth 2
	s_and_not1_b32 vcc_lo, exec_lo, s20
	s_cbranch_vccnz .LBB111_3
; %bb.5:                                ;   in Loop: Header=BB111_4 Depth=1
	s_mul_u64 s[10:11], s[8:9], s[12:13]
	s_and_not1_b32 vcc_lo, exec_lo, s23
	s_lshl_b64 s[10:11], s[10:11], 3
	s_delay_alu instid0(SALU_CYCLE_1)
	s_add_nc_u64 s[10:11], s[4:5], s[10:11]
	s_cbranch_vccnz .LBB111_9
; %bb.6:                                ;   in Loop: Header=BB111_4 Depth=1
	s_mov_b32 s18, 0
	s_mov_b32 s25, 0
                                        ; implicit-def: $vgpr4_vgpr5
	s_and_saveexec_b32 s19, s2
	s_cbranch_execz .LBB111_10
; %bb.7:                                ;   in Loop: Header=BB111_4 Depth=1
	s_and_not1_b32 vcc_lo, exec_lo, s24
	s_cbranch_vccnz .LBB111_11
; %bb.8:                                ;   in Loop: Header=BB111_4 Depth=1
	s_delay_alu instid0(VALU_DEP_2)
	v_lshl_add_u64 v[4:5], v[0:1], 3, s[10:11]
	global_load_b64 v[4:5], v[4:5], off
	s_wait_loadcnt 0x0
	s_wait_xcnt 0x0
	v_mul_f64_e32 v[4:5], s[16:17], v[4:5]
	s_branch .LBB111_12
.LBB111_9:                              ;   in Loop: Header=BB111_4 Depth=1
	s_mov_b32 s25, 0
                                        ; implicit-def: $vgpr4_vgpr5
	s_cbranch_execnz .LBB111_13
	s_branch .LBB111_23
.LBB111_10:                             ;   in Loop: Header=BB111_4 Depth=1
	s_or_b32 exec_lo, exec_lo, s19
	s_delay_alu instid0(SALU_CYCLE_1)
	s_and_b32 vcc_lo, exec_lo, s18
	s_cbranch_vccnz .LBB111_13
	s_branch .LBB111_23
.LBB111_11:                             ;   in Loop: Header=BB111_4 Depth=1
	v_mov_b64_e32 v[4:5], 0
.LBB111_12:                             ;   in Loop: Header=BB111_4 Depth=1
	s_mov_b32 s25, exec_lo
	s_or_b32 exec_lo, exec_lo, s19
	s_delay_alu instid0(SALU_CYCLE_1)
	s_and_b32 vcc_lo, exec_lo, s18
	s_cbranch_vccz .LBB111_23
.LBB111_13:                             ;   in Loop: Header=BB111_4 Depth=1
                                        ; implicit-def: $vgpr4_vgpr5
	s_and_saveexec_b32 s26, s2
	s_cbranch_execz .LBB111_22
; %bb.14:                               ;   in Loop: Header=BB111_4 Depth=1
	s_load_b32 s18, s[0:1], 0x0
	v_mov_b64_e32 v[6:7], 0
	s_wait_kmcnt 0x0
	s_cmp_ge_i32 s21, s18
	s_cbranch_scc1 .LBB111_17
; %bb.15:                               ;   in Loop: Header=BB111_4 Depth=1
	s_mov_b32 s19, s13
	v_mov_b64_e32 v[6:7], 0
	s_mul_u64 s[28:29], s[6:7], s[18:19]
	s_mov_b32 s19, s21
	v_mad_nc_u64_u32 v[4:5], s28, s12, v[2:3]
	s_delay_alu instid0(VALU_DEP_1)
	v_mad_u32 v5, s29, s12, v5
.LBB111_16:                             ;   Parent Loop BB111_4 Depth=1
                                        ; =>  This Inner Loop Header: Depth=2
	global_load_b64 v[8:9], v[4:5], off
	s_wait_xcnt 0x0
	v_add_nc_u64_e32 v[4:5], s[6:7], v[4:5]
	s_add_co_i32 s19, s19, 1
	s_delay_alu instid0(SALU_CYCLE_1)
	s_cmp_ge_i32 s19, s18
	s_wait_loadcnt 0x0
	v_add_f64_e32 v[6:7], v[6:7], v[8:9]
	s_cbranch_scc0 .LBB111_16
.LBB111_17:                             ;   in Loop: Header=BB111_4 Depth=1
	s_and_b32 vcc_lo, exec_lo, s22
	s_mov_b32 s18, -1
                                        ; implicit-def: $vgpr4_vgpr5
	s_cbranch_vccz .LBB111_19
; %bb.18:                               ;   in Loop: Header=BB111_4 Depth=1
	s_delay_alu instid0(VALU_DEP_1)
	v_mul_f64_e32 v[4:5], s[14:15], v[6:7]
	s_mov_b32 s18, 0
.LBB111_19:                             ;   in Loop: Header=BB111_4 Depth=1
	s_delay_alu instid0(SALU_CYCLE_1)
	s_and_not1_b32 vcc_lo, exec_lo, s18
	s_cbranch_vccnz .LBB111_21
; %bb.20:                               ;   in Loop: Header=BB111_4 Depth=1
	s_delay_alu instid0(VALU_DEP_3) | instskip(SKIP_4) | instid1(VALU_DEP_1)
	v_lshl_add_u64 v[4:5], v[0:1], 3, s[10:11]
	global_load_b64 v[4:5], v[4:5], off
	s_wait_loadcnt 0x0
	s_wait_xcnt 0x0
	v_mul_f64_e32 v[4:5], s[16:17], v[4:5]
	v_fmac_f64_e32 v[4:5], s[14:15], v[6:7]
.LBB111_21:                             ;   in Loop: Header=BB111_4 Depth=1
	s_or_b32 s25, s25, exec_lo
.LBB111_22:                             ;   in Loop: Header=BB111_4 Depth=1
	s_or_b32 exec_lo, exec_lo, s26
.LBB111_23:                             ;   in Loop: Header=BB111_4 Depth=1
	s_and_saveexec_b32 s18, s25
	s_cbranch_execz .LBB111_2
; %bb.24:                               ;   in Loop: Header=BB111_4 Depth=1
	s_delay_alu instid0(VALU_DEP_2)
	v_lshl_add_u64 v[6:7], v[0:1], 3, s[10:11]
	global_store_b64 v[6:7], v[4:5], off
	s_branch .LBB111_2
.LBB111_25:
	s_endpgm
	.section	.rodata,"a",@progbits
	.p2align	6, 0x0
	.amdhsa_kernel _ZL36rocblas_hemvn_kernel_lower_block_sumILi64EldPddEviT1_lS1_lT2_lT0_lPT3_i
		.amdhsa_group_segment_fixed_size 0
		.amdhsa_private_segment_fixed_size 0
		.amdhsa_kernarg_size 344
		.amdhsa_user_sgpr_count 2
		.amdhsa_user_sgpr_dispatch_ptr 0
		.amdhsa_user_sgpr_queue_ptr 0
		.amdhsa_user_sgpr_kernarg_segment_ptr 1
		.amdhsa_user_sgpr_dispatch_id 0
		.amdhsa_user_sgpr_kernarg_preload_length 0
		.amdhsa_user_sgpr_kernarg_preload_offset 0
		.amdhsa_user_sgpr_private_segment_size 0
		.amdhsa_wavefront_size32 1
		.amdhsa_uses_dynamic_stack 0
		.amdhsa_enable_private_segment 0
		.amdhsa_system_sgpr_workgroup_id_x 1
		.amdhsa_system_sgpr_workgroup_id_y 0
		.amdhsa_system_sgpr_workgroup_id_z 1
		.amdhsa_system_sgpr_workgroup_info 0
		.amdhsa_system_vgpr_workitem_id 0
		.amdhsa_next_free_vgpr 10
		.amdhsa_next_free_sgpr 30
		.amdhsa_named_barrier_count 0
		.amdhsa_reserve_vcc 1
		.amdhsa_float_round_mode_32 0
		.amdhsa_float_round_mode_16_64 0
		.amdhsa_float_denorm_mode_32 3
		.amdhsa_float_denorm_mode_16_64 3
		.amdhsa_fp16_overflow 0
		.amdhsa_memory_ordered 1
		.amdhsa_forward_progress 1
		.amdhsa_inst_pref_size 6
		.amdhsa_round_robin_scheduling 0
		.amdhsa_exception_fp_ieee_invalid_op 0
		.amdhsa_exception_fp_denorm_src 0
		.amdhsa_exception_fp_ieee_div_zero 0
		.amdhsa_exception_fp_ieee_overflow 0
		.amdhsa_exception_fp_ieee_underflow 0
		.amdhsa_exception_fp_ieee_inexact 0
		.amdhsa_exception_int_div_zero 0
	.end_amdhsa_kernel
	.section	.text._ZL36rocblas_hemvn_kernel_lower_block_sumILi64EldPddEviT1_lS1_lT2_lT0_lPT3_i,"axG",@progbits,_ZL36rocblas_hemvn_kernel_lower_block_sumILi64EldPddEviT1_lS1_lT2_lT0_lPT3_i,comdat
.Lfunc_end111:
	.size	_ZL36rocblas_hemvn_kernel_lower_block_sumILi64EldPddEviT1_lS1_lT2_lT0_lPT3_i, .Lfunc_end111-_ZL36rocblas_hemvn_kernel_lower_block_sumILi64EldPddEviT1_lS1_lT2_lT0_lPT3_i
                                        ; -- End function
	.set _ZL36rocblas_hemvn_kernel_lower_block_sumILi64EldPddEviT1_lS1_lT2_lT0_lPT3_i.num_vgpr, 10
	.set _ZL36rocblas_hemvn_kernel_lower_block_sumILi64EldPddEviT1_lS1_lT2_lT0_lPT3_i.num_agpr, 0
	.set _ZL36rocblas_hemvn_kernel_lower_block_sumILi64EldPddEviT1_lS1_lT2_lT0_lPT3_i.numbered_sgpr, 30
	.set _ZL36rocblas_hemvn_kernel_lower_block_sumILi64EldPddEviT1_lS1_lT2_lT0_lPT3_i.num_named_barrier, 0
	.set _ZL36rocblas_hemvn_kernel_lower_block_sumILi64EldPddEviT1_lS1_lT2_lT0_lPT3_i.private_seg_size, 0
	.set _ZL36rocblas_hemvn_kernel_lower_block_sumILi64EldPddEviT1_lS1_lT2_lT0_lPT3_i.uses_vcc, 1
	.set _ZL36rocblas_hemvn_kernel_lower_block_sumILi64EldPddEviT1_lS1_lT2_lT0_lPT3_i.uses_flat_scratch, 0
	.set _ZL36rocblas_hemvn_kernel_lower_block_sumILi64EldPddEviT1_lS1_lT2_lT0_lPT3_i.has_dyn_sized_stack, 0
	.set _ZL36rocblas_hemvn_kernel_lower_block_sumILi64EldPddEviT1_lS1_lT2_lT0_lPT3_i.has_recursion, 0
	.set _ZL36rocblas_hemvn_kernel_lower_block_sumILi64EldPddEviT1_lS1_lT2_lT0_lPT3_i.has_indirect_call, 0
	.section	.AMDGPU.csdata,"",@progbits
; Kernel info:
; codeLenInByte = 696
; TotalNumSgprs: 32
; NumVgprs: 10
; ScratchSize: 0
; MemoryBound: 0
; FloatMode: 240
; IeeeMode: 1
; LDSByteSize: 0 bytes/workgroup (compile time only)
; SGPRBlocks: 0
; VGPRBlocks: 0
; NumSGPRsForWavesPerEU: 32
; NumVGPRsForWavesPerEU: 10
; NamedBarCnt: 0
; Occupancy: 16
; WaveLimiterHint : 0
; COMPUTE_PGM_RSRC2:SCRATCH_EN: 0
; COMPUTE_PGM_RSRC2:USER_SGPR: 2
; COMPUTE_PGM_RSRC2:TRAP_HANDLER: 0
; COMPUTE_PGM_RSRC2:TGID_X_EN: 1
; COMPUTE_PGM_RSRC2:TGID_Y_EN: 0
; COMPUTE_PGM_RSRC2:TGID_Z_EN: 1
; COMPUTE_PGM_RSRC2:TIDIG_COMP_CNT: 0
	.section	.text._ZL26rocblas_hemvn_kernel_lowerILb0ELi64ELi4ELi33ELi32ELi16EidPKdPdEviT6_lT7_lT5_lS4_lS5_lS3_lT8_i,"axG",@progbits,_ZL26rocblas_hemvn_kernel_lowerILb0ELi64ELi4ELi33ELi32ELi16EidPKdPdEviT6_lT7_lT5_lS4_lS5_lS3_lT8_i,comdat
	.globl	_ZL26rocblas_hemvn_kernel_lowerILb0ELi64ELi4ELi33ELi32ELi16EidPKdPdEviT6_lT7_lT5_lS4_lS5_lS3_lT8_i ; -- Begin function _ZL26rocblas_hemvn_kernel_lowerILb0ELi64ELi4ELi33ELi32ELi16EidPKdPdEviT6_lT7_lT5_lS4_lS5_lS3_lT8_i
	.p2align	8
	.type	_ZL26rocblas_hemvn_kernel_lowerILb0ELi64ELi4ELi33ELi32ELi16EidPKdPdEviT6_lT7_lT5_lS4_lS5_lS3_lT8_i,@function
_ZL26rocblas_hemvn_kernel_lowerILb0ELi64ELi4ELi33ELi32ELi16EidPKdPdEviT6_lT7_lT5_lS4_lS5_lS3_lT8_i: ; @_ZL26rocblas_hemvn_kernel_lowerILb0ELi64ELi4ELi33ELi32ELi16EidPKdPdEviT6_lT7_lT5_lS4_lS5_lS3_lT8_i
; %bb.0:
	s_clause 0x1
	s_load_b64 s[2:3], s[0:1], 0x84
	s_load_b32 s19, s[0:1], 0x70
	s_bfe_u32 s4, ttmp6, 0x40014
	s_lshr_b32 s5, ttmp7, 16
	s_add_co_i32 s4, s4, 1
	s_bfe_u32 s6, ttmp6, 0x40008
	s_mul_i32 s4, s5, s4
	s_getreg_b32 s12, hwreg(HW_REG_IB_STS2, 6, 4)
	s_add_co_i32 s6, s6, s4
	s_mov_b32 s29, 0
	s_wait_kmcnt 0x0
	s_lshr_b32 s4, s2, 16
	s_and_b32 s2, s2, 0xffff
	s_and_b32 s3, s3, 0xffff
	s_mul_i32 s2, s4, s2
	s_cmp_eq_u32 s12, 0
	s_mul_i32 s2, s2, s3
	s_cselect_b32 s28, s5, s6
	s_cmp_lg_u32 s2, 0x100
	s_cselect_b32 s2, -1, 0
	s_cmp_ge_u32 s28, s19
	s_cselect_b32 s3, -1, 0
	s_delay_alu instid0(SALU_CYCLE_1) | instskip(NEXT) | instid1(SALU_CYCLE_1)
	s_or_b32 s2, s2, s3
	s_and_b32 vcc_lo, exec_lo, s2
	s_cbranch_vccnz .LBB112_79
; %bb.1:
	s_clause 0x2
	s_load_b128 s[20:23], s[0:1], 0x50
	s_load_b64 s[14:15], s[0:1], 0x8
	s_load_b32 s8, s[0:1], 0x0
	s_add_nc_u64 s[30:31], s[0:1], 0x78
	s_clause 0x4
	s_load_b128 s[4:7], s[0:1], 0x18
	s_load_b32 s86, s[0:1], 0x28
	s_load_b128 s[24:27], s[0:1], 0x30
	s_load_b96 s[16:18], s[0:1], 0x40
	s_load_b64 s[2:3], s[0:1], 0x68
	s_load_b32 s10, s[30:31], 0x0
	v_and_b32_e32 v32, 0x3ff, v0
	v_bfe_u32 v1, v0, 10, 10
	s_wait_xcnt 0x0
	s_bfe_u32 s0, ttmp6, 0x4000c
	s_and_b32 s1, ttmp6, 15
	s_add_co_i32 s0, s0, 1
	s_mov_b32 s11, s29
	v_lshl_add_u32 v6, v1, 6, v32
	v_and_b32_e32 v34, 31, v0
	s_mul_i32 s9, ttmp9, s0
	v_cmp_eq_u32_e64 s0, 0, v1
	s_add_co_i32 s1, s1, s9
	v_lshrrev_b32_e32 v7, 5, v6
	v_mul_u32_u24_e32 v16, 33, v34
	v_dual_lshlrev_b32 v88, 3, v32 :: v_dual_lshlrev_b32 v8, 3, v34
	s_wait_kmcnt 0x0
	v_cmp_neq_f64_e64 s30, s[22:23], 1.0
	v_cmp_neq_f64_e64 s14, s[14:15], 0
	s_ashr_i32 s9, s8, 31
	s_ashr_i32 s87, s86, 31
	s_cmp_eq_u32 s12, 0
	v_mad_u32 v2, s86, v7, v34
	s_cselect_b32 s33, ttmp9, s1
	s_mul_u64 s[22:23], s[10:11], s[8:9]
	s_lshl_b32 s44, s33, 6
	s_lshl_b64 s[6:7], s[6:7], 3
	v_add_nc_u32_e32 v36, s44, v32
	s_lshr_b32 s9, s9, 26
	s_add_nc_u64 s[4:5], s[4:5], s[6:7]
	s_add_co_i32 s7, s8, s9
	s_add_co_i32 s1, s10, -1
	s_and_not1_b32 s7, s7, 63
	v_ashrrev_i32_e32 v3, 31, v2
	v_mul_lo_u32 v4, s18, v36
	s_lshl_b64 s[12:13], s[16:17], 3
	s_sub_co_i32 s7, s8, s7
	s_add_nc_u64 s[10:11], s[26:27], s[12:13]
	s_mul_i32 s6, s8, s33
	s_mul_i32 s46, s86, s44
	v_dual_lshlrev_b32 v10, 2, v7 :: v_dual_add_nc_u32 v11, 24, v7
	v_dual_mov_b32 v35, 0 :: v_dual_lshlrev_b32 v17, 3, v7
	v_mul_u32_u24_e32 v14, 0x420, v7
	s_delay_alu instid0(VALU_DEP_3) | instskip(SKIP_1) | instid1(VALU_DEP_4)
	v_dual_ashrrev_i32 v5, 31, v4 :: v_dual_bitop2_b32 v15, 2, v10 bitop3:0x54
	v_cmp_eq_u32_e64 s16, 1, v7
	v_lshl_add_u32 v95, v16, 3, v17
	v_lshl_or_b32 v92, v34, 8, v8
	s_or_b32 s92, s14, s30
	s_cmp_eq_u32 s33, s1
	v_lshl_add_u64 v[38:39], v[4:5], 3, s[10:11]
	s_cselect_b32 s26, s7, 0
	v_cndmask_b32_e64 v90, 0, 1, s14
	s_cmp_eq_u32 s26, 0
	v_cmp_gt_i32_e32 vcc_lo, s26, v32
	s_cselect_b32 s1, -1, 0
	s_ashr_i32 s45, s44, 31
	s_ashr_i32 s7, s6, 31
	s_lshl_b64 s[8:9], s[44:45], 3
	s_ashr_i32 s47, s46, 31
	s_add_nc_u64 s[4:5], s[4:5], s[8:9]
	s_lshl_b64 s[6:7], s[6:7], 3
	v_lshl_add_u64 v[4:5], v[2:3], 3, s[4:5]
	s_or_b32 s93, s1, vcc_lo
	s_cmp_lg_u32 s26, 0
	s_add_nc_u64 s[30:31], s[2:3], s[6:7]
	s_cselect_b32 s17, -1, 0
	v_lshl_add_u64 v[40:41], s[46:47], 3, v[4:5]
	v_dual_add_nc_u32 v5, 8, v7 :: v_dual_add_nc_u32 v9, 16, v7
	s_sub_co_i32 s15, s26, 32
	v_mul_u32_u24_e32 v4, 0x108, v7
	v_cmp_gt_i32_e64 s2, s26, v7
	s_delay_alu instid0(VALU_DEP_3)
	v_cmp_gt_i32_e64 s3, s26, v5
	v_cmp_gt_i32_e64 s13, s15, v5
	v_mul_lo_u32 v5, v1, s86
	v_cmp_gt_i32_e64 s4, s26, v9
	v_cmp_gt_i32_e64 s12, s15, v7
	;; [unrolled: 1-line block ×3, first 2 shown]
	v_mul_i32_i24_e32 v9, 0xffffffe8, v7
	v_mad_u32_u24 v96, v7, 24, v95
	v_lshrrev_b32_e32 v7, 4, v6
	v_and_b32_e32 v12, 0x7fe0, v6
	v_or_b32_e32 v13, 1, v10
	v_cmp_lt_u32_e64 s6, v10, v34
	v_dual_mov_b32 v33, v35 :: v_dual_bitop2_b32 v10, 3, v10 bitop3:0x54
	v_cmp_le_i32_e32 vcc_lo, s26, v32
	v_lshl_add_u32 v44, v5, 2, v32
	v_and_b32_e32 v5, 15, v0
	v_sub_nc_u64_e32 v[46:47], 0, v[2:3]
	v_dual_lshlrev_b32 v2, 5, v7 :: v_dual_bitop2_b32 v0, 48, v0 bitop3:0x40
	s_lshl_b32 s34, s86, 3
	s_lshl_b32 s36, s86, 4
	s_mul_i32 s38, s86, 24
	v_add_nc_u32_e32 v93, v92, v12
	v_cmp_lt_u32_e64 s7, v13, v34
	v_mul_u32_u24_e32 v13, 0x108, v13
	v_cmp_lt_u32_e64 s9, v10, v34
	v_add_nc_u32_e32 v94, 0x2380, v12
	v_dual_ashrrev_i32 v45, 31, v44 :: v_dual_bitop2_b32 v10, 32, v34 bitop3:0x54
	s_lshl_b32 s40, s86, 5
	s_and_b32 s17, s17, vcc_lo
	s_mul_i32 s44, s18, s44
	v_mad_u32_u24 v98, 0x860, v1, v88
	v_dual_lshlrev_b32 v0, 3, v0 :: v_dual_add_nc_u32 v105, v8, v14
	v_or_b32_e32 v3, 0x78, v88
	v_mad_u32_u24 v99, 0x218, v5, v2
	v_mul_i32_i24_e32 v2, 0xffffffe8, v7
	s_ashr_i32 s35, s34, 31
	s_ashr_i32 s37, s36, 31
	;; [unrolled: 1-line block ×5, first 2 shown]
	s_xor_b32 s48, s17, -1
	s_ashr_i32 s45, s44, 31
	v_sub_nc_u64_e32 v[42:43], 0, v[34:35]
	s_cmp_gt_i32 s33, 0
	v_sub_nc_u64_e32 v[48:49], 0, v[32:33]
	v_add_nc_u32_e32 v89, 0x2380, v88
	v_cndmask_b32_e64 v91, 0, 1, s1
	v_cmp_gt_i32_e64 s1, s26, v34
	v_cmp_gt_i32_e64 s5, s26, v11
	v_cmp_lt_u32_e64 s8, v15, v34
	v_cmp_gt_u32_e64 s10, 32, v6
	v_cmp_gt_i32_e64 s11, s26, v10
	v_cmp_gt_i32_e64 s15, s15, v11
	s_cselect_b32 s94, -1, 0
	s_lshl_b32 s95, s18, 6
	v_add_nc_u32_e32 v33, 0x2180, v88
	v_lshl_add_u32 v97, v1, 5, 0x2180
	v_cmp_gt_u32_e64 s18, 64, v6
	v_mad_u32_u24 v100, 0x218, v5, v0
	v_mad_u32_u24 v101, 0x218, v5, v3
	v_mad_i32_i24 v102, 0xfffff9b8, v1, v98
	v_dual_ashrrev_i32 v37, 31, v36 :: v_dual_add_nc_u32 v106, v8, v13
	v_add_nc_u32_e32 v103, 0x2380, v17
	v_dual_add_nc_u32 v104, v8, v4 :: v_dual_add_nc_u32 v107, v94, v9
	v_add_nc_u32_e32 v108, v99, v2
	v_lshlrev_b32_e32 v34, 3, v34
	s_sub_nc_u64 s[42:43], 0, s[40:41]
	s_sub_nc_u64 s[44:45], 0, s[44:45]
	s_sub_nc_u64 s[46:47], 0, s[46:47]
	s_and_b32 s96, s0, s48
	s_lshl_b64 s[48:49], s[86:87], 6
	s_sub_nc_u64 s[50:51], 0, s[26:27]
	s_lshl_b64 s[52:53], s[86:87], 3
	s_lshl_b64 s[54:55], s[86:87], 9
	;; [unrolled: 1-line block ×3, first 2 shown]
	s_mul_u64 s[58:59], s[86:87], 24
	s_mul_u64 s[60:61], s[86:87], 0x90
	;; [unrolled: 1-line block ×10, first 2 shown]
	s_mov_b64 s[78:79], 0xfffffffffffffef8
	s_mov_b64 s[80:81], 0xffffffffffffff00
	s_lshl_b64 s[82:83], s[86:87], 8
	s_mul_u64 s[84:85], s[86:87], 0x88
	s_lshl_b64 s[86:87], s[86:87], 7
	s_branch .LBB112_4
.LBB112_2:                              ;   in Loop: Header=BB112_4 Depth=1
	s_wait_xcnt 0x0
	s_or_b32 exec_lo, exec_lo, s90
.LBB112_3:                              ;   in Loop: Header=BB112_4 Depth=1
	s_add_co_i32 s28, s28, 0x10000
	s_delay_alu instid0(SALU_CYCLE_1)
	s_cmp_lt_u32 s28, s19
	s_cbranch_scc0 .LBB112_79
.LBB112_4:                              ; =>This Loop Header: Depth=1
                                        ;     Child Loop BB112_67 Depth 2
	s_and_not1_b32 vcc_lo, exec_lo, s92
	s_cbranch_vccnz .LBB112_3
; %bb.5:                                ;   in Loop: Header=BB112_4 Depth=1
	v_cmp_ne_u32_e32 vcc_lo, 1, v90
	s_cbranch_vccnz .LBB112_3
; %bb.6:                                ;   in Loop: Header=BB112_4 Depth=1
	s_mul_u64 s[88:89], s[20:21], s[28:29]
	s_delay_alu instid0(SALU_CYCLE_1)
	v_lshl_add_u64 v[16:17], s[88:89], 3, v[38:39]
	s_and_saveexec_b32 s88, s0
	s_cbranch_execz .LBB112_10
; %bb.7:                                ;   in Loop: Header=BB112_4 Depth=1
	v_mov_b64_e32 v[0:1], 0
	s_and_saveexec_b32 s89, s93
	s_cbranch_execz .LBB112_9
; %bb.8:                                ;   in Loop: Header=BB112_4 Depth=1
	global_load_b64 v[0:1], v[16:17], off
.LBB112_9:                              ;   in Loop: Header=BB112_4 Depth=1
	s_wait_xcnt 0x0
	s_or_b32 exec_lo, exec_lo, s89
	s_wait_loadcnt 0x0
	ds_store_b64 v89, v[0:1]
.LBB112_10:                             ;   in Loop: Header=BB112_4 Depth=1
	s_or_b32 exec_lo, exec_lo, s88
	v_cmp_ne_u32_e32 vcc_lo, 1, v91
	s_mul_u64 s[88:89], s[24:25], s[28:29]
	s_delay_alu instid0(SALU_CYCLE_1)
	v_lshl_add_u64 v[0:1], s[88:89], 3, v[40:41]
	s_mov_b32 s88, -1
	s_cbranch_vccnz .LBB112_12
; %bb.11:                               ;   in Loop: Header=BB112_4 Depth=1
	s_delay_alu instid0(VALU_DEP_1) | instskip(SKIP_1) | instid1(VALU_DEP_1)
	v_lshl_add_u64 v[2:3], s[34:35], 3, v[0:1]
	s_mov_b32 s88, 0
	v_add_nc_u64_e32 v[4:5], s[48:49], v[2:3]
	s_delay_alu instid0(VALU_DEP_1)
	v_add_nc_u64_e32 v[6:7], s[48:49], v[4:5]
	s_clause 0x3
	global_load_b64 v[8:9], v[0:1], off
	global_load_b64 v[2:3], v[2:3], off
	;; [unrolled: 1-line block ×4, first 2 shown]
	s_wait_loadcnt 0x3
	ds_store_b64 v104, v[8:9]
	s_wait_loadcnt 0x2
	ds_store_b64 v104, v[2:3] offset:2112
	s_wait_loadcnt 0x1
	ds_store_b64 v104, v[4:5] offset:4224
	;; [unrolled: 2-line block ×3, first 2 shown]
.LBB112_12:                             ;   in Loop: Header=BB112_4 Depth=1
	s_and_not1_b32 vcc_lo, exec_lo, s88
	s_cbranch_vccnz .LBB112_22
; %bb.13:                               ;   in Loop: Header=BB112_4 Depth=1
	s_wait_xcnt 0x2
	v_lshl_add_u64 v[2:3], v[42:43], 3, v[0:1]
	s_wait_xcnt 0x0
	v_mov_b64_e32 v[6:7], 0
	v_mov_b64_e32 v[4:5], 0
	s_delay_alu instid0(VALU_DEP_3) | instskip(NEXT) | instid1(VALU_DEP_1)
	v_lshl_add_u64 v[2:3], s[26:27], 3, v[2:3]
	v_add_nc_u64_e32 v[2:3], -8, v[2:3]
	s_delay_alu instid0(VALU_DEP_1)
	v_dual_cndmask_b32 v3, v3, v1, s1 :: v_dual_cndmask_b32 v2, v2, v0, s1
	s_and_saveexec_b32 s88, s2
	s_cbranch_execz .LBB112_15
; %bb.14:                               ;   in Loop: Header=BB112_4 Depth=1
	global_load_b64 v[4:5], v[2:3], off
.LBB112_15:                             ;   in Loop: Header=BB112_4 Depth=1
	s_wait_xcnt 0x0
	s_or_b32 exec_lo, exec_lo, s88
	s_wait_loadcnt 0x0
	ds_store_b64 v104, v[4:5]
	s_and_saveexec_b32 s88, s3
	s_cbranch_execz .LBB112_17
; %bb.16:                               ;   in Loop: Header=BB112_4 Depth=1
	v_lshl_add_u64 v[4:5], s[34:35], 3, v[2:3]
	global_load_b64 v[6:7], v[4:5], off
.LBB112_17:                             ;   in Loop: Header=BB112_4 Depth=1
	s_wait_xcnt 0x0
	s_or_b32 exec_lo, exec_lo, s88
	v_mov_b64_e32 v[4:5], 0
	v_mov_b64_e32 v[8:9], 0
	s_wait_loadcnt 0x0
	ds_store_b64 v104, v[6:7] offset:2112
	s_and_saveexec_b32 s88, s4
	s_cbranch_execz .LBB112_19
; %bb.18:                               ;   in Loop: Header=BB112_4 Depth=1
	v_lshl_add_u64 v[6:7], s[36:37], 3, v[2:3]
	global_load_b64 v[8:9], v[6:7], off
.LBB112_19:                             ;   in Loop: Header=BB112_4 Depth=1
	s_wait_xcnt 0x0
	s_or_b32 exec_lo, exec_lo, s88
	s_wait_loadcnt 0x0
	ds_store_b64 v104, v[8:9] offset:4224
	s_and_saveexec_b32 s88, s5
	s_cbranch_execz .LBB112_21
; %bb.20:                               ;   in Loop: Header=BB112_4 Depth=1
	v_lshl_add_u64 v[4:5], s[38:39], 3, v[2:3]
	global_load_b64 v[4:5], v[4:5], off
.LBB112_21:                             ;   in Loop: Header=BB112_4 Depth=1
	s_wait_xcnt 0x0
	s_or_b32 exec_lo, exec_lo, s88
	v_add_nc_u64_e32 v[2:3], v[2:3], v[34:35]
	s_wait_loadcnt 0x0
	ds_store_b64 v104, v[4:5] offset:6336
	v_lshl_add_u64 v[2:3], s[50:51], 3, v[2:3]
	s_delay_alu instid0(VALU_DEP_1) | instskip(NEXT) | instid1(VALU_DEP_1)
	v_add_nc_u64_e32 v[2:3], 8, v[2:3]
	v_dual_cndmask_b32 v1, v3, v1, s1 :: v_dual_cndmask_b32 v0, v2, v0, s1
.LBB112_22:                             ;   in Loop: Header=BB112_4 Depth=1
	s_wait_dscnt 0x0
	s_barrier_signal -1
	s_barrier_wait -1
	s_wait_xcnt 0x0
	s_and_saveexec_b32 s88, s6
	s_cbranch_execnz .LBB112_73
; %bb.23:                               ;   in Loop: Header=BB112_4 Depth=1
	s_or_b32 exec_lo, exec_lo, s88
	s_and_saveexec_b32 s88, s7
	s_cbranch_execnz .LBB112_74
.LBB112_24:                             ;   in Loop: Header=BB112_4 Depth=1
	s_or_b32 exec_lo, exec_lo, s88
	s_and_saveexec_b32 s88, s8
	s_cbranch_execnz .LBB112_75
.LBB112_25:                             ;   in Loop: Header=BB112_4 Depth=1
	s_or_b32 exec_lo, exec_lo, s88
	s_and_saveexec_b32 s88, s9
	s_cbranch_execz .LBB112_27
.LBB112_26:                             ;   in Loop: Header=BB112_4 Depth=1
	ds_load_b64 v[2:3], v106 offset:528
	s_wait_dscnt 0x0
	ds_store_b64 v93, v[2:3] offset:24
.LBB112_27:                             ;   in Loop: Header=BB112_4 Depth=1
	s_or_b32 exec_lo, exec_lo, s88
	s_wait_dscnt 0x0
	s_barrier_signal -1
	s_barrier_wait -1
	ds_load_b64 v[10:11], v105
	ds_load_b128 v[2:5], v94
	ds_load_b128 v[6:9], v94 offset:16
	ds_load_b64 v[14:15], v106 offset:528
	v_mov_b64_e32 v[50:51], 0
	s_wait_dscnt 0x2
	v_fma_f64 v[2:3], v[10:11], v[2:3], 0
	ds_load_2addr_b64 v[10:13], v106 offset1:33
	s_wait_dscnt 0x0
	s_barrier_signal -1
	s_barrier_wait -1
	v_fmac_f64_e32 v[2:3], v[10:11], v[4:5]
	s_delay_alu instid0(VALU_DEP_1) | instskip(NEXT) | instid1(VALU_DEP_1)
	v_fmac_f64_e32 v[2:3], v[12:13], v[6:7]
	v_fmac_f64_e32 v[2:3], v[14:15], v[8:9]
	ds_store_b64 v95, v[2:3]
	s_wait_dscnt 0x0
	s_barrier_signal -1
	s_barrier_wait -1
	s_and_saveexec_b32 s88, s10
	s_cbranch_execz .LBB112_29
; %bb.28:                               ;   in Loop: Header=BB112_4 Depth=1
	ds_load_2addr_b64 v[2:5], v92 offset1:1
	ds_load_2addr_b64 v[6:9], v92 offset0:2 offset1:3
	s_wait_dscnt 0x1
	v_add_f64_e32 v[2:3], v[2:3], v[4:5]
	s_wait_dscnt 0x0
	s_delay_alu instid0(VALU_DEP_1) | instskip(NEXT) | instid1(VALU_DEP_1)
	v_add_f64_e32 v[2:3], v[2:3], v[6:7]
	v_add_f64_e32 v[10:11], v[2:3], v[8:9]
	ds_load_2addr_b64 v[2:5], v92 offset0:4 offset1:5
	ds_load_2addr_b64 v[6:9], v92 offset0:6 offset1:7
	s_wait_dscnt 0x1
	v_add_f64_e32 v[2:3], v[10:11], v[2:3]
	s_delay_alu instid0(VALU_DEP_1) | instskip(SKIP_1) | instid1(VALU_DEP_1)
	v_add_f64_e32 v[2:3], v[2:3], v[4:5]
	s_wait_dscnt 0x0
	v_add_f64_e32 v[2:3], v[2:3], v[6:7]
	s_delay_alu instid0(VALU_DEP_1)
	v_add_f64_e32 v[50:51], v[2:3], v[8:9]
.LBB112_29:                             ;   in Loop: Header=BB112_4 Depth=1
	s_or_b32 exec_lo, exec_lo, s88
	v_cmp_ne_u32_e32 vcc_lo, 1, v91
	v_lshl_add_u64 v[2:3], s[40:41], 3, v[0:1]
	s_mov_b32 s88, -1
	s_barrier_signal -1
	s_barrier_wait -1
	s_cbranch_vccnz .LBB112_31
; %bb.30:                               ;   in Loop: Header=BB112_4 Depth=1
	v_lshl_add_u64 v[0:1], s[34:35], 3, v[2:3]
	s_mov_b32 s88, 0
	s_delay_alu instid0(VALU_DEP_1) | instskip(NEXT) | instid1(VALU_DEP_1)
	v_add_nc_u64_e32 v[4:5], s[48:49], v[0:1]
	v_add_nc_u64_e32 v[6:7], s[48:49], v[4:5]
	s_clause 0x3
	global_load_b64 v[8:9], v[2:3], off offset:256
	global_load_b64 v[0:1], v[0:1], off offset:256
	;; [unrolled: 1-line block ×4, first 2 shown]
	s_wait_loadcnt 0x3
	ds_store_b64 v104, v[8:9]
	s_wait_loadcnt 0x2
	ds_store_b64 v104, v[0:1] offset:2112
	s_wait_loadcnt 0x1
	ds_store_b64 v104, v[4:5] offset:4224
	s_wait_loadcnt 0x0
	ds_store_b64 v104, v[6:7] offset:6336
.LBB112_31:                             ;   in Loop: Header=BB112_4 Depth=1
	s_wait_xcnt 0x2
	v_add_nc_u64_e32 v[0:1], 0x100, v[2:3]
	s_and_not1_b32 vcc_lo, exec_lo, s88
	s_cbranch_vccnz .LBB112_41
; %bb.32:                               ;   in Loop: Header=BB112_4 Depth=1
	v_lshl_add_u64 v[2:3], v[42:43], 3, v[2:3]
	s_wait_xcnt 0x0
	v_mov_b64_e32 v[6:7], 0
	v_mov_b64_e32 v[4:5], 0
	s_delay_alu instid0(VALU_DEP_3) | instskip(NEXT) | instid1(VALU_DEP_1)
	v_lshl_add_u64 v[2:3], s[26:27], 3, v[2:3]
	v_add_nc_u64_e32 v[2:3], -8, v[2:3]
	s_delay_alu instid0(VALU_DEP_1)
	v_dual_cndmask_b32 v3, v3, v1, s11 :: v_dual_cndmask_b32 v2, v2, v0, s11
	s_and_saveexec_b32 s88, s12
	s_cbranch_execz .LBB112_34
; %bb.33:                               ;   in Loop: Header=BB112_4 Depth=1
	global_load_b64 v[4:5], v[2:3], off
.LBB112_34:                             ;   in Loop: Header=BB112_4 Depth=1
	s_wait_xcnt 0x0
	s_or_b32 exec_lo, exec_lo, s88
	s_wait_loadcnt 0x0
	ds_store_b64 v104, v[4:5]
	s_and_saveexec_b32 s88, s13
	s_cbranch_execz .LBB112_36
; %bb.35:                               ;   in Loop: Header=BB112_4 Depth=1
	v_lshl_add_u64 v[4:5], s[34:35], 3, v[2:3]
	global_load_b64 v[6:7], v[4:5], off
.LBB112_36:                             ;   in Loop: Header=BB112_4 Depth=1
	s_wait_xcnt 0x0
	s_or_b32 exec_lo, exec_lo, s88
	v_mov_b64_e32 v[4:5], 0
	v_mov_b64_e32 v[8:9], 0
	s_wait_loadcnt 0x0
	ds_store_b64 v104, v[6:7] offset:2112
	s_and_saveexec_b32 s88, s14
	s_cbranch_execz .LBB112_38
; %bb.37:                               ;   in Loop: Header=BB112_4 Depth=1
	v_lshl_add_u64 v[6:7], s[36:37], 3, v[2:3]
	global_load_b64 v[8:9], v[6:7], off
.LBB112_38:                             ;   in Loop: Header=BB112_4 Depth=1
	s_wait_xcnt 0x0
	s_or_b32 exec_lo, exec_lo, s88
	s_wait_loadcnt 0x0
	ds_store_b64 v104, v[8:9] offset:4224
	s_and_saveexec_b32 s88, s15
	s_cbranch_execz .LBB112_40
; %bb.39:                               ;   in Loop: Header=BB112_4 Depth=1
	v_lshl_add_u64 v[4:5], s[38:39], 3, v[2:3]
	global_load_b64 v[4:5], v[4:5], off
.LBB112_40:                             ;   in Loop: Header=BB112_4 Depth=1
	s_wait_xcnt 0x0
	s_or_b32 exec_lo, exec_lo, s88
	v_add_nc_u64_e32 v[2:3], v[2:3], v[34:35]
	s_wait_loadcnt 0x0
	ds_store_b64 v104, v[4:5] offset:6336
	v_lshl_add_u64 v[2:3], s[50:51], 3, v[2:3]
	s_delay_alu instid0(VALU_DEP_1) | instskip(NEXT) | instid1(VALU_DEP_1)
	v_add_nc_u64_e32 v[2:3], 0x108, v[2:3]
	v_dual_cndmask_b32 v1, v3, v1, s11 :: v_dual_cndmask_b32 v0, v2, v0, s11
.LBB112_41:                             ;   in Loop: Header=BB112_4 Depth=1
	s_wait_dscnt 0x0
	s_barrier_signal -1
	s_barrier_wait -1
	s_wait_xcnt 0x0
	s_and_saveexec_b32 s88, s6
	s_cbranch_execnz .LBB112_76
; %bb.42:                               ;   in Loop: Header=BB112_4 Depth=1
	s_or_b32 exec_lo, exec_lo, s88
	s_and_saveexec_b32 s88, s7
	s_cbranch_execnz .LBB112_77
.LBB112_43:                             ;   in Loop: Header=BB112_4 Depth=1
	s_or_b32 exec_lo, exec_lo, s88
	s_and_saveexec_b32 s88, s8
	s_cbranch_execnz .LBB112_78
.LBB112_44:                             ;   in Loop: Header=BB112_4 Depth=1
	s_or_b32 exec_lo, exec_lo, s88
	s_and_saveexec_b32 s88, s9
	s_cbranch_execz .LBB112_46
.LBB112_45:                             ;   in Loop: Header=BB112_4 Depth=1
	ds_load_b64 v[2:3], v106 offset:528
	s_wait_dscnt 0x0
	ds_store_b64 v93, v[2:3] offset:24
.LBB112_46:                             ;   in Loop: Header=BB112_4 Depth=1
	s_or_b32 exec_lo, exec_lo, s88
	s_wait_dscnt 0x0
	s_barrier_signal -1
	s_barrier_wait -1
	ds_load_b64 v[10:11], v105
	ds_load_b128 v[2:5], v94 offset:256
	ds_load_b128 v[6:9], v94 offset:272
	ds_load_b64 v[14:15], v106 offset:528
	s_wait_dscnt 0x2
	v_fma_f64 v[2:3], v[10:11], v[2:3], 0
	ds_load_2addr_b64 v[10:13], v106 offset1:33
	s_wait_dscnt 0x0
	s_barrier_signal -1
	s_barrier_wait -1
	v_fmac_f64_e32 v[2:3], v[10:11], v[4:5]
	s_delay_alu instid0(VALU_DEP_1) | instskip(NEXT) | instid1(VALU_DEP_1)
	v_fmac_f64_e32 v[2:3], v[12:13], v[6:7]
	v_fmac_f64_e32 v[2:3], v[14:15], v[8:9]
	ds_store_b64 v95, v[2:3]
	s_wait_dscnt 0x0
	s_barrier_signal -1
	s_barrier_wait -1
	s_and_saveexec_b32 s88, s16
	s_cbranch_execz .LBB112_48
; %bb.47:                               ;   in Loop: Header=BB112_4 Depth=1
	ds_load_2addr_b64 v[2:5], v92 offset1:1
	ds_load_2addr_b64 v[6:9], v92 offset0:2 offset1:3
	s_wait_dscnt 0x1
	v_add_f64_e32 v[2:3], v[2:3], v[4:5]
	s_wait_dscnt 0x0
	s_delay_alu instid0(VALU_DEP_1) | instskip(NEXT) | instid1(VALU_DEP_1)
	v_add_f64_e32 v[2:3], v[2:3], v[6:7]
	v_add_f64_e32 v[10:11], v[2:3], v[8:9]
	ds_load_2addr_b64 v[2:5], v92 offset0:4 offset1:5
	ds_load_2addr_b64 v[6:9], v92 offset0:6 offset1:7
	s_wait_dscnt 0x1
	v_add_f64_e32 v[2:3], v[10:11], v[2:3]
	s_delay_alu instid0(VALU_DEP_1) | instskip(SKIP_1) | instid1(VALU_DEP_1)
	v_add_f64_e32 v[2:3], v[2:3], v[4:5]
	s_wait_dscnt 0x0
	v_add_f64_e32 v[2:3], v[2:3], v[6:7]
	s_delay_alu instid0(VALU_DEP_1)
	v_add_f64_e32 v[50:51], v[2:3], v[8:9]
.LBB112_48:                             ;   in Loop: Header=BB112_4 Depth=1
	s_or_b32 exec_lo, exec_lo, s88
	v_cmp_ne_u32_e32 vcc_lo, 1, v91
	v_lshl_add_u64 v[18:19], s[42:43], 3, v[0:1]
	s_mov_b32 s88, -1
	s_barrier_signal -1
	s_barrier_wait -1
	s_cbranch_vccnz .LBB112_50
; %bb.49:                               ;   in Loop: Header=BB112_4 Depth=1
	v_lshl_add_u64 v[0:1], s[34:35], 3, v[18:19]
	s_mov_b32 s88, 0
	s_delay_alu instid0(VALU_DEP_1) | instskip(NEXT) | instid1(VALU_DEP_1)
	v_add_nc_u64_e32 v[2:3], s[48:49], v[0:1]
	v_add_nc_u64_e32 v[4:5], s[48:49], v[2:3]
	s_clause 0x3
	global_load_b64 v[6:7], v[18:19], off
	global_load_b64 v[0:1], v[0:1], off
	;; [unrolled: 1-line block ×4, first 2 shown]
	s_wait_loadcnt 0x3
	ds_store_b64 v104, v[6:7]
	s_wait_loadcnt 0x2
	ds_store_b64 v104, v[0:1] offset:2112
	s_wait_loadcnt 0x1
	ds_store_b64 v104, v[2:3] offset:4224
	s_wait_loadcnt 0x0
	ds_store_b64 v104, v[4:5] offset:6336
.LBB112_50:                             ;   in Loop: Header=BB112_4 Depth=1
	s_and_not1_b32 vcc_lo, exec_lo, s88
	s_cbranch_vccnz .LBB112_60
; %bb.51:                               ;   in Loop: Header=BB112_4 Depth=1
	s_wait_xcnt 0x2
	v_lshl_add_u64 v[0:1], v[42:43], 3, v[18:19]
	s_wait_xcnt 0x0
	v_mov_b64_e32 v[4:5], 0
	v_mov_b64_e32 v[2:3], 0
	s_delay_alu instid0(VALU_DEP_3) | instskip(NEXT) | instid1(VALU_DEP_1)
	v_lshl_add_u64 v[0:1], s[26:27], 3, v[0:1]
	v_add_nc_u64_e32 v[0:1], s[78:79], v[0:1]
	s_delay_alu instid0(VALU_DEP_1)
	v_dual_cndmask_b32 v1, v1, v19, s11 :: v_dual_cndmask_b32 v0, v0, v18, s11
	s_and_saveexec_b32 s88, s2
	s_cbranch_execz .LBB112_53
; %bb.52:                               ;   in Loop: Header=BB112_4 Depth=1
	global_load_b64 v[2:3], v[0:1], off
.LBB112_53:                             ;   in Loop: Header=BB112_4 Depth=1
	s_wait_xcnt 0x0
	s_or_b32 exec_lo, exec_lo, s88
	s_wait_loadcnt 0x0
	ds_store_b64 v104, v[2:3]
	s_and_saveexec_b32 s88, s3
	s_cbranch_execz .LBB112_55
; %bb.54:                               ;   in Loop: Header=BB112_4 Depth=1
	v_lshl_add_u64 v[2:3], s[34:35], 3, v[0:1]
	global_load_b64 v[4:5], v[2:3], off
.LBB112_55:                             ;   in Loop: Header=BB112_4 Depth=1
	s_wait_xcnt 0x0
	s_or_b32 exec_lo, exec_lo, s88
	v_mov_b64_e32 v[2:3], 0
	v_mov_b64_e32 v[6:7], 0
	s_wait_loadcnt 0x0
	ds_store_b64 v104, v[4:5] offset:2112
	s_and_saveexec_b32 s88, s4
	s_cbranch_execz .LBB112_57
; %bb.56:                               ;   in Loop: Header=BB112_4 Depth=1
	v_lshl_add_u64 v[4:5], s[36:37], 3, v[0:1]
	global_load_b64 v[6:7], v[4:5], off
.LBB112_57:                             ;   in Loop: Header=BB112_4 Depth=1
	s_wait_xcnt 0x0
	s_or_b32 exec_lo, exec_lo, s88
	s_wait_loadcnt 0x0
	ds_store_b64 v104, v[6:7] offset:4224
	s_and_saveexec_b32 s88, s5
	s_cbranch_execz .LBB112_59
; %bb.58:                               ;   in Loop: Header=BB112_4 Depth=1
	v_lshl_add_u64 v[2:3], s[38:39], 3, v[0:1]
	global_load_b64 v[2:3], v[2:3], off
.LBB112_59:                             ;   in Loop: Header=BB112_4 Depth=1
	s_wait_xcnt 0x0
	s_or_b32 exec_lo, exec_lo, s88
	v_add_nc_u64_e32 v[0:1], v[0:1], v[34:35]
	s_wait_loadcnt 0x0
	ds_store_b64 v104, v[2:3] offset:6336
	v_lshl_add_u64 v[0:1], s[50:51], 3, v[0:1]
	s_delay_alu instid0(VALU_DEP_1) | instskip(NEXT) | instid1(VALU_DEP_1)
	v_add_nc_u64_e32 v[0:1], 0x108, v[0:1]
	v_dual_cndmask_b32 v19, v1, v19, s11 :: v_dual_cndmask_b32 v18, v0, v18, s11
.LBB112_60:                             ;   in Loop: Header=BB112_4 Depth=1
	s_wait_dscnt 0x0
	s_barrier_signal -1
	s_barrier_wait -1
	s_wait_xcnt 0x2
	ds_load_b64 v[0:1], v104
	s_wait_xcnt 0x1
	ds_load_b64 v[2:3], v107
	s_wait_xcnt 0x0
	ds_load_b64 v[4:5], v104 offset:6336
	ds_load_b64 v[6:7], v104 offset:2112
	;; [unrolled: 1-line block ×4, first 2 shown]
	s_wait_dscnt 0x4
	v_fma_f64 v[20:21], v[0:1], v[2:3], 0
	ds_load_2addr_b64 v[0:3], v103 offset0:8 offset1:16
	s_wait_dscnt 0x0
	v_fmac_f64_e32 v[20:21], v[6:7], v[0:1]
	s_delay_alu instid0(VALU_DEP_1) | instskip(NEXT) | instid1(VALU_DEP_1)
	v_fmac_f64_e32 v[20:21], v[8:9], v[2:3]
	v_fmac_f64_e32 v[20:21], v[4:5], v[10:11]
	ds_load_b128 v[8:11], v94 offset:256
	ds_load_b128 v[0:3], v94 offset:272
	ds_load_2addr_b64 v[12:15], v96 offset1:1
	ds_load_2addr_b64 v[4:7], v96 offset0:2 offset1:3
	s_wait_dscnt 0x0
	s_barrier_signal -1
	s_barrier_wait -1
	ds_store_b64 v95, v[20:21]
	s_wait_dscnt 0x0
	s_barrier_signal -1
	s_barrier_wait -1
	s_and_saveexec_b32 s88, s16
	s_cbranch_execz .LBB112_62
; %bb.61:                               ;   in Loop: Header=BB112_4 Depth=1
	ds_load_2addr_b64 v[20:23], v92 offset1:1
	ds_load_2addr_b64 v[24:27], v92 offset0:2 offset1:3
	s_wait_dscnt 0x1
	v_add_f64_e32 v[20:21], v[50:51], v[20:21]
	s_delay_alu instid0(VALU_DEP_1) | instskip(SKIP_1) | instid1(VALU_DEP_1)
	v_add_f64_e32 v[20:21], v[20:21], v[22:23]
	s_wait_dscnt 0x0
	v_add_f64_e32 v[20:21], v[20:21], v[24:25]
	s_delay_alu instid0(VALU_DEP_1) | instskip(SKIP_4) | instid1(VALU_DEP_1)
	v_add_f64_e32 v[28:29], v[20:21], v[26:27]
	ds_load_2addr_b64 v[20:23], v92 offset0:4 offset1:5
	ds_load_2addr_b64 v[24:27], v92 offset0:6 offset1:7
	s_wait_dscnt 0x1
	v_add_f64_e32 v[20:21], v[28:29], v[20:21]
	v_add_f64_e32 v[20:21], v[20:21], v[22:23]
	s_wait_dscnt 0x0
	s_delay_alu instid0(VALU_DEP_1) | instskip(NEXT) | instid1(VALU_DEP_1)
	v_add_f64_e32 v[20:21], v[20:21], v[24:25]
	v_add_f64_e32 v[50:51], v[20:21], v[26:27]
.LBB112_62:                             ;   in Loop: Header=BB112_4 Depth=1
	s_or_b32 exec_lo, exec_lo, s88
	v_fma_f64 v[8:9], v[12:13], v[8:9], 0
	s_barrier_signal -1
	s_barrier_wait -1
	s_delay_alu instid0(VALU_DEP_1) | instskip(NEXT) | instid1(VALU_DEP_1)
	v_fmac_f64_e32 v[8:9], v[14:15], v[10:11]
	v_fmac_f64_e32 v[8:9], v[4:5], v[0:1]
	s_delay_alu instid0(VALU_DEP_1)
	v_fmac_f64_e32 v[8:9], v[6:7], v[2:3]
	ds_store_b64 v95, v[8:9]
	s_wait_dscnt 0x0
	s_barrier_signal -1
	s_barrier_wait -1
	s_and_saveexec_b32 s88, s10
	s_cbranch_execz .LBB112_64
; %bb.63:                               ;   in Loop: Header=BB112_4 Depth=1
	ds_load_2addr_b64 v[0:3], v92 offset1:1
	ds_load_2addr_b64 v[4:7], v92 offset0:2 offset1:3
	s_wait_dscnt 0x1
	v_add_f64_e32 v[0:1], v[50:51], v[0:1]
	s_delay_alu instid0(VALU_DEP_1) | instskip(SKIP_1) | instid1(VALU_DEP_1)
	v_add_f64_e32 v[0:1], v[0:1], v[2:3]
	s_wait_dscnt 0x0
	v_add_f64_e32 v[0:1], v[0:1], v[4:5]
	s_delay_alu instid0(VALU_DEP_1) | instskip(SKIP_4) | instid1(VALU_DEP_1)
	v_add_f64_e32 v[8:9], v[0:1], v[6:7]
	ds_load_2addr_b64 v[0:3], v92 offset0:4 offset1:5
	ds_load_2addr_b64 v[4:7], v92 offset0:6 offset1:7
	s_wait_dscnt 0x1
	v_add_f64_e32 v[0:1], v[8:9], v[0:1]
	v_add_f64_e32 v[0:1], v[0:1], v[2:3]
	s_wait_dscnt 0x0
	s_delay_alu instid0(VALU_DEP_1) | instskip(NEXT) | instid1(VALU_DEP_1)
	v_add_f64_e32 v[0:1], v[0:1], v[4:5]
	v_add_f64_e32 v[50:51], v[0:1], v[6:7]
.LBB112_64:                             ;   in Loop: Header=BB112_4 Depth=1
	s_or_b32 exec_lo, exec_lo, s88
	s_mul_u64 s[88:89], s[22:23], s[28:29]
	s_and_not1_b32 vcc_lo, exec_lo, s94
	s_lshl_b64 s[88:89], s[88:89], 3
	s_delay_alu instid0(SALU_CYCLE_1)
	s_add_nc_u64 s[88:89], s[30:31], s[88:89]
	s_barrier_signal -1
	s_barrier_wait -1
	s_cbranch_vccnz .LBB112_71
; %bb.65:                               ;   in Loop: Header=BB112_4 Depth=1
	v_lshl_add_u64 v[0:1], s[46:47], 3, v[18:19]
	v_lshl_add_u64 v[52:53], s[44:45], 3, v[16:17]
	v_mov_b32_e32 v109, v32
	s_mov_b32 s90, 0
	s_mov_b32 s97, s33
	v_lshl_add_u64 v[0:1], v[46:47], 3, v[0:1]
	s_delay_alu instid0(VALU_DEP_1) | instskip(NEXT) | instid1(VALU_DEP_1)
	v_lshl_add_u64 v[0:1], v[44:45], 3, v[0:1]
	v_lshl_add_u64 v[2:3], v[48:49], 3, v[0:1]
	v_add_nc_u64_e32 v[0:1], s[80:81], v[0:1]
	s_delay_alu instid0(VALU_DEP_2) | instskip(NEXT) | instid1(VALU_DEP_1)
	v_lshl_add_u64 v[2:3], s[26:27], 3, v[2:3]
	v_add_nc_u64_e32 v[2:3], s[78:79], v[2:3]
	s_delay_alu instid0(VALU_DEP_1)
	v_dual_cndmask_b32 v55, v1, v3, s17 :: v_dual_cndmask_b32 v54, v0, v2, s17
	s_branch .LBB112_67
.LBB112_66:                             ;   in Loop: Header=BB112_67 Depth=2
	s_wait_xcnt 0x0
	s_or_b32 exec_lo, exec_lo, s91
	v_fmac_f64_e32 v[50:51], v[56:57], v[4:5]
	v_add_nc_u64_e32 v[54:55], s[54:55], v[54:55]
	v_add_nc_u32_e32 v109, 64, v109
	s_add_co_i32 s97, s97, -1
	s_add_co_i32 s90, s90, s95
	s_cmp_eq_u32 s97, 0
	s_wait_storecnt 0x0
	s_barrier_signal -1
	s_barrier_wait -1
	s_delay_alu instid0(VALU_DEP_3) | instskip(NEXT) | instid1(VALU_DEP_1)
	v_fmac_f64_e32 v[50:51], v[58:59], v[6:7]
	v_fmac_f64_e32 v[50:51], v[60:61], v[0:1]
	s_delay_alu instid0(VALU_DEP_1) | instskip(NEXT) | instid1(VALU_DEP_1)
	v_fmac_f64_e32 v[50:51], v[62:63], v[2:3]
	v_fmac_f64_e32 v[50:51], v[64:65], v[12:13]
	s_delay_alu instid0(VALU_DEP_1) | instskip(NEXT) | instid1(VALU_DEP_1)
	;; [unrolled: 3-line block ×6, first 2 shown]
	v_fmac_f64_e32 v[50:51], v[82:83], v[30:31]
	v_fmac_f64_e32 v[50:51], v[84:85], v[24:25]
	s_delay_alu instid0(VALU_DEP_1)
	v_fmac_f64_e32 v[50:51], v[86:87], v[26:27]
	s_cbranch_scc1 .LBB112_71
.LBB112_67:                             ;   Parent Loop BB112_4 Depth=1
                                        ; =>  This Inner Loop Header: Depth=2
	s_and_saveexec_b32 s98, s0
	s_cbranch_execz .LBB112_69
; %bb.68:                               ;   in Loop: Header=BB112_67 Depth=2
	s_ashr_i32 s91, s90, 31
	s_delay_alu instid0(SALU_CYCLE_1)
	v_lshl_add_u64 v[0:1], s[90:91], 3, v[52:53]
	global_load_b64 v[0:1], v[0:1], off
	s_wait_loadcnt 0x0
	ds_store_b64 v33, v[0:1]
.LBB112_69:                             ;   in Loop: Header=BB112_67 Depth=2
	s_wait_xcnt 0x0
	s_or_b32 exec_lo, exec_lo, s98
	v_add_nc_u64_e32 v[0:1], s[52:53], v[54:55]
	s_wait_dscnt 0x0
	s_barrier_signal -1
	s_barrier_wait -1
	s_clause 0x1
	global_load_b64 v[56:57], v[54:55], off
	global_load_b64 v[58:59], v[0:1], off
	s_wait_xcnt 0x0
	v_add_nc_u64_e32 v[0:1], s[56:57], v[54:55]
	global_load_b64 v[60:61], v[0:1], off
	s_wait_xcnt 0x0
	v_add_nc_u64_e32 v[0:1], s[58:59], v[54:55]
	global_load_b64 v[62:63], v[0:1], off
	ds_load_b64 v[8:9], v89
	ds_load_b128 v[4:7], v97
	s_wait_xcnt 0x0
	ds_load_b128 v[0:3], v97 offset:16
	s_wait_loadcnt_dscnt 0x302
	v_mul_f64_e32 v[10:11], v[56:57], v[8:9]
	s_wait_loadcnt 0x2
	v_mul_f64_e32 v[12:13], v[58:59], v[8:9]
	ds_store_2addr_b64 v98, v[10:11], v[12:13] offset1:67
	s_wait_loadcnt 0x1
	v_mul_f64_e32 v[10:11], v[60:61], v[8:9]
	s_wait_loadcnt 0x0
	v_mul_f64_e32 v[8:9], v[62:63], v[8:9]
	ds_store_2addr_b64 v98, v[10:11], v[8:9] offset0:134 offset1:201
	s_wait_dscnt 0x0
	s_barrier_signal -1
	s_barrier_wait -1
	ds_load_2addr_b64 v[8:11], v99 offset1:1
	s_wait_dscnt 0x0
	v_add_f64_e32 v[8:9], 0, v[8:9]
	s_delay_alu instid0(VALU_DEP_1)
	v_add_f64_e32 v[12:13], v[8:9], v[10:11]
	ds_load_2addr_b64 v[8:11], v99 offset0:2 offset1:3
	s_wait_dscnt 0x0
	s_barrier_signal -1
	s_barrier_wait -1
	v_add_f64_e32 v[8:9], v[12:13], v[8:9]
	s_delay_alu instid0(VALU_DEP_1)
	v_add_f64_e32 v[114:115], v[8:9], v[10:11]
	v_add_nc_u64_e32 v[8:9], s[86:87], v[54:55]
	global_load_b64 v[64:65], v[8:9], off
	s_wait_xcnt 0x0
	v_add_nc_u64_e32 v[8:9], s[84:85], v[54:55]
	global_load_b64 v[66:67], v[8:9], off
	s_wait_xcnt 0x0
	v_add_nc_u64_e32 v[8:9], s[60:61], v[54:55]
	global_load_b64 v[68:69], v[8:9], off
	s_wait_xcnt 0x0
	v_add_nc_u64_e32 v[8:9], s[62:63], v[54:55]
	global_load_b64 v[70:71], v[8:9], off
	ds_load_b64 v[16:17], v89
	ds_load_b128 v[12:15], v97 offset:128
	s_wait_xcnt 0x0
	ds_load_b128 v[8:11], v97 offset:144
	s_wait_loadcnt_dscnt 0x302
	v_mul_f64_e32 v[18:19], v[64:65], v[16:17]
	s_wait_loadcnt 0x2
	v_mul_f64_e32 v[20:21], v[66:67], v[16:17]
	ds_store_2addr_b64 v98, v[18:19], v[20:21] offset1:67
	s_wait_loadcnt 0x1
	v_mul_f64_e32 v[18:19], v[68:69], v[16:17]
	s_wait_loadcnt 0x0
	v_mul_f64_e32 v[16:17], v[70:71], v[16:17]
	ds_store_2addr_b64 v98, v[18:19], v[16:17] offset0:134 offset1:201
	s_wait_dscnt 0x0
	s_barrier_signal -1
	s_barrier_wait -1
	ds_load_2addr_b64 v[16:19], v99 offset1:1
	s_wait_dscnt 0x0
	v_add_f64_e32 v[16:17], 0, v[16:17]
	s_delay_alu instid0(VALU_DEP_1)
	v_add_f64_e32 v[20:21], v[16:17], v[18:19]
	ds_load_2addr_b64 v[16:19], v99 offset0:2 offset1:3
	s_wait_dscnt 0x0
	s_barrier_signal -1
	s_barrier_wait -1
	v_add_f64_e32 v[16:17], v[20:21], v[16:17]
	s_delay_alu instid0(VALU_DEP_1)
	v_add_f64_e32 v[116:117], v[16:17], v[18:19]
	v_add_nc_u64_e32 v[16:17], s[82:83], v[54:55]
	global_load_b64 v[72:73], v[16:17], off
	s_wait_xcnt 0x0
	v_add_nc_u64_e32 v[16:17], s[76:77], v[54:55]
	global_load_b64 v[74:75], v[16:17], off
	s_wait_xcnt 0x0
	v_add_nc_u64_e32 v[16:17], s[64:65], v[54:55]
	global_load_b64 v[76:77], v[16:17], off
	s_wait_xcnt 0x0
	v_add_nc_u64_e32 v[16:17], s[66:67], v[54:55]
	global_load_b64 v[78:79], v[16:17], off
	ds_load_b64 v[24:25], v89
	ds_load_b128 v[20:23], v97 offset:256
	;; [unrolled: 40-line block ×3, first 2 shown]
	s_wait_xcnt 0x0
	ds_load_b128 v[24:27], v97 offset:400
	s_wait_loadcnt_dscnt 0x302
	v_mul_f64_e32 v[112:113], v[80:81], v[110:111]
	s_wait_loadcnt 0x2
	v_mul_f64_e32 v[120:121], v[82:83], v[110:111]
	ds_store_2addr_b64 v98, v[112:113], v[120:121] offset1:67
	s_wait_loadcnt 0x1
	v_mul_f64_e32 v[112:113], v[84:85], v[110:111]
	s_wait_loadcnt 0x0
	v_mul_f64_e32 v[110:111], v[86:87], v[110:111]
	ds_store_2addr_b64 v98, v[112:113], v[110:111] offset0:134 offset1:201
	s_wait_dscnt 0x0
	s_barrier_signal -1
	s_barrier_wait -1
	ds_load_2addr_b64 v[110:113], v99 offset1:1
	s_wait_dscnt 0x0
	v_add_f64_e32 v[110:111], 0, v[110:111]
	s_delay_alu instid0(VALU_DEP_1)
	v_add_f64_e32 v[120:121], v[110:111], v[112:113]
	ds_load_2addr_b64 v[110:113], v99 offset0:2 offset1:3
	s_wait_dscnt 0x0
	s_barrier_signal -1
	s_barrier_wait -1
	v_add_f64_e32 v[110:111], v[120:121], v[110:111]
	s_delay_alu instid0(VALU_DEP_1)
	v_add_f64_e32 v[110:111], v[110:111], v[112:113]
	ds_store_2addr_b64 v108, v[114:115], v[116:117] offset1:16
	ds_store_2addr_b64 v108, v[118:119], v[110:111] offset0:32 offset1:48
	s_wait_dscnt 0x0
	s_barrier_signal -1
	s_barrier_wait -1
	s_and_saveexec_b32 s91, s18
	s_cbranch_execz .LBB112_66
; %bb.70:                               ;   in Loop: Header=BB112_67 Depth=2
	ds_load_2addr_b64 v[110:113], v100 offset1:1
	ds_load_2addr_b64 v[114:117], v100 offset0:2 offset1:3
	s_wait_dscnt 0x1
	v_add_f64_e32 v[110:111], v[110:111], v[112:113]
	s_wait_dscnt 0x0
	s_delay_alu instid0(VALU_DEP_1) | instskip(NEXT) | instid1(VALU_DEP_1)
	v_add_f64_e32 v[110:111], v[110:111], v[114:115]
	v_add_f64_e32 v[118:119], v[110:111], v[116:117]
	ds_load_2addr_b64 v[110:113], v100 offset0:4 offset1:5
	ds_load_2addr_b64 v[114:117], v100 offset0:6 offset1:7
	s_wait_dscnt 0x1
	v_add_f64_e32 v[110:111], v[118:119], v[110:111]
	s_delay_alu instid0(VALU_DEP_1) | instskip(SKIP_1) | instid1(VALU_DEP_1)
	v_add_f64_e32 v[110:111], v[110:111], v[112:113]
	s_wait_dscnt 0x0
	v_add_f64_e32 v[110:111], v[110:111], v[114:115]
	s_delay_alu instid0(VALU_DEP_1) | instskip(SKIP_4) | instid1(VALU_DEP_1)
	v_add_f64_e32 v[118:119], v[110:111], v[116:117]
	ds_load_2addr_b64 v[110:113], v100 offset0:8 offset1:9
	ds_load_2addr_b64 v[114:117], v100 offset0:10 offset1:11
	s_wait_dscnt 0x1
	v_add_f64_e32 v[110:111], v[118:119], v[110:111]
	v_add_f64_e32 v[110:111], v[110:111], v[112:113]
	s_wait_dscnt 0x0
	s_delay_alu instid0(VALU_DEP_1) | instskip(NEXT) | instid1(VALU_DEP_1)
	v_add_f64_e32 v[110:111], v[110:111], v[114:115]
	v_add_f64_e32 v[114:115], v[110:111], v[116:117]
	ds_load_2addr_b64 v[110:113], v100 offset0:12 offset1:13
	ds_load_b64 v[116:117], v100 offset:112
	s_wait_dscnt 0x1
	v_add_f64_e32 v[110:111], v[114:115], v[110:111]
	s_delay_alu instid0(VALU_DEP_1) | instskip(SKIP_4) | instid1(VALU_DEP_1)
	v_add_f64_e32 v[110:111], v[110:111], v[112:113]
	ds_load_b64 v[112:113], v101
	s_wait_dscnt 0x1
	v_add_f64_e32 v[110:111], v[110:111], v[116:117]
	s_wait_dscnt 0x0
	v_add_f64_e32 v[110:111], v[110:111], v[112:113]
	global_store_b64 v109, v[110:111], s[88:89] scale_offset
	s_branch .LBB112_66
.LBB112_71:                             ;   in Loop: Header=BB112_4 Depth=1
	ds_store_b64 v102, v[50:51]
	s_wait_dscnt 0x0
	s_barrier_signal -1
	s_barrier_wait -1
	s_and_saveexec_b32 s90, s96
	s_cbranch_execz .LBB112_2
; %bb.72:                               ;   in Loop: Header=BB112_4 Depth=1
	ds_load_2addr_b64 v[0:3], v88 offset1:67
	s_wait_dscnt 0x0
	v_add_f64_e32 v[4:5], v[0:1], v[2:3]
	ds_load_2addr_b64 v[0:3], v88 offset0:134 offset1:201
	s_wait_dscnt 0x0
	v_add_f64_e32 v[0:1], v[4:5], v[0:1]
	s_delay_alu instid0(VALU_DEP_1)
	v_add_f64_e32 v[0:1], v[0:1], v[2:3]
	v_lshl_add_u64 v[2:3], v[36:37], 3, s[88:89]
	global_store_b64 v[2:3], v[0:1], off
	s_branch .LBB112_2
.LBB112_73:                             ;   in Loop: Header=BB112_4 Depth=1
	ds_load_b64 v[2:3], v105
	s_wait_dscnt 0x0
	ds_store_b64 v93, v[2:3]
	s_or_b32 exec_lo, exec_lo, s88
	s_and_saveexec_b32 s88, s7
	s_cbranch_execz .LBB112_24
.LBB112_74:                             ;   in Loop: Header=BB112_4 Depth=1
	ds_load_b64 v[2:3], v106
	s_wait_dscnt 0x0
	ds_store_b64 v93, v[2:3] offset:8
	s_or_b32 exec_lo, exec_lo, s88
	s_and_saveexec_b32 s88, s8
	s_cbranch_execz .LBB112_25
.LBB112_75:                             ;   in Loop: Header=BB112_4 Depth=1
	ds_load_b64 v[2:3], v106 offset:264
	s_wait_dscnt 0x0
	ds_store_b64 v93, v[2:3] offset:16
	s_or_b32 exec_lo, exec_lo, s88
	s_and_saveexec_b32 s88, s9
	s_cbranch_execnz .LBB112_26
	s_branch .LBB112_27
.LBB112_76:                             ;   in Loop: Header=BB112_4 Depth=1
	ds_load_b64 v[2:3], v105
	s_wait_dscnt 0x0
	ds_store_b64 v93, v[2:3]
	s_or_b32 exec_lo, exec_lo, s88
	s_and_saveexec_b32 s88, s7
	s_cbranch_execz .LBB112_43
.LBB112_77:                             ;   in Loop: Header=BB112_4 Depth=1
	ds_load_b64 v[2:3], v106
	s_wait_dscnt 0x0
	ds_store_b64 v93, v[2:3] offset:8
	s_or_b32 exec_lo, exec_lo, s88
	s_and_saveexec_b32 s88, s8
	s_cbranch_execz .LBB112_44
.LBB112_78:                             ;   in Loop: Header=BB112_4 Depth=1
	ds_load_b64 v[2:3], v106 offset:264
	s_wait_dscnt 0x0
	ds_store_b64 v93, v[2:3] offset:16
	s_or_b32 exec_lo, exec_lo, s88
	s_and_saveexec_b32 s88, s9
	s_cbranch_execnz .LBB112_45
	s_branch .LBB112_46
.LBB112_79:
	s_sendmsg sendmsg(MSG_DEALLOC_VGPRS)
	s_endpgm
	.section	.rodata,"a",@progbits
	.p2align	6, 0x0
	.amdhsa_kernel _ZL26rocblas_hemvn_kernel_lowerILb0ELi64ELi4ELi33ELi32ELi16EidPKdPdEviT6_lT7_lT5_lS4_lS5_lS3_lT8_i
		.amdhsa_group_segment_fixed_size 9600
		.amdhsa_private_segment_fixed_size 0
		.amdhsa_kernarg_size 376
		.amdhsa_user_sgpr_count 2
		.amdhsa_user_sgpr_dispatch_ptr 0
		.amdhsa_user_sgpr_queue_ptr 0
		.amdhsa_user_sgpr_kernarg_segment_ptr 1
		.amdhsa_user_sgpr_dispatch_id 0
		.amdhsa_user_sgpr_kernarg_preload_length 0
		.amdhsa_user_sgpr_kernarg_preload_offset 0
		.amdhsa_user_sgpr_private_segment_size 0
		.amdhsa_wavefront_size32 1
		.amdhsa_uses_dynamic_stack 0
		.amdhsa_enable_private_segment 0
		.amdhsa_system_sgpr_workgroup_id_x 1
		.amdhsa_system_sgpr_workgroup_id_y 0
		.amdhsa_system_sgpr_workgroup_id_z 1
		.amdhsa_system_sgpr_workgroup_info 0
		.amdhsa_system_vgpr_workitem_id 1
		.amdhsa_next_free_vgpr 122
		.amdhsa_next_free_sgpr 99
		.amdhsa_named_barrier_count 0
		.amdhsa_reserve_vcc 1
		.amdhsa_float_round_mode_32 0
		.amdhsa_float_round_mode_16_64 0
		.amdhsa_float_denorm_mode_32 3
		.amdhsa_float_denorm_mode_16_64 3
		.amdhsa_fp16_overflow 0
		.amdhsa_memory_ordered 1
		.amdhsa_forward_progress 1
		.amdhsa_inst_pref_size 43
		.amdhsa_round_robin_scheduling 0
		.amdhsa_exception_fp_ieee_invalid_op 0
		.amdhsa_exception_fp_denorm_src 0
		.amdhsa_exception_fp_ieee_div_zero 0
		.amdhsa_exception_fp_ieee_overflow 0
		.amdhsa_exception_fp_ieee_underflow 0
		.amdhsa_exception_fp_ieee_inexact 0
		.amdhsa_exception_int_div_zero 0
	.end_amdhsa_kernel
	.section	.text._ZL26rocblas_hemvn_kernel_lowerILb0ELi64ELi4ELi33ELi32ELi16EidPKdPdEviT6_lT7_lT5_lS4_lS5_lS3_lT8_i,"axG",@progbits,_ZL26rocblas_hemvn_kernel_lowerILb0ELi64ELi4ELi33ELi32ELi16EidPKdPdEviT6_lT7_lT5_lS4_lS5_lS3_lT8_i,comdat
.Lfunc_end112:
	.size	_ZL26rocblas_hemvn_kernel_lowerILb0ELi64ELi4ELi33ELi32ELi16EidPKdPdEviT6_lT7_lT5_lS4_lS5_lS3_lT8_i, .Lfunc_end112-_ZL26rocblas_hemvn_kernel_lowerILb0ELi64ELi4ELi33ELi32ELi16EidPKdPdEviT6_lT7_lT5_lS4_lS5_lS3_lT8_i
                                        ; -- End function
	.set _ZL26rocblas_hemvn_kernel_lowerILb0ELi64ELi4ELi33ELi32ELi16EidPKdPdEviT6_lT7_lT5_lS4_lS5_lS3_lT8_i.num_vgpr, 122
	.set _ZL26rocblas_hemvn_kernel_lowerILb0ELi64ELi4ELi33ELi32ELi16EidPKdPdEviT6_lT7_lT5_lS4_lS5_lS3_lT8_i.num_agpr, 0
	.set _ZL26rocblas_hemvn_kernel_lowerILb0ELi64ELi4ELi33ELi32ELi16EidPKdPdEviT6_lT7_lT5_lS4_lS5_lS3_lT8_i.numbered_sgpr, 99
	.set _ZL26rocblas_hemvn_kernel_lowerILb0ELi64ELi4ELi33ELi32ELi16EidPKdPdEviT6_lT7_lT5_lS4_lS5_lS3_lT8_i.num_named_barrier, 0
	.set _ZL26rocblas_hemvn_kernel_lowerILb0ELi64ELi4ELi33ELi32ELi16EidPKdPdEviT6_lT7_lT5_lS4_lS5_lS3_lT8_i.private_seg_size, 0
	.set _ZL26rocblas_hemvn_kernel_lowerILb0ELi64ELi4ELi33ELi32ELi16EidPKdPdEviT6_lT7_lT5_lS4_lS5_lS3_lT8_i.uses_vcc, 1
	.set _ZL26rocblas_hemvn_kernel_lowerILb0ELi64ELi4ELi33ELi32ELi16EidPKdPdEviT6_lT7_lT5_lS4_lS5_lS3_lT8_i.uses_flat_scratch, 0
	.set _ZL26rocblas_hemvn_kernel_lowerILb0ELi64ELi4ELi33ELi32ELi16EidPKdPdEviT6_lT7_lT5_lS4_lS5_lS3_lT8_i.has_dyn_sized_stack, 0
	.set _ZL26rocblas_hemvn_kernel_lowerILb0ELi64ELi4ELi33ELi32ELi16EidPKdPdEviT6_lT7_lT5_lS4_lS5_lS3_lT8_i.has_recursion, 0
	.set _ZL26rocblas_hemvn_kernel_lowerILb0ELi64ELi4ELi33ELi32ELi16EidPKdPdEviT6_lT7_lT5_lS4_lS5_lS3_lT8_i.has_indirect_call, 0
	.section	.AMDGPU.csdata,"",@progbits
; Kernel info:
; codeLenInByte = 5492
; TotalNumSgprs: 101
; NumVgprs: 122
; ScratchSize: 0
; MemoryBound: 0
; FloatMode: 240
; IeeeMode: 1
; LDSByteSize: 9600 bytes/workgroup (compile time only)
; SGPRBlocks: 0
; VGPRBlocks: 7
; NumSGPRsForWavesPerEU: 101
; NumVGPRsForWavesPerEU: 122
; NamedBarCnt: 0
; Occupancy: 8
; WaveLimiterHint : 0
; COMPUTE_PGM_RSRC2:SCRATCH_EN: 0
; COMPUTE_PGM_RSRC2:USER_SGPR: 2
; COMPUTE_PGM_RSRC2:TRAP_HANDLER: 0
; COMPUTE_PGM_RSRC2:TGID_X_EN: 1
; COMPUTE_PGM_RSRC2:TGID_Y_EN: 0
; COMPUTE_PGM_RSRC2:TGID_Z_EN: 1
; COMPUTE_PGM_RSRC2:TIDIG_COMP_CNT: 1
	.section	.text._ZL36rocblas_hemvn_kernel_lower_block_sumILi64EidPddEviT1_lS1_lT2_lT0_lPT3_i,"axG",@progbits,_ZL36rocblas_hemvn_kernel_lower_block_sumILi64EidPddEviT1_lS1_lT2_lT0_lPT3_i,comdat
	.globl	_ZL36rocblas_hemvn_kernel_lower_block_sumILi64EidPddEviT1_lS1_lT2_lT0_lPT3_i ; -- Begin function _ZL36rocblas_hemvn_kernel_lower_block_sumILi64EidPddEviT1_lS1_lT2_lT0_lPT3_i
	.p2align	8
	.type	_ZL36rocblas_hemvn_kernel_lower_block_sumILi64EidPddEviT1_lS1_lT2_lT0_lPT3_i,@function
_ZL36rocblas_hemvn_kernel_lower_block_sumILi64EidPddEviT1_lS1_lT2_lT0_lPT3_i: ; @_ZL36rocblas_hemvn_kernel_lower_block_sumILi64EidPddEviT1_lS1_lT2_lT0_lPT3_i
; %bb.0:
	s_load_b32 s3, s[0:1], 0x50
	s_bfe_u32 s2, ttmp6, 0x40014
	s_lshr_b32 s4, ttmp7, 16
	s_add_co_i32 s2, s2, 1
	s_bfe_u32 s6, ttmp6, 0x40008
	s_mul_i32 s5, s4, s2
	s_getreg_b32 s2, hwreg(HW_REG_IB_STS2, 6, 4)
	s_add_co_i32 s6, s6, s5
	s_cmp_eq_u32 s2, 0
	s_mov_b32 s9, 0
	s_cselect_b32 s8, s4, s6
	s_wait_kmcnt 0x0
	s_cmp_ge_u32 s8, s3
	s_cbranch_scc1 .LBB113_25
; %bb.1:
	s_clause 0x4
	s_load_b64 s[10:11], s[0:1], 0x8
	s_load_b64 s[12:13], s[0:1], 0x18
	s_load_b128 s[16:19], s[0:1], 0x28
	s_load_b32 s26, s[0:1], 0x0
	s_load_b32 s23, s[0:1], 0x38
	s_bfe_u32 s6, ttmp6, 0x4000c
	s_and_b32 s7, ttmp6, 15
	s_add_co_i32 s6, s6, 1
	s_delay_alu instid0(SALU_CYCLE_1) | instskip(NEXT) | instid1(SALU_CYCLE_1)
	s_mul_i32 s6, ttmp9, s6
	s_add_co_i32 s7, s7, s6
	s_wait_kmcnt 0x0
	v_cmp_neq_f64_e64 s4, s[10:11], 0
	v_cmp_neq_f64_e64 s5, s[12:13], 1.0
	s_lshl_b64 s[14:15], s[18:19], 3
	v_cmp_eq_f64_e64 s20, s[12:13], 0
	v_cmp_neq_f64_e64 s24, s[12:13], 0
	s_add_nc_u64 s[14:15], s[16:17], s[14:15]
	s_or_b32 s21, s4, s5
	s_cmp_eq_u32 s2, 0
	s_cselect_b32 s22, ttmp9, s7
	s_load_b128 s[4:7], s[0:1], 0x40
	v_lshl_or_b32 v1, s22, 6, v0
	s_ashr_i32 s27, s26, 31
	s_wait_xcnt 0x0
	s_add_nc_u64 s[0:1], s[0:1], 0x58
	s_delay_alu instid0(VALU_DEP_1) | instskip(SKIP_3) | instid1(VALU_DEP_2)
	v_mul_lo_u32 v0, s23, v1
	v_cmp_eq_f64_e64 s23, s[10:11], 0
	v_mad_u32 v2, s26, s22, v1
	v_cmp_gt_i32_e64 s2, s26, v1
	v_dual_ashrrev_i32 v1, 31, v0 :: v_dual_ashrrev_i32 v3, 31, v2
	s_wait_kmcnt 0x0
	s_delay_alu instid0(VALU_DEP_1)
	v_lshl_add_u64 v[2:3], v[2:3], 3, s[6:7]
	s_lshl_b64 s[6:7], s[26:27], 3
	s_branch .LBB113_4
.LBB113_2:                              ;   in Loop: Header=BB113_4 Depth=1
	s_wait_xcnt 0x0
	s_or_b32 exec_lo, exec_lo, s18
.LBB113_3:                              ;   in Loop: Header=BB113_4 Depth=1
	s_add_co_i32 s8, s8, 0x10000
	s_delay_alu instid0(SALU_CYCLE_1)
	s_cmp_lt_u32 s8, s3
	s_cbranch_scc0 .LBB113_25
.LBB113_4:                              ; =>This Loop Header: Depth=1
                                        ;     Child Loop BB113_16 Depth 2
	s_and_not1_b32 vcc_lo, exec_lo, s21
	s_cbranch_vccnz .LBB113_3
; %bb.5:                                ;   in Loop: Header=BB113_4 Depth=1
	s_mul_u64 s[16:17], s[4:5], s[8:9]
	s_and_not1_b32 vcc_lo, exec_lo, s23
	s_lshl_b64 s[16:17], s[16:17], 3
	s_delay_alu instid0(SALU_CYCLE_1)
	s_add_nc_u64 s[16:17], s[14:15], s[16:17]
	s_cbranch_vccnz .LBB113_9
; %bb.6:                                ;   in Loop: Header=BB113_4 Depth=1
	s_mov_b32 s18, 0
	s_mov_b32 s25, 0
                                        ; implicit-def: $vgpr4_vgpr5
	s_and_saveexec_b32 s19, s2
	s_cbranch_execz .LBB113_10
; %bb.7:                                ;   in Loop: Header=BB113_4 Depth=1
	s_and_not1_b32 vcc_lo, exec_lo, s24
	s_cbranch_vccnz .LBB113_11
; %bb.8:                                ;   in Loop: Header=BB113_4 Depth=1
	v_lshl_add_u64 v[4:5], v[0:1], 3, s[16:17]
	global_load_b64 v[4:5], v[4:5], off
	s_wait_loadcnt 0x0
	s_wait_xcnt 0x0
	v_mul_f64_e32 v[4:5], s[12:13], v[4:5]
	s_branch .LBB113_12
.LBB113_9:                              ;   in Loop: Header=BB113_4 Depth=1
	s_mov_b32 s25, 0
                                        ; implicit-def: $vgpr4_vgpr5
	s_cbranch_execnz .LBB113_13
	s_branch .LBB113_23
.LBB113_10:                             ;   in Loop: Header=BB113_4 Depth=1
	s_or_b32 exec_lo, exec_lo, s19
	s_delay_alu instid0(SALU_CYCLE_1)
	s_and_b32 vcc_lo, exec_lo, s18
	s_cbranch_vccnz .LBB113_13
	s_branch .LBB113_23
.LBB113_11:                             ;   in Loop: Header=BB113_4 Depth=1
	v_mov_b64_e32 v[4:5], 0
.LBB113_12:                             ;   in Loop: Header=BB113_4 Depth=1
	s_mov_b32 s25, exec_lo
	s_or_b32 exec_lo, exec_lo, s19
	s_delay_alu instid0(SALU_CYCLE_1)
	s_and_b32 vcc_lo, exec_lo, s18
	s_cbranch_vccz .LBB113_23
.LBB113_13:                             ;   in Loop: Header=BB113_4 Depth=1
                                        ; implicit-def: $vgpr4_vgpr5
	s_and_saveexec_b32 s26, s2
	s_cbranch_execz .LBB113_22
; %bb.14:                               ;   in Loop: Header=BB113_4 Depth=1
	s_load_b32 s18, s[0:1], 0x0
	v_mov_b64_e32 v[6:7], 0
	s_wait_kmcnt 0x0
	s_cmp_ge_i32 s22, s18
	s_cbranch_scc1 .LBB113_17
; %bb.15:                               ;   in Loop: Header=BB113_4 Depth=1
	s_mov_b32 s19, s9
	v_mov_b64_e32 v[6:7], 0
	s_mul_u64 s[28:29], s[6:7], s[18:19]
	s_mov_b32 s19, s22
	v_mad_nc_u64_u32 v[4:5], s28, s8, v[2:3]
	s_delay_alu instid0(VALU_DEP_1)
	v_mad_u32 v5, s29, s8, v5
.LBB113_16:                             ;   Parent Loop BB113_4 Depth=1
                                        ; =>  This Inner Loop Header: Depth=2
	global_load_b64 v[8:9], v[4:5], off
	s_wait_xcnt 0x0
	v_add_nc_u64_e32 v[4:5], s[6:7], v[4:5]
	s_add_co_i32 s19, s19, 1
	s_delay_alu instid0(SALU_CYCLE_1)
	s_cmp_ge_i32 s19, s18
	s_wait_loadcnt 0x0
	v_add_f64_e32 v[6:7], v[6:7], v[8:9]
	s_cbranch_scc0 .LBB113_16
.LBB113_17:                             ;   in Loop: Header=BB113_4 Depth=1
	s_and_b32 vcc_lo, exec_lo, s20
	s_mov_b32 s18, -1
                                        ; implicit-def: $vgpr4_vgpr5
	s_cbranch_vccz .LBB113_19
; %bb.18:                               ;   in Loop: Header=BB113_4 Depth=1
	s_delay_alu instid0(VALU_DEP_1)
	v_mul_f64_e32 v[4:5], s[10:11], v[6:7]
	s_mov_b32 s18, 0
.LBB113_19:                             ;   in Loop: Header=BB113_4 Depth=1
	s_delay_alu instid0(SALU_CYCLE_1)
	s_and_not1_b32 vcc_lo, exec_lo, s18
	s_cbranch_vccnz .LBB113_21
; %bb.20:                               ;   in Loop: Header=BB113_4 Depth=1
	v_lshl_add_u64 v[4:5], v[0:1], 3, s[16:17]
	global_load_b64 v[4:5], v[4:5], off
	s_wait_loadcnt 0x0
	s_wait_xcnt 0x0
	v_mul_f64_e32 v[4:5], s[12:13], v[4:5]
	s_delay_alu instid0(VALU_DEP_1)
	v_fmac_f64_e32 v[4:5], s[10:11], v[6:7]
.LBB113_21:                             ;   in Loop: Header=BB113_4 Depth=1
	s_or_b32 s25, s25, exec_lo
.LBB113_22:                             ;   in Loop: Header=BB113_4 Depth=1
	s_or_b32 exec_lo, exec_lo, s26
.LBB113_23:                             ;   in Loop: Header=BB113_4 Depth=1
	s_and_saveexec_b32 s18, s25
	s_cbranch_execz .LBB113_2
; %bb.24:                               ;   in Loop: Header=BB113_4 Depth=1
	v_lshl_add_u64 v[6:7], v[0:1], 3, s[16:17]
	global_store_b64 v[6:7], v[4:5], off
	s_branch .LBB113_2
.LBB113_25:
	s_endpgm
	.section	.rodata,"a",@progbits
	.p2align	6, 0x0
	.amdhsa_kernel _ZL36rocblas_hemvn_kernel_lower_block_sumILi64EidPddEviT1_lS1_lT2_lT0_lPT3_i
		.amdhsa_group_segment_fixed_size 0
		.amdhsa_private_segment_fixed_size 0
		.amdhsa_kernarg_size 344
		.amdhsa_user_sgpr_count 2
		.amdhsa_user_sgpr_dispatch_ptr 0
		.amdhsa_user_sgpr_queue_ptr 0
		.amdhsa_user_sgpr_kernarg_segment_ptr 1
		.amdhsa_user_sgpr_dispatch_id 0
		.amdhsa_user_sgpr_kernarg_preload_length 0
		.amdhsa_user_sgpr_kernarg_preload_offset 0
		.amdhsa_user_sgpr_private_segment_size 0
		.amdhsa_wavefront_size32 1
		.amdhsa_uses_dynamic_stack 0
		.amdhsa_enable_private_segment 0
		.amdhsa_system_sgpr_workgroup_id_x 1
		.amdhsa_system_sgpr_workgroup_id_y 0
		.amdhsa_system_sgpr_workgroup_id_z 1
		.amdhsa_system_sgpr_workgroup_info 0
		.amdhsa_system_vgpr_workitem_id 0
		.amdhsa_next_free_vgpr 10
		.amdhsa_next_free_sgpr 30
		.amdhsa_named_barrier_count 0
		.amdhsa_reserve_vcc 1
		.amdhsa_float_round_mode_32 0
		.amdhsa_float_round_mode_16_64 0
		.amdhsa_float_denorm_mode_32 3
		.amdhsa_float_denorm_mode_16_64 3
		.amdhsa_fp16_overflow 0
		.amdhsa_memory_ordered 1
		.amdhsa_forward_progress 1
		.amdhsa_inst_pref_size 6
		.amdhsa_round_robin_scheduling 0
		.amdhsa_exception_fp_ieee_invalid_op 0
		.amdhsa_exception_fp_denorm_src 0
		.amdhsa_exception_fp_ieee_div_zero 0
		.amdhsa_exception_fp_ieee_overflow 0
		.amdhsa_exception_fp_ieee_underflow 0
		.amdhsa_exception_fp_ieee_inexact 0
		.amdhsa_exception_int_div_zero 0
	.end_amdhsa_kernel
	.section	.text._ZL36rocblas_hemvn_kernel_lower_block_sumILi64EidPddEviT1_lS1_lT2_lT0_lPT3_i,"axG",@progbits,_ZL36rocblas_hemvn_kernel_lower_block_sumILi64EidPddEviT1_lS1_lT2_lT0_lPT3_i,comdat
.Lfunc_end113:
	.size	_ZL36rocblas_hemvn_kernel_lower_block_sumILi64EidPddEviT1_lS1_lT2_lT0_lPT3_i, .Lfunc_end113-_ZL36rocblas_hemvn_kernel_lower_block_sumILi64EidPddEviT1_lS1_lT2_lT0_lPT3_i
                                        ; -- End function
	.set _ZL36rocblas_hemvn_kernel_lower_block_sumILi64EidPddEviT1_lS1_lT2_lT0_lPT3_i.num_vgpr, 10
	.set _ZL36rocblas_hemvn_kernel_lower_block_sumILi64EidPddEviT1_lS1_lT2_lT0_lPT3_i.num_agpr, 0
	.set _ZL36rocblas_hemvn_kernel_lower_block_sumILi64EidPddEviT1_lS1_lT2_lT0_lPT3_i.numbered_sgpr, 30
	.set _ZL36rocblas_hemvn_kernel_lower_block_sumILi64EidPddEviT1_lS1_lT2_lT0_lPT3_i.num_named_barrier, 0
	.set _ZL36rocblas_hemvn_kernel_lower_block_sumILi64EidPddEviT1_lS1_lT2_lT0_lPT3_i.private_seg_size, 0
	.set _ZL36rocblas_hemvn_kernel_lower_block_sumILi64EidPddEviT1_lS1_lT2_lT0_lPT3_i.uses_vcc, 1
	.set _ZL36rocblas_hemvn_kernel_lower_block_sumILi64EidPddEviT1_lS1_lT2_lT0_lPT3_i.uses_flat_scratch, 0
	.set _ZL36rocblas_hemvn_kernel_lower_block_sumILi64EidPddEviT1_lS1_lT2_lT0_lPT3_i.has_dyn_sized_stack, 0
	.set _ZL36rocblas_hemvn_kernel_lower_block_sumILi64EidPddEviT1_lS1_lT2_lT0_lPT3_i.has_recursion, 0
	.set _ZL36rocblas_hemvn_kernel_lower_block_sumILi64EidPddEviT1_lS1_lT2_lT0_lPT3_i.has_indirect_call, 0
	.section	.AMDGPU.csdata,"",@progbits
; Kernel info:
; codeLenInByte = 708
; TotalNumSgprs: 32
; NumVgprs: 10
; ScratchSize: 0
; MemoryBound: 0
; FloatMode: 240
; IeeeMode: 1
; LDSByteSize: 0 bytes/workgroup (compile time only)
; SGPRBlocks: 0
; VGPRBlocks: 0
; NumSGPRsForWavesPerEU: 32
; NumVGPRsForWavesPerEU: 10
; NamedBarCnt: 0
; Occupancy: 16
; WaveLimiterHint : 0
; COMPUTE_PGM_RSRC2:SCRATCH_EN: 0
; COMPUTE_PGM_RSRC2:USER_SGPR: 2
; COMPUTE_PGM_RSRC2:TRAP_HANDLER: 0
; COMPUTE_PGM_RSRC2:TGID_X_EN: 1
; COMPUTE_PGM_RSRC2:TGID_Y_EN: 0
; COMPUTE_PGM_RSRC2:TGID_Z_EN: 1
; COMPUTE_PGM_RSRC2:TIDIG_COMP_CNT: 0
	.section	.text._ZL26rocblas_hemvn_kernel_upperILb0ELi64ELi4ELi33ELi32ELi16ElPK19rocblas_complex_numIfES3_PS1_EviT6_lT7_lT5_lS6_lS7_lS5_lT8_i,"axG",@progbits,_ZL26rocblas_hemvn_kernel_upperILb0ELi64ELi4ELi33ELi32ELi16ElPK19rocblas_complex_numIfES3_PS1_EviT6_lT7_lT5_lS6_lS7_lS5_lT8_i,comdat
	.globl	_ZL26rocblas_hemvn_kernel_upperILb0ELi64ELi4ELi33ELi32ELi16ElPK19rocblas_complex_numIfES3_PS1_EviT6_lT7_lT5_lS6_lS7_lS5_lT8_i ; -- Begin function _ZL26rocblas_hemvn_kernel_upperILb0ELi64ELi4ELi33ELi32ELi16ElPK19rocblas_complex_numIfES3_PS1_EviT6_lT7_lT5_lS6_lS7_lS5_lT8_i
	.p2align	8
	.type	_ZL26rocblas_hemvn_kernel_upperILb0ELi64ELi4ELi33ELi32ELi16ElPK19rocblas_complex_numIfES3_PS1_EviT6_lT7_lT5_lS6_lS7_lS5_lT8_i,@function
_ZL26rocblas_hemvn_kernel_upperILb0ELi64ELi4ELi33ELi32ELi16ElPK19rocblas_complex_numIfES3_PS1_EviT6_lT7_lT5_lS6_lS7_lS5_lT8_i: ; @_ZL26rocblas_hemvn_kernel_upperILb0ELi64ELi4ELi33ELi32ELi16ElPK19rocblas_complex_numIfES3_PS1_EviT6_lT7_lT5_lS6_lS7_lS5_lT8_i
; %bb.0:
	s_clause 0x1
	s_load_b64 s[4:5], s[0:1], 0x84
	s_load_b32 s33, s[0:1], 0x70
	s_bfe_u32 s2, ttmp6, 0x40014
	s_lshr_b32 s3, ttmp7, 16
	s_add_co_i32 s2, s2, 1
	s_bfe_u32 s6, ttmp6, 0x40008
	s_mul_i32 s7, s3, s2
	s_getreg_b32 s2, hwreg(HW_REG_IB_STS2, 6, 4)
	s_add_co_i32 s6, s6, s7
	s_mov_b32 s29, 0
	s_wait_kmcnt 0x0
	s_lshr_b32 s7, s4, 16
	s_and_b32 s4, s4, 0xffff
	s_and_b32 s5, s5, 0xffff
	s_mul_i32 s4, s7, s4
	s_cmp_eq_u32 s2, 0
	s_mul_i32 s4, s4, s5
	s_cselect_b32 s28, s3, s6
	s_cmp_lg_u32 s4, 0x100
	s_cselect_b32 s3, -1, 0
	s_cmp_ge_u32 s28, s33
	s_cselect_b32 s4, -1, 0
	s_delay_alu instid0(SALU_CYCLE_1) | instskip(NEXT) | instid1(SALU_CYCLE_1)
	s_or_b32 s3, s3, s4
	s_and_b32 vcc_lo, exec_lo, s3
	s_cbranch_vccnz .LBB114_133
; %bb.1:
	s_load_b32 s4, s[0:1], 0x0
	s_add_nc_u64 s[8:9], s[0:1], 0x78
	s_clause 0x2
	s_load_b512 s[36:51], s[0:1], 0x8
	s_load_b64 s[6:7], s[0:1], 0x68
	s_load_b256 s[20:27], s[0:1], 0x48
	s_wait_xcnt 0x0
	s_bfe_u32 s0, ttmp6, 0x4000c
	s_and_b32 s1, ttmp6, 15
	s_add_co_i32 s0, s0, 1
	v_and_b32_e32 v172, 0x3ff, v0
	v_bfe_u32 v1, v0, 10, 10
	s_mul_i32 s3, ttmp9, s0
	v_dual_mov_b32 v59, 0 :: v_dual_bitop2_b32 v56, 31, v0 bitop3:0x40
	s_add_co_i32 s1, s1, s3
	s_delay_alu instid0(VALU_DEP_2) | instskip(SKIP_1) | instid1(VALU_DEP_2)
	v_lshl_add_u32 v36, v1, 6, v172
	s_load_b32 s30, s[8:9], 0x0
	v_dual_mov_b32 v57, v59 :: v_dual_lshlrev_b32 v60, 3, v172
	s_mov_b32 s31, s29
	s_delay_alu instid0(VALU_DEP_2)
	v_and_b32_e32 v44, 0x7fe0, v36
	v_cmp_eq_u32_e64 s0, 0, v1
	v_mov_b64_e32 v[102:103], 0
	s_wait_kmcnt 0x0
	s_ashr_i32 s5, s4, 31
	s_cmp_eq_u32 s2, 0
	v_sub_nc_u64_e32 v[100:101], 0, v[56:57]
	s_cselect_b32 s34, ttmp9, s1
	s_lshr_b32 s1, s5, 26
	s_lshl_b32 s18, s34, 6
	s_add_co_i32 s1, s4, s1
	v_add_nc_u32_e32 v62, s18, v172
	v_lshrrev_b32_e32 v37, 5, v36
	s_and_not1_b32 s1, s1, 63
	s_lshl_b64 s[2:3], s[50:51], 3
	s_lshl_b64 s[8:9], s[42:43], 3
	v_ashrrev_i32_e32 v63, 31, v62
	v_mad_nc_u64_u32 v[2:3], s44, v37, v[56:57]
	v_add_nc_u32_e32 v41, 16, v37
	s_add_co_i32 s12, s30, -1
	s_mul_u64 s[52:53], s[30:31], s[4:5]
	v_mul_u64_e32 v[4:5], s[20:21], v[62:63]
	s_sub_co_i32 s31, s4, s1
	s_cmp_eq_u32 s34, s12
	s_add_nc_u64 s[8:9], s[40:41], s[8:9]
	s_cselect_b32 s42, s31, 0
	v_dual_lshlrev_b32 v38, 3, v56 :: v_dual_add_nc_u32 v40, 8, v37
	s_delay_alu instid0(VALU_DEP_4) | instskip(SKIP_4) | instid1(VALU_DEP_1)
	v_mad_u32 v3, s45, v37, v3
	s_cmp_lg_u32 s42, 0
	v_dual_lshlrev_b32 v42, 2, v37 :: v_dual_add_nc_u32 v43, 24, v37
	s_cselect_b32 s68, -1, 0
	s_cmp_eq_u32 s42, 0
	v_dual_lshlrev_b32 v58, 5, v1 :: v_dual_bitop2_b32 v8, 2, v42 bitop3:0x54
	s_cselect_b32 s14, -1, 0
	s_ashr_i32 s19, s18, 31
	s_ashr_i32 s35, s34, 31
	s_delay_alu instid0(VALU_DEP_3)
	v_lshlrev_b64_e32 v[2:3], 3, v[2:3]
	s_lshl_b64 s[12:13], s[18:19], 3
	v_lshl_or_b32 v173, v56, 8, v38
	s_add_nc_u64 s[8:9], s[8:9], s[12:13]
	v_or_b32_e32 v9, 3, v42
	s_mul_u64 s[4:5], s[4:5], s[34:35]
	s_add_nc_u64 s[10:11], s[48:49], s[2:3]
	v_add_nc_u64_e32 v[6:7], s[8:9], v[2:3]
	s_mul_u64 s[8:9], s[44:45], s[18:19]
	s_lshl_b64 s[4:5], s[4:5], 3
	v_add_nc_u64_e32 v[10:11], 0x118, v[58:59]
	s_add_nc_u64 s[48:49], s[6:7], s[4:5]
	v_cmp_gt_u32_e64 s5, v8, v56
	v_add_nc_u64_e32 v[12:13], 0x180, v[58:59]
	v_lshl_add_u64 v[64:65], s[8:9], 3, v[6:7]
	v_lshl_add_u64 v[66:67], v[4:5], 3, s[10:11]
	v_add_nc_u64_e32 v[4:5], 0x100, v[58:59]
	v_add_nc_u64_e32 v[6:7], 0x110, v[58:59]
	;; [unrolled: 1-line block ×13, first 2 shown]
	v_add_nc_u32_e32 v174, v173, v44
	v_cmp_gt_u32_e64 s6, v9, v56
	v_add_nc_u64_e32 v[8:9], 0x108, v[58:59]
	v_mul_u64_e32 v[4:5], s[44:45], v[4:5]
	v_mul_u64_e32 v[6:7], s[44:45], v[6:7]
	;; [unrolled: 1-line block ×16, first 2 shown]
	v_cmp_gt_i32_e32 vcc_lo, s42, v172
	s_sub_co_i32 s16, s42, 32
	v_cmp_gt_i32_e64 s4, s42, v41
	v_cmp_gt_i32_e64 s7, s42, v43
	v_cmp_gt_u32_e64 s8, v42, v56
	s_or_b32 s60, s14, vcc_lo
	v_cmp_ge_u32_e64 s10, v42, v56
	v_or_b32_e32 v42, 1, v42
	v_cmp_gt_i32_e64 s13, s16, v41
	v_cmp_gt_i32_e64 s14, s16, v43
	v_lshrrev_b32_e32 v41, 4, v36
	v_and_b32_e32 v43, 15, v0
	v_and_b32_e32 v0, 48, v0
	v_or_b32_e32 v45, 32, v56
	v_mul_u32_u24_e32 v39, 0x108, v37
	v_cmp_gt_i32_e64 s3, s42, v40
	v_sub_nc_u64_e32 v[68:69], v[4:5], v[2:3]
	v_sub_nc_u64_e32 v[70:71], v[6:7], v[2:3]
	;; [unrolled: 1-line block ×16, first 2 shown]
	v_lshlrev_b32_e32 v2, 5, v41
	v_dual_lshlrev_b32 v4, 3, v37 :: v_dual_lshlrev_b32 v0, 3, v0
	v_cmp_gt_i32_e64 s11, s16, v40
	v_mul_u32_u24_e32 v40, 33, v56
	s_delay_alu instid0(VALU_DEP_4) | instskip(SKIP_4) | instid1(VALU_DEP_4)
	v_mad_u32_u24 v175, 0x218, v43, v2
	v_mul_u32_u24_e32 v2, 0x108, v42
	v_mad_u32_u24 v176, 0x218, v43, v0
	v_mul_u32_u24_e32 v0, 0x420, v37
	v_or_b32_e32 v3, 0x78, v60
	v_dual_add_nc_u32 v181, v38, v39 :: v_dual_add_nc_u32 v183, v38, v2
	s_delay_alu instid0(VALU_DEP_3)
	v_dual_lshlrev_b32 v184, 2, v1 :: v_dual_add_nc_u32 v182, v38, v0
	v_mul_i32_i24_e32 v0, 0xffffffe8, v41
	s_add_co_i32 s61, s34, 1
	v_cmp_gt_i32_e64 s1, s42, v56
	v_cmp_gt_i32_e64 s2, s42, v37
	s_ashr_i32 s43, s42, 31
	s_lshl_b64 s[40:41], s[44:45], 6
	s_xor_b32 s35, s60, -1
	s_lshl_b64 s[50:51], s[44:45], 7
	v_cmp_gt_i32_e64 s9, s42, v45
	v_cmp_gt_u32_e64 s12, 32, v36
	v_cmp_gt_u32_e64 s15, 64, v36
	v_mad_u32_u24 v177, 0x218, v43, v3
	v_dual_mov_b32 v61, v59 :: v_dual_add_nc_u32 v178, 0x2380, v44
	v_lshl_add_u32 v179, v40, 3, v4
	s_lshl_b64 s[56:57], s[44:45], 5
	v_cmp_gt_i32_e64 s16, s16, v37
	v_cmp_eq_u32_e64 s17, 1, v37
	v_mul_i32_i24_e32 v180, 0xffffffe8, v37
	v_mad_u32_u24 v185, 0x860, v1, v60
	v_mad_u32_u24 v186, 0x218, v1, v60
	v_add_nc_u32_e32 v187, v173, v4
	v_add_nc_u32_e32 v188, 0x2380, v4
	v_add_nc_u32_e32 v189, v175, v0
	v_add_nc_u32_e32 v190, 0x2380, v60
	v_add_nc_u32_e32 v191, 0x2180, v60
	v_add_nc_u32_e32 v192, 0x2180, v58
	v_dual_add_nc_u32 v196, 16, v184 :: v_dual_bitop2_b32 v193, 1, v184 bitop3:0x54
	v_dual_add_nc_u32 v197, 17, v184 :: v_dual_bitop2_b32 v194, 2, v184 bitop3:0x54
	;; [unrolled: 1-line block ×3, first 2 shown]
	v_dual_add_nc_u32 v199, 19, v184 :: v_dual_add_nc_u32 v200, 32, v184
	v_dual_add_nc_u32 v201, 33, v184 :: v_dual_add_nc_u32 v202, 34, v184
	v_dual_add_nc_u32 v203, 35, v184 :: v_dual_add_nc_u32 v204, 48, v184
	v_dual_add_nc_u32 v205, 49, v184 :: v_dual_add_nc_u32 v57, 50, v184
	v_add_nc_u32_e32 v206, 51, v184
	s_mul_u64 s[58:59], s[20:21], s[18:19]
	s_cmp_lt_u32 s61, s30
	s_mul_u64 s[54:55], s[44:45], 0xc0
	s_sub_nc_u64 s[58:59], 0, s[58:59]
	s_cselect_b32 s69, -1, 0
	s_add_co_i32 s70, s30, -2
	s_and_b32 s71, s0, s60
	s_mov_b64 s[60:61], 0xffffffffffffff00
	s_mov_b64 s[62:63], 0xfffffffffffffef8
	s_sub_nc_u64 s[64:65], 0, s[42:43]
	s_add_co_i32 s72, s18, 64
	s_lshl_b64 s[44:45], s[44:45], 9
	s_branch .LBB114_4
.LBB114_2:                              ;   in Loop: Header=BB114_4 Depth=1
	s_wait_xcnt 0x0
	s_or_b32 exec_lo, exec_lo, s66
.LBB114_3:                              ;   in Loop: Header=BB114_4 Depth=1
	s_add_co_i32 s28, s28, 0x10000
	s_delay_alu instid0(SALU_CYCLE_1)
	s_cmp_lt_u32 s28, s33
	s_cbranch_scc0 .LBB114_133
.LBB114_4:                              ; =>This Loop Header: Depth=1
                                        ;     Child Loop BB114_70 Depth 2
	s_mul_u64 s[18:19], s[38:39], s[28:29]
	s_delay_alu instid0(SALU_CYCLE_1) | instskip(NEXT) | instid1(SALU_CYCLE_1)
	s_lshl_b64 s[18:19], s[18:19], 3
	s_add_nc_u64 s[18:19], s[36:37], s[18:19]
	global_load_b64 v[0:1], v59, s[18:19]
	s_wait_xcnt 0x0
	s_mov_b32 s19, -1
	s_wait_loadcnt 0x0
	v_or_b32_e32 v0, v0, v1
	s_delay_alu instid0(VALU_DEP_1) | instskip(NEXT) | instid1(VALU_DEP_1)
	v_and_b32_e32 v0, 0x7fffffff, v0
	v_cmp_ne_u32_e64 s18, 0, v0
	s_and_b32 vcc_lo, exec_lo, s18
	s_cbranch_vccnz .LBB114_6
; %bb.5:                                ;   in Loop: Header=BB114_4 Depth=1
	s_mul_u64 s[66:67], s[26:27], s[28:29]
	s_delay_alu instid0(SALU_CYCLE_1) | instskip(NEXT) | instid1(SALU_CYCLE_1)
	s_lshl_b64 s[66:67], s[66:67], 3
	s_add_nc_u64 s[66:67], s[24:25], s[66:67]
	global_load_b64 v[0:1], v59, s[66:67]
	s_wait_loadcnt 0x0
	v_cmp_neq_f32_e32 vcc_lo, 1.0, v0
	v_cmp_neq_f32_e64 s19, 0, v1
	s_or_b32 s19, vcc_lo, s19
.LBB114_6:                              ;   in Loop: Header=BB114_4 Depth=1
	s_delay_alu instid0(SALU_CYCLE_1)
	s_and_not1_b32 vcc_lo, exec_lo, s19
	s_cbranch_vccnz .LBB114_3
; %bb.7:                                ;   in Loop: Header=BB114_4 Depth=1
	s_and_not1_b32 vcc_lo, exec_lo, s18
	s_cbranch_vccnz .LBB114_3
; %bb.8:                                ;   in Loop: Header=BB114_4 Depth=1
	s_mul_u64 s[18:19], s[22:23], s[28:29]
	s_delay_alu instid0(SALU_CYCLE_1)
	v_lshl_add_u64 v[12:13], s[18:19], 3, v[66:67]
	s_wait_xcnt 0x0
	s_and_saveexec_b32 s18, s0
	s_cbranch_execz .LBB114_13
; %bb.9:                                ;   in Loop: Header=BB114_4 Depth=1
	s_and_saveexec_b32 s19, s35
	s_delay_alu instid0(SALU_CYCLE_1)
	s_xor_b32 s19, exec_lo, s19
; %bb.10:                               ;   in Loop: Header=BB114_4 Depth=1
	ds_store_b64 v190, v[102:103]
; %bb.11:                               ;   in Loop: Header=BB114_4 Depth=1
	s_and_not1_saveexec_b32 s19, s19
	s_cbranch_execz .LBB114_13
; %bb.12:                               ;   in Loop: Header=BB114_4 Depth=1
	global_load_b64 v[0:1], v[12:13], off
	s_wait_loadcnt 0x0
	ds_store_b64 v190, v[0:1]
.LBB114_13:                             ;   in Loop: Header=BB114_4 Depth=1
	s_wait_xcnt 0x0
	s_or_b32 exec_lo, exec_lo, s18
	s_mul_u64 s[18:19], s[46:47], s[28:29]
	s_and_b32 vcc_lo, exec_lo, s68
	v_lshl_add_u64 v[2:3], s[18:19], 3, v[64:65]
	s_mov_b32 s18, -1
                                        ; implicit-def: $vgpr0_vgpr1
	s_cbranch_vccz .LBB114_23
; %bb.14:                               ;   in Loop: Header=BB114_4 Depth=1
	s_delay_alu instid0(VALU_DEP_1) | instskip(SKIP_2) | instid1(VALU_DEP_3)
	v_lshl_add_u64 v[0:1], v[100:101], 3, v[2:3]
	v_dual_mov_b32 v6, 0 :: v_dual_mov_b32 v4, 0
	v_mov_b32_e32 v5, 0
	v_lshl_add_u64 v[0:1], s[42:43], 3, v[0:1]
	s_delay_alu instid0(VALU_DEP_1) | instskip(NEXT) | instid1(VALU_DEP_1)
	v_add_nc_u64_e32 v[0:1], -8, v[0:1]
	v_dual_cndmask_b32 v1, v1, v3, s1 :: v_dual_cndmask_b32 v0, v0, v2, s1
	s_and_saveexec_b32 s18, s2
	s_cbranch_execz .LBB114_16
; %bb.15:                               ;   in Loop: Header=BB114_4 Depth=1
	global_load_b64 v[4:5], v[0:1], off
.LBB114_16:                             ;   in Loop: Header=BB114_4 Depth=1
	s_wait_xcnt 0x0
	s_or_b32 exec_lo, exec_lo, s18
	v_mov_b32_e32 v7, 0
	s_wait_loadcnt 0x0
	ds_store_b64 v181, v[4:5]
	s_and_saveexec_b32 s18, s3
	s_cbranch_execz .LBB114_18
; %bb.17:                               ;   in Loop: Header=BB114_4 Depth=1
	v_add_nc_u64_e32 v[4:5], s[40:41], v[0:1]
	global_load_b64 v[6:7], v[4:5], off
.LBB114_18:                             ;   in Loop: Header=BB114_4 Depth=1
	s_wait_xcnt 0x0
	s_or_b32 exec_lo, exec_lo, s18
	v_dual_mov_b32 v4, 0 :: v_dual_mov_b32 v8, 0
	v_mov_b32_e32 v9, 0
	s_wait_loadcnt 0x0
	ds_store_b64 v181, v[6:7] offset:2112
	s_and_saveexec_b32 s18, s4
	s_cbranch_execz .LBB114_20
; %bb.19:                               ;   in Loop: Header=BB114_4 Depth=1
	v_add_nc_u64_e32 v[6:7], s[50:51], v[0:1]
	global_load_b64 v[8:9], v[6:7], off
.LBB114_20:                             ;   in Loop: Header=BB114_4 Depth=1
	s_wait_xcnt 0x0
	s_or_b32 exec_lo, exec_lo, s18
	v_mov_b32_e32 v5, 0
	s_wait_loadcnt 0x0
	ds_store_b64 v181, v[8:9] offset:4224
	s_and_saveexec_b32 s18, s7
	s_cbranch_execz .LBB114_22
; %bb.21:                               ;   in Loop: Header=BB114_4 Depth=1
	v_add_nc_u64_e32 v[4:5], s[54:55], v[0:1]
	global_load_b64 v[4:5], v[4:5], off
.LBB114_22:                             ;   in Loop: Header=BB114_4 Depth=1
	s_wait_xcnt 0x0
	s_or_b32 exec_lo, exec_lo, s18
	v_lshlrev_b32_e32 v58, 3, v56
	s_mov_b32 s18, 0
	s_wait_loadcnt 0x0
	ds_store_b64 v181, v[4:5] offset:6336
	v_add_nc_u64_e32 v[0:1], v[0:1], v[58:59]
	s_delay_alu instid0(VALU_DEP_1) | instskip(NEXT) | instid1(VALU_DEP_1)
	v_lshl_add_u64 v[0:1], s[64:65], 3, v[0:1]
	v_add_nc_u64_e32 v[0:1], 8, v[0:1]
	s_delay_alu instid0(VALU_DEP_1)
	v_dual_cndmask_b32 v1, v1, v3, s1 :: v_dual_cndmask_b32 v0, v0, v2, s1
.LBB114_23:                             ;   in Loop: Header=BB114_4 Depth=1
	s_and_b32 vcc_lo, exec_lo, s18
	s_cbranch_vccz .LBB114_25
; %bb.24:                               ;   in Loop: Header=BB114_4 Depth=1
	v_add_nc_u64_e32 v[0:1], s[40:41], v[2:3]
	s_delay_alu instid0(VALU_DEP_1) | instskip(NEXT) | instid1(VALU_DEP_1)
	v_add_nc_u64_e32 v[4:5], s[40:41], v[0:1]
	v_add_nc_u64_e32 v[6:7], s[40:41], v[4:5]
	s_clause 0x3
	global_load_b64 v[8:9], v[2:3], off
	global_load_b64 v[10:11], v[0:1], off
	;; [unrolled: 1-line block ×4, first 2 shown]
	s_wait_xcnt 0x2
	v_mov_b64_e32 v[0:1], v[2:3]
	s_wait_loadcnt 0x3
	ds_store_b64 v181, v[8:9]
	s_wait_loadcnt 0x2
	ds_store_b64 v181, v[10:11] offset:2112
	s_wait_loadcnt 0x1
	ds_store_b64 v181, v[4:5] offset:4224
	;; [unrolled: 2-line block ×3, first 2 shown]
.LBB114_25:                             ;   in Loop: Header=BB114_4 Depth=1
	s_wait_dscnt 0x0
	s_barrier_signal -1
	s_barrier_wait -1
	s_wait_xcnt 0x0
	s_and_saveexec_b32 s18, s8
	s_cbranch_execnz .LBB114_127
; %bb.26:                               ;   in Loop: Header=BB114_4 Depth=1
	s_or_b32 exec_lo, exec_lo, s18
	s_and_saveexec_b32 s18, s10
	s_cbranch_execnz .LBB114_128
.LBB114_27:                             ;   in Loop: Header=BB114_4 Depth=1
	s_or_b32 exec_lo, exec_lo, s18
	s_and_saveexec_b32 s18, s5
	s_cbranch_execnz .LBB114_129
.LBB114_28:                             ;   in Loop: Header=BB114_4 Depth=1
	s_or_b32 exec_lo, exec_lo, s18
	s_and_saveexec_b32 s18, s6
	s_cbranch_execz .LBB114_30
.LBB114_29:                             ;   in Loop: Header=BB114_4 Depth=1
	ds_load_b64 v[2:3], v183 offset:528
	s_wait_dscnt 0x0
	ds_store_b64 v174, v[2:3] offset:24
.LBB114_30:                             ;   in Loop: Header=BB114_4 Depth=1
	s_or_b32 exec_lo, exec_lo, s18
	s_wait_dscnt 0x0
	s_barrier_signal -1
	s_barrier_wait -1
	ds_load_b64 v[10:11], v182
	ds_load_b128 v[2:5], v178
	ds_load_2addr_b64 v[6:9], v183 offset1:33
	ds_load_b128 v[14:17], v178 offset:16
	ds_load_b64 v[18:19], v183 offset:528
	v_mov_b64_e32 v[104:105], 0
	s_wait_dscnt 0x0
	s_barrier_signal -1
	s_barrier_wait -1
	v_pk_mul_f32 v[20:21], v[2:3], v[10:11] op_sel:[1,1] op_sel_hi:[0,1]
	v_dual_mov_b32 v22, v5 :: v_dual_mov_b32 v23, v4
	v_pk_mul_f32 v[24:25], v[14:15], v[8:9] op_sel:[1,1] op_sel_hi:[0,1]
	v_dual_mov_b32 v28, v17 :: v_dual_mov_b32 v29, v16
	s_delay_alu instid0(VALU_DEP_4) | instskip(NEXT) | instid1(VALU_DEP_4)
	v_pk_fma_f32 v[26:27], v[2:3], v[10:11], v[20:21] op_sel_hi:[1,0,1]
	v_pk_mul_f32 v[22:23], v[22:23], v[6:7] op_sel:[0,1]
	v_pk_fma_f32 v[2:3], v[2:3], v[10:11], v[20:21] neg_lo:[0,0,1] neg_hi:[0,0,1]
	v_pk_fma_f32 v[20:21], v[14:15], v[8:9], v[24:25] op_sel_hi:[1,0,1]
	s_delay_alu instid0(VALU_DEP_3)
	v_pk_fma_f32 v[10:11], v[4:5], v[6:7], v[22:23] op_sel_hi:[1,0,1]
	v_mov_b32_e32 v3, v27
	v_pk_fma_f32 v[4:5], v[4:5], v[6:7], v[22:23] neg_lo:[0,0,1] neg_hi:[0,0,1]
	v_pk_mul_f32 v[26:27], v[28:29], v[18:19] op_sel:[0,1]
	v_pk_fma_f32 v[6:7], v[14:15], v[8:9], v[24:25] neg_lo:[0,0,1] neg_hi:[0,0,1]
	v_mov_b32_e32 v5, v11
	v_pk_add_f32 v[2:3], v[2:3], 0 op_sel_hi:[1,0]
	s_delay_alu instid0(VALU_DEP_4) | instskip(SKIP_1) | instid1(VALU_DEP_3)
	v_pk_fma_f32 v[8:9], v[16:17], v[18:19], v[26:27] op_sel_hi:[1,0,1]
	v_mov_b32_e32 v7, v21
	v_pk_add_f32 v[2:3], v[2:3], v[4:5]
	v_pk_fma_f32 v[4:5], v[16:17], v[18:19], v[26:27] neg_lo:[0,0,1] neg_hi:[0,0,1]
	s_delay_alu instid0(VALU_DEP_4) | instskip(NEXT) | instid1(VALU_DEP_3)
	v_mov_b32_e32 v5, v9
	v_pk_add_f32 v[2:3], v[2:3], v[6:7]
	s_delay_alu instid0(VALU_DEP_1)
	v_pk_add_f32 v[2:3], v[2:3], v[4:5]
	ds_store_b64 v179, v[2:3]
	s_wait_dscnt 0x0
	s_barrier_signal -1
	s_barrier_wait -1
	s_and_saveexec_b32 s18, s12
	s_cbranch_execz .LBB114_32
; %bb.31:                               ;   in Loop: Header=BB114_4 Depth=1
	ds_load_2addr_b64 v[2:5], v173 offset1:7
	ds_load_2addr_b64 v[6:9], v173 offset0:1 offset1:2
	ds_load_2addr_b64 v[14:17], v173 offset0:3 offset1:4
	;; [unrolled: 1-line block ×3, first 2 shown]
	s_wait_dscnt 0x2
	v_dual_add_f32 v2, v6, v2 :: v_dual_add_f32 v3, v7, v3
	s_delay_alu instid0(VALU_DEP_1) | instskip(SKIP_1) | instid1(VALU_DEP_1)
	v_dual_add_f32 v2, v8, v2 :: v_dual_add_f32 v3, v9, v3
	s_wait_dscnt 0x1
	v_dual_add_f32 v2, v2, v14 :: v_dual_add_f32 v3, v3, v15
	s_delay_alu instid0(VALU_DEP_1) | instskip(SKIP_1) | instid1(VALU_DEP_1)
	v_dual_add_f32 v2, v2, v16 :: v_dual_add_f32 v3, v3, v17
	s_wait_dscnt 0x0
	v_dual_add_f32 v2, v2, v18 :: v_dual_add_f32 v3, v3, v19
	s_delay_alu instid0(VALU_DEP_1) | instskip(NEXT) | instid1(VALU_DEP_1)
	v_dual_add_f32 v2, v2, v20 :: v_dual_add_f32 v3, v3, v21
	v_pk_add_f32 v[104:105], v[2:3], v[4:5]
.LBB114_32:                             ;   in Loop: Header=BB114_4 Depth=1
	s_or_b32 exec_lo, exec_lo, s18
	v_lshl_add_u64 v[4:5], s[56:57], 3, v[0:1]
	s_and_b32 vcc_lo, exec_lo, s68
	s_mov_b32 s18, -1
	s_barrier_signal -1
	s_delay_alu instid0(VALU_DEP_1)
	v_add_nc_u64_e32 v[2:3], 0x100, v[4:5]
	s_barrier_wait -1
                                        ; implicit-def: $vgpr0_vgpr1
	s_cbranch_vccz .LBB114_42
; %bb.33:                               ;   in Loop: Header=BB114_4 Depth=1
	v_lshl_add_u64 v[0:1], v[100:101], 3, v[4:5]
	v_dual_mov_b32 v8, 0 :: v_dual_mov_b32 v6, 0
	v_mov_b32_e32 v7, 0
	s_delay_alu instid0(VALU_DEP_3) | instskip(NEXT) | instid1(VALU_DEP_1)
	v_lshl_add_u64 v[0:1], s[42:43], 3, v[0:1]
	v_add_nc_u64_e32 v[0:1], -8, v[0:1]
	s_delay_alu instid0(VALU_DEP_1)
	v_dual_cndmask_b32 v1, v1, v3, s9 :: v_dual_cndmask_b32 v0, v0, v2, s9
	s_and_saveexec_b32 s18, s16
	s_cbranch_execz .LBB114_35
; %bb.34:                               ;   in Loop: Header=BB114_4 Depth=1
	global_load_b64 v[6:7], v[0:1], off
.LBB114_35:                             ;   in Loop: Header=BB114_4 Depth=1
	s_wait_xcnt 0x0
	s_or_b32 exec_lo, exec_lo, s18
	v_mov_b32_e32 v9, 0
	s_wait_loadcnt 0x0
	ds_store_b64 v181, v[6:7]
	s_and_saveexec_b32 s18, s11
	s_cbranch_execz .LBB114_37
; %bb.36:                               ;   in Loop: Header=BB114_4 Depth=1
	v_add_nc_u64_e32 v[6:7], s[40:41], v[0:1]
	global_load_b64 v[8:9], v[6:7], off
.LBB114_37:                             ;   in Loop: Header=BB114_4 Depth=1
	s_wait_xcnt 0x0
	s_or_b32 exec_lo, exec_lo, s18
	v_dual_mov_b32 v6, 0 :: v_dual_mov_b32 v10, 0
	v_mov_b32_e32 v11, 0
	s_wait_loadcnt 0x0
	ds_store_b64 v181, v[8:9] offset:2112
	s_and_saveexec_b32 s18, s13
	s_cbranch_execz .LBB114_39
; %bb.38:                               ;   in Loop: Header=BB114_4 Depth=1
	v_add_nc_u64_e32 v[8:9], s[50:51], v[0:1]
	global_load_b64 v[10:11], v[8:9], off
.LBB114_39:                             ;   in Loop: Header=BB114_4 Depth=1
	s_wait_xcnt 0x0
	s_or_b32 exec_lo, exec_lo, s18
	v_mov_b32_e32 v7, 0
	s_wait_loadcnt 0x0
	ds_store_b64 v181, v[10:11] offset:4224
	s_and_saveexec_b32 s18, s14
	s_cbranch_execz .LBB114_41
; %bb.40:                               ;   in Loop: Header=BB114_4 Depth=1
	v_add_nc_u64_e32 v[6:7], s[54:55], v[0:1]
	global_load_b64 v[6:7], v[6:7], off
.LBB114_41:                             ;   in Loop: Header=BB114_4 Depth=1
	s_wait_xcnt 0x0
	s_or_b32 exec_lo, exec_lo, s18
	v_lshlrev_b32_e32 v58, 3, v56
	s_mov_b32 s18, 0
	s_wait_loadcnt 0x0
	ds_store_b64 v181, v[6:7] offset:6336
	v_add_nc_u64_e32 v[0:1], v[0:1], v[58:59]
	s_delay_alu instid0(VALU_DEP_1) | instskip(NEXT) | instid1(VALU_DEP_1)
	v_lshl_add_u64 v[0:1], s[64:65], 3, v[0:1]
	v_add_nc_u64_e32 v[0:1], 0x108, v[0:1]
	s_delay_alu instid0(VALU_DEP_1)
	v_dual_cndmask_b32 v1, v1, v3, s9 :: v_dual_cndmask_b32 v0, v0, v2, s9
.LBB114_42:                             ;   in Loop: Header=BB114_4 Depth=1
	s_and_b32 vcc_lo, exec_lo, s18
	s_cbranch_vccz .LBB114_44
; %bb.43:                               ;   in Loop: Header=BB114_4 Depth=1
	v_add_nc_u64_e32 v[0:1], s[40:41], v[4:5]
	s_delay_alu instid0(VALU_DEP_1) | instskip(NEXT) | instid1(VALU_DEP_1)
	v_add_nc_u64_e32 v[6:7], s[40:41], v[0:1]
	v_add_nc_u64_e32 v[8:9], s[40:41], v[6:7]
	s_clause 0x3
	global_load_b64 v[4:5], v[4:5], off offset:256
	global_load_b64 v[10:11], v[0:1], off offset:256
	global_load_b64 v[6:7], v[6:7], off offset:256
	global_load_b64 v[8:9], v[8:9], off offset:256
	s_wait_xcnt 0x2
	v_mov_b64_e32 v[0:1], v[2:3]
	s_wait_loadcnt 0x3
	ds_store_b64 v181, v[4:5]
	s_wait_loadcnt 0x2
	ds_store_b64 v181, v[10:11] offset:2112
	s_wait_loadcnt 0x1
	ds_store_b64 v181, v[6:7] offset:4224
	s_wait_loadcnt 0x0
	ds_store_b64 v181, v[8:9] offset:6336
.LBB114_44:                             ;   in Loop: Header=BB114_4 Depth=1
	s_wait_dscnt 0x0
	s_barrier_signal -1
	s_barrier_wait -1
	s_wait_xcnt 0x0
	s_and_saveexec_b32 s18, s8
	s_cbranch_execnz .LBB114_130
; %bb.45:                               ;   in Loop: Header=BB114_4 Depth=1
	s_or_b32 exec_lo, exec_lo, s18
	s_and_saveexec_b32 s18, s10
	s_cbranch_execnz .LBB114_131
.LBB114_46:                             ;   in Loop: Header=BB114_4 Depth=1
	s_or_b32 exec_lo, exec_lo, s18
	s_and_saveexec_b32 s18, s5
	s_cbranch_execnz .LBB114_132
.LBB114_47:                             ;   in Loop: Header=BB114_4 Depth=1
	s_or_b32 exec_lo, exec_lo, s18
	s_and_saveexec_b32 s18, s6
	s_cbranch_execz .LBB114_49
.LBB114_48:                             ;   in Loop: Header=BB114_4 Depth=1
	ds_load_b64 v[2:3], v183 offset:528
	s_wait_dscnt 0x0
	ds_store_b64 v174, v[2:3] offset:24
.LBB114_49:                             ;   in Loop: Header=BB114_4 Depth=1
	s_or_b32 exec_lo, exec_lo, s18
	s_wait_dscnt 0x0
	s_barrier_signal -1
	s_barrier_wait -1
	ds_load_b64 v[10:11], v182
	ds_load_b128 v[2:5], v178 offset:256
	ds_load_2addr_b64 v[6:9], v183 offset1:33
	ds_load_b128 v[14:17], v178 offset:272
	ds_load_b64 v[18:19], v183 offset:528
	s_wait_dscnt 0x0
	s_barrier_signal -1
	s_barrier_wait -1
	v_pk_mul_f32 v[20:21], v[2:3], v[10:11] op_sel:[1,1] op_sel_hi:[0,1]
	v_dual_mov_b32 v22, v5 :: v_dual_mov_b32 v23, v4
	v_pk_mul_f32 v[24:25], v[14:15], v[8:9] op_sel:[1,1] op_sel_hi:[0,1]
	v_dual_mov_b32 v28, v17 :: v_dual_mov_b32 v29, v16
	s_delay_alu instid0(VALU_DEP_4) | instskip(NEXT) | instid1(VALU_DEP_4)
	v_pk_fma_f32 v[26:27], v[2:3], v[10:11], v[20:21] op_sel_hi:[1,0,1]
	v_pk_mul_f32 v[22:23], v[22:23], v[6:7] op_sel:[0,1]
	v_pk_fma_f32 v[2:3], v[2:3], v[10:11], v[20:21] neg_lo:[0,0,1] neg_hi:[0,0,1]
	v_pk_fma_f32 v[20:21], v[14:15], v[8:9], v[24:25] op_sel_hi:[1,0,1]
	s_delay_alu instid0(VALU_DEP_3)
	v_pk_fma_f32 v[10:11], v[4:5], v[6:7], v[22:23] op_sel_hi:[1,0,1]
	v_mov_b32_e32 v3, v27
	v_pk_fma_f32 v[4:5], v[4:5], v[6:7], v[22:23] neg_lo:[0,0,1] neg_hi:[0,0,1]
	v_pk_mul_f32 v[26:27], v[28:29], v[18:19] op_sel:[0,1]
	v_pk_fma_f32 v[6:7], v[14:15], v[8:9], v[24:25] neg_lo:[0,0,1] neg_hi:[0,0,1]
	v_mov_b32_e32 v5, v11
	v_pk_add_f32 v[2:3], v[2:3], 0 op_sel_hi:[1,0]
	s_delay_alu instid0(VALU_DEP_4) | instskip(SKIP_1) | instid1(VALU_DEP_3)
	v_pk_fma_f32 v[8:9], v[16:17], v[18:19], v[26:27] op_sel_hi:[1,0,1]
	v_mov_b32_e32 v7, v21
	v_pk_add_f32 v[2:3], v[2:3], v[4:5]
	v_pk_fma_f32 v[4:5], v[16:17], v[18:19], v[26:27] neg_lo:[0,0,1] neg_hi:[0,0,1]
	s_delay_alu instid0(VALU_DEP_4) | instskip(NEXT) | instid1(VALU_DEP_3)
	v_mov_b32_e32 v5, v9
	v_pk_add_f32 v[2:3], v[2:3], v[6:7]
	s_delay_alu instid0(VALU_DEP_1)
	v_pk_add_f32 v[2:3], v[2:3], v[4:5]
	ds_store_b64 v179, v[2:3]
	s_wait_dscnt 0x0
	s_barrier_signal -1
	s_barrier_wait -1
	s_and_saveexec_b32 s18, s17
	s_cbranch_execz .LBB114_51
; %bb.50:                               ;   in Loop: Header=BB114_4 Depth=1
	ds_load_2addr_b64 v[2:5], v173 offset1:7
	ds_load_2addr_b64 v[6:9], v173 offset0:1 offset1:2
	ds_load_2addr_b64 v[14:17], v173 offset0:3 offset1:4
	;; [unrolled: 1-line block ×3, first 2 shown]
	s_wait_dscnt 0x2
	v_dual_add_f32 v2, v6, v2 :: v_dual_add_f32 v3, v7, v3
	s_delay_alu instid0(VALU_DEP_1) | instskip(SKIP_1) | instid1(VALU_DEP_1)
	v_dual_add_f32 v2, v8, v2 :: v_dual_add_f32 v3, v9, v3
	s_wait_dscnt 0x1
	v_dual_add_f32 v2, v2, v14 :: v_dual_add_f32 v3, v3, v15
	s_delay_alu instid0(VALU_DEP_1) | instskip(SKIP_1) | instid1(VALU_DEP_1)
	v_dual_add_f32 v2, v2, v16 :: v_dual_add_f32 v3, v3, v17
	s_wait_dscnt 0x0
	v_dual_add_f32 v2, v2, v18 :: v_dual_add_f32 v3, v3, v19
	s_delay_alu instid0(VALU_DEP_1) | instskip(NEXT) | instid1(VALU_DEP_1)
	v_pk_add_f32 v[2:3], v[2:3], v[20:21]
	v_pk_add_f32 v[104:105], v[2:3], v[4:5]
.LBB114_51:                             ;   in Loop: Header=BB114_4 Depth=1
	s_or_b32 exec_lo, exec_lo, s18
	v_add_nc_u64_e32 v[2:3], s[60:61], v[0:1]
	s_and_b32 vcc_lo, exec_lo, s68
	s_mov_b32 s18, -1
	s_barrier_signal -1
	s_barrier_wait -1
                                        ; implicit-def: $vgpr14_vgpr15
	s_cbranch_vccz .LBB114_61
; %bb.52:                               ;   in Loop: Header=BB114_4 Depth=1
	v_lshl_add_u64 v[4:5], v[100:101], 3, v[0:1]
	v_dual_mov_b32 v8, 0 :: v_dual_mov_b32 v6, 0
	v_mov_b32_e32 v7, 0
	s_delay_alu instid0(VALU_DEP_3) | instskip(NEXT) | instid1(VALU_DEP_1)
	v_lshl_add_u64 v[4:5], s[42:43], 3, v[4:5]
	v_add_nc_u64_e32 v[4:5], s[62:63], v[4:5]
	s_delay_alu instid0(VALU_DEP_1)
	v_dual_cndmask_b32 v5, v5, v3, s1 :: v_dual_cndmask_b32 v4, v4, v2, s1
	s_and_saveexec_b32 s18, s16
	s_cbranch_execz .LBB114_54
; %bb.53:                               ;   in Loop: Header=BB114_4 Depth=1
	global_load_b64 v[6:7], v[4:5], off
.LBB114_54:                             ;   in Loop: Header=BB114_4 Depth=1
	s_wait_xcnt 0x0
	s_or_b32 exec_lo, exec_lo, s18
	v_mov_b32_e32 v9, 0
	s_wait_loadcnt 0x0
	ds_store_b64 v181, v[6:7]
	s_and_saveexec_b32 s18, s11
	s_cbranch_execz .LBB114_56
; %bb.55:                               ;   in Loop: Header=BB114_4 Depth=1
	v_add_nc_u64_e32 v[6:7], s[40:41], v[4:5]
	global_load_b64 v[8:9], v[6:7], off
.LBB114_56:                             ;   in Loop: Header=BB114_4 Depth=1
	s_wait_xcnt 0x0
	s_or_b32 exec_lo, exec_lo, s18
	v_dual_mov_b32 v6, 0 :: v_dual_mov_b32 v10, 0
	v_mov_b32_e32 v11, 0
	s_wait_loadcnt 0x0
	ds_store_b64 v181, v[8:9] offset:2112
	s_and_saveexec_b32 s18, s13
	s_cbranch_execz .LBB114_58
; %bb.57:                               ;   in Loop: Header=BB114_4 Depth=1
	v_add_nc_u64_e32 v[8:9], s[50:51], v[4:5]
	global_load_b64 v[10:11], v[8:9], off
.LBB114_58:                             ;   in Loop: Header=BB114_4 Depth=1
	s_wait_xcnt 0x0
	s_or_b32 exec_lo, exec_lo, s18
	v_mov_b32_e32 v7, 0
	s_wait_loadcnt 0x0
	ds_store_b64 v181, v[10:11] offset:4224
	s_and_saveexec_b32 s18, s14
	s_cbranch_execz .LBB114_60
; %bb.59:                               ;   in Loop: Header=BB114_4 Depth=1
	v_add_nc_u64_e32 v[6:7], s[54:55], v[4:5]
	global_load_b64 v[6:7], v[6:7], off
.LBB114_60:                             ;   in Loop: Header=BB114_4 Depth=1
	s_wait_xcnt 0x0
	s_or_b32 exec_lo, exec_lo, s18
	v_lshlrev_b32_e32 v58, 3, v56
	s_mov_b32 s18, 0
	s_wait_loadcnt 0x0
	ds_store_b64 v181, v[6:7] offset:6336
	v_add_nc_u64_e32 v[4:5], v[4:5], v[58:59]
	s_delay_alu instid0(VALU_DEP_1) | instskip(NEXT) | instid1(VALU_DEP_1)
	v_lshl_add_u64 v[4:5], s[64:65], 3, v[4:5]
	v_add_nc_u64_e32 v[4:5], 8, v[4:5]
	s_delay_alu instid0(VALU_DEP_1)
	v_dual_cndmask_b32 v15, v5, v3, s1 :: v_dual_cndmask_b32 v14, v4, v2, s1
.LBB114_61:                             ;   in Loop: Header=BB114_4 Depth=1
	s_and_b32 vcc_lo, exec_lo, s18
	s_cbranch_vccz .LBB114_63
; %bb.62:                               ;   in Loop: Header=BB114_4 Depth=1
	v_add_nc_u64_e32 v[4:5], s[40:41], v[0:1]
	v_mov_b64_e32 v[14:15], v[2:3]
	s_delay_alu instid0(VALU_DEP_2) | instskip(NEXT) | instid1(VALU_DEP_1)
	v_add_nc_u64_e32 v[6:7], s[40:41], v[4:5]
	v_add_nc_u64_e32 v[8:9], s[40:41], v[6:7]
	s_clause 0x3
	global_load_b64 v[0:1], v[0:1], off offset:-256
	global_load_b64 v[4:5], v[4:5], off offset:-256
	;; [unrolled: 1-line block ×4, first 2 shown]
	s_wait_loadcnt 0x3
	ds_store_b64 v181, v[0:1]
	s_wait_loadcnt 0x2
	ds_store_b64 v181, v[4:5] offset:2112
	s_wait_loadcnt 0x1
	ds_store_b64 v181, v[6:7] offset:4224
	;; [unrolled: 2-line block ×3, first 2 shown]
.LBB114_63:                             ;   in Loop: Header=BB114_4 Depth=1
	s_wait_xcnt 0x3
	v_add_nc_u32_e32 v0, v174, v180
	v_add_nc_u32_e32 v1, v178, v180
	s_wait_dscnt 0x0
	s_barrier_signal -1
	s_barrier_wait -1
	s_wait_xcnt 0x2
	ds_load_b64 v[4:5], v0
	s_wait_xcnt 0x1
	ds_load_b64 v[6:7], v1
	ds_load_2addr_b64 v[20:23], v187 offset0:8 offset1:16
	ds_load_2addr_b64 v[24:27], v188 offset0:8 offset1:16
	ds_load_b64 v[28:29], v187 offset:192
	ds_load_b64 v[30:31], v188 offset:192
	ds_load_2addr_b64 v[0:3], v183 offset1:33
	ds_load_b64 v[18:19], v182
	ds_load_b64 v[16:17], v183 offset:528
	s_wait_dscnt 0x7
	s_wait_xcnt 0x0
	v_pk_mul_f32 v[8:9], v[6:7], v[4:5] op_sel:[1,1] op_sel_hi:[0,1]
	s_wait_dscnt 0x5
	v_pk_mul_f32 v[10:11], v[24:25], v[20:21] op_sel:[1,1] op_sel_hi:[0,1]
	v_pk_mul_f32 v[34:35], v[26:27], v[22:23] op_sel:[1,1] op_sel_hi:[0,1]
	s_delay_alu instid0(VALU_DEP_3) | instskip(SKIP_1) | instid1(VALU_DEP_4)
	v_pk_fma_f32 v[32:33], v[6:7], v[4:5], v[8:9] op_sel_hi:[1,0,1]
	v_pk_fma_f32 v[4:5], v[6:7], v[4:5], v[8:9] neg_lo:[0,0,1] neg_hi:[0,0,1]
	v_pk_fma_f32 v[36:37], v[24:25], v[20:21], v[10:11] op_sel_hi:[1,0,1]
	v_pk_fma_f32 v[20:21], v[24:25], v[20:21], v[10:11] neg_lo:[0,0,1] neg_hi:[0,0,1]
	v_pk_fma_f32 v[24:25], v[26:27], v[22:23], v[34:35] op_sel_hi:[1,0,1]
	v_mov_b32_e32 v5, v33
	s_wait_dscnt 0x3
	v_pk_mul_f32 v[32:33], v[30:31], v[28:29] op_sel:[1,1] op_sel_hi:[0,1]
	v_mov_b32_e32 v21, v37
	v_pk_fma_f32 v[22:23], v[26:27], v[22:23], v[34:35] neg_lo:[0,0,1] neg_hi:[0,0,1]
	v_mov_b32_e32 v23, v25
	v_pk_add_f32 v[36:37], v[4:5], 0 op_sel_hi:[1,0]
	ds_load_b128 v[8:11], v178 offset:256
	ds_load_b128 v[4:7], v178 offset:272
	v_pk_fma_f32 v[24:25], v[30:31], v[28:29], v[32:33] op_sel_hi:[1,0,1]
	v_pk_fma_f32 v[26:27], v[30:31], v[28:29], v[32:33] neg_lo:[0,0,1] neg_hi:[0,0,1]
	s_wait_dscnt 0x0
	v_pk_add_f32 v[20:21], v[36:37], v[20:21]
	s_barrier_signal -1
	v_mov_b32_e32 v27, v25
	s_barrier_wait -1
	s_delay_alu instid0(VALU_DEP_2) | instskip(NEXT) | instid1(VALU_DEP_1)
	v_pk_add_f32 v[20:21], v[20:21], v[22:23]
	v_pk_add_f32 v[20:21], v[20:21], v[26:27]
	ds_store_b64 v179, v[20:21]
	s_wait_dscnt 0x0
	s_barrier_signal -1
	s_barrier_wait -1
	s_and_saveexec_b32 s18, s17
	s_cbranch_execz .LBB114_65
; %bb.64:                               ;   in Loop: Header=BB114_4 Depth=1
	ds_load_2addr_b64 v[20:23], v173 offset1:1
	ds_load_2addr_b64 v[24:27], v173 offset0:2 offset1:3
	ds_load_2addr_b64 v[28:31], v173 offset0:4 offset1:5
	s_wait_dscnt 0x2
	v_pk_add_f32 v[20:21], v[104:105], v[20:21]
	s_delay_alu instid0(VALU_DEP_1) | instskip(SKIP_1) | instid1(VALU_DEP_1)
	v_pk_add_f32 v[20:21], v[20:21], v[22:23]
	s_wait_dscnt 0x1
	v_pk_add_f32 v[24:25], v[20:21], v[24:25]
	ds_load_2addr_b64 v[20:23], v173 offset0:6 offset1:7
	v_pk_add_f32 v[24:25], v[24:25], v[26:27]
	s_wait_dscnt 0x1
	s_delay_alu instid0(VALU_DEP_1) | instskip(NEXT) | instid1(VALU_DEP_1)
	v_pk_add_f32 v[24:25], v[24:25], v[28:29]
	v_pk_add_f32 v[24:25], v[24:25], v[30:31]
	s_wait_dscnt 0x0
	s_delay_alu instid0(VALU_DEP_1) | instskip(NEXT) | instid1(VALU_DEP_1)
	v_pk_add_f32 v[20:21], v[24:25], v[20:21]
	v_pk_add_f32 v[104:105], v[20:21], v[22:23]
.LBB114_65:                             ;   in Loop: Header=BB114_4 Depth=1
	s_or_b32 exec_lo, exec_lo, s18
	v_pk_mul_f32 v[20:21], v[8:9], v[18:19] op_sel:[1,1] op_sel_hi:[0,1]
	v_dual_mov_b32 v22, v11 :: v_dual_mov_b32 v23, v10
	v_pk_mul_f32 v[24:25], v[4:5], v[2:3] op_sel:[1,1] op_sel_hi:[0,1]
	v_dual_mov_b32 v28, v7 :: v_dual_mov_b32 v29, v6
	s_delay_alu instid0(VALU_DEP_4) | instskip(NEXT) | instid1(VALU_DEP_4)
	v_pk_fma_f32 v[26:27], v[8:9], v[18:19], v[20:21] op_sel_hi:[1,0,1]
	v_pk_mul_f32 v[22:23], v[22:23], v[0:1] op_sel:[0,1]
	v_pk_fma_f32 v[8:9], v[8:9], v[18:19], v[20:21] neg_lo:[0,0,1] neg_hi:[0,0,1]
	v_pk_fma_f32 v[20:21], v[4:5], v[2:3], v[24:25] op_sel_hi:[1,0,1]
	v_pk_fma_f32 v[2:3], v[4:5], v[2:3], v[24:25] neg_lo:[0,0,1] neg_hi:[0,0,1]
	s_delay_alu instid0(VALU_DEP_4)
	v_pk_fma_f32 v[18:19], v[10:11], v[0:1], v[22:23] op_sel_hi:[1,0,1]
	v_mov_b32_e32 v9, v27
	v_pk_fma_f32 v[0:1], v[10:11], v[0:1], v[22:23] neg_lo:[0,0,1] neg_hi:[0,0,1]
	v_pk_mul_f32 v[26:27], v[28:29], v[16:17] op_sel:[0,1]
	s_barrier_signal -1
	v_mov_b32_e32 v1, v19
	v_pk_add_f32 v[8:9], v[8:9], 0 op_sel_hi:[1,0]
	s_barrier_wait -1
	v_pk_fma_f32 v[4:5], v[6:7], v[16:17], v[26:27] op_sel_hi:[1,0,1]
	v_mov_b32_e32 v3, v21
	v_pk_fma_f32 v[6:7], v[6:7], v[16:17], v[26:27] neg_lo:[0,0,1] neg_hi:[0,0,1]
	v_pk_add_f32 v[0:1], v[8:9], v[0:1]
	s_delay_alu instid0(VALU_DEP_4) | instskip(NEXT) | instid1(VALU_DEP_2)
	v_mov_b32_e32 v7, v5
	v_pk_add_f32 v[0:1], v[0:1], v[2:3]
	s_delay_alu instid0(VALU_DEP_1)
	v_pk_add_f32 v[0:1], v[0:1], v[6:7]
	ds_store_b64 v179, v[0:1]
	s_wait_dscnt 0x0
	s_barrier_signal -1
	s_barrier_wait -1
	s_and_saveexec_b32 s18, s12
	s_cbranch_execz .LBB114_67
; %bb.66:                               ;   in Loop: Header=BB114_4 Depth=1
	ds_load_2addr_b64 v[0:3], v173 offset1:1
	ds_load_2addr_b64 v[4:7], v173 offset0:2 offset1:3
	ds_load_2addr_b64 v[8:11], v173 offset0:4 offset1:5
	s_wait_dscnt 0x2
	v_pk_add_f32 v[0:1], v[104:105], v[0:1]
	s_delay_alu instid0(VALU_DEP_1) | instskip(SKIP_1) | instid1(VALU_DEP_1)
	v_pk_add_f32 v[0:1], v[0:1], v[2:3]
	s_wait_dscnt 0x1
	v_pk_add_f32 v[4:5], v[0:1], v[4:5]
	ds_load_2addr_b64 v[0:3], v173 offset0:6 offset1:7
	v_pk_add_f32 v[4:5], v[4:5], v[6:7]
	s_wait_dscnt 0x1
	s_delay_alu instid0(VALU_DEP_1) | instskip(NEXT) | instid1(VALU_DEP_1)
	v_pk_add_f32 v[4:5], v[4:5], v[8:9]
	v_pk_add_f32 v[4:5], v[4:5], v[10:11]
	s_wait_dscnt 0x0
	s_delay_alu instid0(VALU_DEP_1) | instskip(NEXT) | instid1(VALU_DEP_1)
	v_pk_add_f32 v[0:1], v[4:5], v[0:1]
	v_pk_add_f32 v[104:105], v[0:1], v[2:3]
.LBB114_67:                             ;   in Loop: Header=BB114_4 Depth=1
	s_or_b32 exec_lo, exec_lo, s18
	s_mul_u64 s[18:19], s[52:53], s[28:29]
	s_and_not1_b32 vcc_lo, exec_lo, s69
	s_lshl_b64 s[18:19], s[18:19], 3
	s_delay_alu instid0(SALU_CYCLE_1)
	s_add_nc_u64 s[18:19], s[48:49], s[18:19]
	s_barrier_signal -1
	s_barrier_wait -1
	s_cbranch_vccnz .LBB114_125
; %bb.68:                               ;   in Loop: Header=BB114_4 Depth=1
	v_add_nc_u64_e32 v[106:107], v[14:15], v[68:69]
	v_add_nc_u64_e32 v[108:109], v[14:15], v[70:71]
	;; [unrolled: 1-line block ×16, first 2 shown]
	v_lshl_add_u64 v[138:139], s[58:59], 3, v[12:13]
	s_mov_b32 s66, s72
	s_mov_b32 s73, s34
	s_branch .LBB114_70
.LBB114_69:                             ;   in Loop: Header=BB114_70 Depth=2
	s_wait_xcnt 0x0
	s_or_b32 exec_lo, exec_lo, s67
	v_dual_mul_f32 v22, v5, v143 :: v_dual_mul_f32 v5, v5, v142
	v_dual_mov_b32 v20, v161 :: v_dual_mov_b32 v21, v161
	v_mov_b32_e32 v161, v160
	s_delay_alu instid0(VALU_DEP_3) | instskip(NEXT) | instid1(VALU_DEP_4)
	v_dual_fma_f32 v22, v4, v142, -v22 :: v_dual_mul_f32 v23, v7, v141
	v_dual_fmac_f32 v5, v4, v143 :: v_dual_mul_f32 v4, v7, v140
	v_dual_mov_b32 v16, v159 :: v_dual_mov_b32 v17, v159
	s_delay_alu instid0(VALU_DEP_3) | instskip(SKIP_1) | instid1(VALU_DEP_4)
	v_dual_add_f32 v7, v104, v22 :: v_dual_fma_f32 v22, v6, v140, -v23
	v_mul_f32_e32 v23, v1, v145
	v_add_f32_e32 v5, v105, v5
	v_dual_fmac_f32 v4, v6, v141 :: v_dual_mul_f32 v1, v1, v144
	s_delay_alu instid0(VALU_DEP_3) | instskip(NEXT) | instid1(VALU_DEP_2)
	v_dual_add_f32 v6, v7, v22 :: v_dual_fma_f32 v7, v0, v144, -v23
	v_dual_mul_f32 v22, v3, v147 :: v_dual_add_f32 v4, v5, v4
	s_delay_alu instid0(VALU_DEP_3) | instskip(NEXT) | instid1(VALU_DEP_3)
	v_dual_fmac_f32 v1, v0, v145 :: v_dual_mul_f32 v0, v3, v146
	v_add_f32_e32 v3, v6, v7
	s_delay_alu instid0(VALU_DEP_3) | instskip(NEXT) | instid1(VALU_DEP_3)
	v_dual_fma_f32 v5, v2, v146, -v22 :: v_dual_mul_f32 v6, v13, v151
	v_dual_add_f32 v1, v4, v1 :: v_dual_fmac_f32 v0, v2, v147
	s_delay_alu instid0(VALU_DEP_2) | instskip(NEXT) | instid1(VALU_DEP_3)
	v_dual_mul_f32 v2, v13, v150 :: v_dual_add_f32 v3, v3, v5
	v_dual_fma_f32 v4, v12, v150, -v6 :: v_dual_mul_f32 v5, v15, v149
	s_delay_alu instid0(VALU_DEP_2) | instskip(SKIP_1) | instid1(VALU_DEP_3)
	v_dual_add_f32 v0, v1, v0 :: v_dual_fmac_f32 v2, v12, v151
	v_mul_f32_e32 v6, v15, v148
	v_add_f32_e32 v3, v3, v4
	s_delay_alu instid0(VALU_DEP_4) | instskip(NEXT) | instid1(VALU_DEP_3)
	v_dual_fma_f32 v4, v14, v148, -v5 :: v_dual_mul_f32 v5, v9, v153
	v_dual_add_f32 v7, v0, v2 :: v_dual_fmac_f32 v6, v14, v149
	v_dual_mul_f32 v1, v9, v152 :: v_dual_mov_b32 v159, v158
	s_delay_alu instid0(VALU_DEP_3) | instskip(NEXT) | instid1(VALU_DEP_2)
	v_dual_mov_b32 v18, v157 :: v_dual_fma_f32 v0, v8, v152, -v5
	v_dual_add_f32 v2, v3, v4 :: v_dual_fmac_f32 v1, v8, v153
	v_dual_mul_f32 v4, v11, v155 :: v_dual_mul_f32 v5, v11, v154
	v_dual_add_f32 v3, v7, v6 :: v_dual_mov_b32 v19, v157
	v_dual_mov_b32 v157, v156 :: v_dual_mov_b32 v6, v163
	s_delay_alu instid0(VALU_DEP_3) | instskip(SKIP_4) | instid1(VALU_DEP_4)
	v_fma_f32 v4, v10, v154, -v4
	v_pk_mul_f32 v[8:9], v[28:29], v[16:17]
	v_fmac_f32_e32 v5, v10, v155
	v_pk_add_f32 v[0:1], v[2:3], v[0:1]
	v_dual_mov_b32 v7, v163 :: v_dual_mov_b32 v163, v162
	v_pk_fma_f32 v[2:3], v[28:29], v[158:159], v[8:9] op_sel:[0,0,1] op_sel_hi:[1,1,0]
	v_pk_fma_f32 v[8:9], v[28:29], v[158:159], v[8:9] op_sel:[0,0,1] op_sel_hi:[1,1,0] neg_lo:[0,0,1] neg_hi:[0,0,1]
	s_delay_alu instid0(VALU_DEP_4) | instskip(SKIP_1) | instid1(VALU_DEP_4)
	v_pk_add_f32 v[0:1], v[0:1], v[4:5]
	v_pk_mul_f32 v[4:5], v[30:31], v[18:19]
	v_dual_mov_b32 v2, v167 :: v_dual_mov_b32 v9, v3
	v_dual_mov_b32 v3, v167 :: v_dual_mov_b32 v167, v166
	s_delay_alu instid0(VALU_DEP_3)
	v_pk_fma_f32 v[10:11], v[30:31], v[156:157], v[4:5] op_sel:[0,0,1] op_sel_hi:[1,1,0]
	v_pk_fma_f32 v[4:5], v[30:31], v[156:157], v[4:5] op_sel:[0,0,1] op_sel_hi:[1,1,0] neg_lo:[0,0,1] neg_hi:[0,0,1]
	v_mov_b32_e32 v10, v165
	v_pk_add_f32 v[0:1], v[0:1], v[8:9]
	v_pk_mul_f32 v[8:9], v[24:25], v[20:21]
	v_dual_mov_b32 v5, v11 :: v_dual_mov_b32 v11, v165
	v_mov_b32_e32 v165, v164
	v_pk_mul_f32 v[2:3], v[40:41], v[2:3]
	s_delay_alu instid0(VALU_DEP_4) | instskip(NEXT) | instid1(VALU_DEP_4)
	v_pk_fma_f32 v[12:13], v[24:25], v[160:161], v[8:9] op_sel:[0,0,1] op_sel_hi:[1,1,0]
	v_pk_add_f32 v[0:1], v[0:1], v[4:5]
	v_pk_mul_f32 v[4:5], v[26:27], v[6:7]
	v_pk_fma_f32 v[6:7], v[24:25], v[160:161], v[8:9] op_sel:[0,0,1] op_sel_hi:[1,1,0] neg_lo:[0,0,1] neg_hi:[0,0,1]
	s_delay_alu instid0(VALU_DEP_4) | instskip(SKIP_1) | instid1(VALU_DEP_4)
	v_dual_mov_b32 v12, v169 :: v_dual_mov_b32 v7, v13
	v_dual_mov_b32 v13, v169 :: v_dual_mov_b32 v169, v168
	v_pk_fma_f32 v[8:9], v[26:27], v[162:163], v[4:5] op_sel:[0,0,1] op_sel_hi:[1,1,0]
	v_pk_fma_f32 v[4:5], v[26:27], v[162:163], v[4:5] op_sel:[0,0,1] op_sel_hi:[1,1,0] neg_lo:[0,0,1] neg_hi:[0,0,1]
	v_mov_b32_e32 v8, v171
	v_pk_add_f32 v[0:1], v[0:1], v[6:7]
	v_pk_mul_f32 v[6:7], v[42:43], v[10:11]
	v_mov_b32_e32 v5, v9
	v_pk_fma_f32 v[10:11], v[40:41], v[166:167], v[2:3] op_sel:[0,0,1] op_sel_hi:[1,1,0]
	v_pk_fma_f32 v[2:3], v[40:41], v[166:167], v[2:3] op_sel:[0,0,1] op_sel_hi:[1,1,0] neg_lo:[0,0,1] neg_hi:[0,0,1]
	v_dual_mov_b32 v9, v171 :: v_dual_mov_b32 v171, v170
	s_delay_alu instid0(VALU_DEP_4)
	v_pk_add_f32 v[0:1], v[0:1], v[4:5]
	v_pk_fma_f32 v[4:5], v[42:43], v[164:165], v[6:7] op_sel:[0,0,1] op_sel_hi:[1,1,0]
	v_pk_mul_f32 v[12:13], v[44:45], v[12:13]
	v_mov_b32_e32 v3, v11
	v_pk_fma_f32 v[6:7], v[42:43], v[164:165], v[6:7] op_sel:[0,0,1] op_sel_hi:[1,1,0] neg_lo:[0,0,1] neg_hi:[0,0,1]
	v_pk_mul_f32 v[8:9], v[46:47], v[8:9]
	v_mov_b32_e32 v7, v5
	v_pk_fma_f32 v[4:5], v[44:45], v[168:169], v[12:13] op_sel:[0,0,1] op_sel_hi:[1,1,0]
	v_pk_add_f32 v[0:1], v[0:1], v[2:3]
	v_pk_fma_f32 v[2:3], v[44:45], v[168:169], v[12:13] op_sel:[0,0,1] op_sel_hi:[1,1,0] neg_lo:[0,0,1] neg_hi:[0,0,1]
	v_add_nc_u64_e32 v[106:107], s[44:45], v[106:107]
	v_add_nc_u64_e32 v[108:109], s[44:45], v[108:109]
	v_mov_b32_e32 v3, v5
	v_pk_fma_f32 v[4:5], v[46:47], v[170:171], v[8:9] op_sel:[0,0,1] op_sel_hi:[1,1,0]
	v_pk_add_f32 v[0:1], v[0:1], v[6:7]
	v_pk_fma_f32 v[6:7], v[46:47], v[170:171], v[8:9] op_sel:[0,0,1] op_sel_hi:[1,1,0] neg_lo:[0,0,1] neg_hi:[0,0,1]
	v_add_nc_u64_e32 v[110:111], s[44:45], v[110:111]
	v_add_nc_u64_e32 v[112:113], s[44:45], v[112:113]
	v_mov_b32_e32 v7, v5
	v_pk_add_f32 v[0:1], v[0:1], v[2:3]
	v_add_nc_u64_e32 v[114:115], s[44:45], v[114:115]
	v_add_nc_u64_e32 v[116:117], s[44:45], v[116:117]
	;; [unrolled: 1-line block ×12, first 2 shown]
	v_pk_add_f32 v[104:105], v[0:1], v[6:7]
	s_add_co_i32 s67, s73, 1
	s_add_co_i32 s73, s73, 2
	;; [unrolled: 1-line block ×3, first 2 shown]
	s_cmp_ge_u32 s73, s30
	s_mov_b32 s73, s67
	s_wait_storecnt 0x0
	s_barrier_signal -1
	s_barrier_wait -1
	s_cbranch_scc1 .LBB114_125
.LBB114_70:                             ;   Parent Loop BB114_4 Depth=1
                                        ; =>  This Inner Loop Header: Depth=2
	s_cmp_eq_u32 s70, s73
	s_cselect_b32 s74, s31, 0
	s_and_saveexec_b32 s75, s0
	s_cbranch_execz .LBB114_75
; %bb.71:                               ;   in Loop: Header=BB114_70 Depth=2
	v_cmp_le_i32_e32 vcc_lo, s74, v172
	s_cmp_lg_u32 s74, 0
	s_cselect_b32 s67, -1, 0
	s_delay_alu instid0(SALU_CYCLE_1) | instskip(NEXT) | instid1(SALU_CYCLE_1)
	s_and_b32 s67, s67, vcc_lo
	s_and_saveexec_b32 s76, s67
	s_delay_alu instid0(SALU_CYCLE_1)
	s_xor_b32 s67, exec_lo, s76
; %bb.72:                               ;   in Loop: Header=BB114_70 Depth=2
	ds_store_b64 v191, v[102:103]
; %bb.73:                               ;   in Loop: Header=BB114_70 Depth=2
	s_and_not1_saveexec_b32 s67, s67
	s_cbranch_execz .LBB114_75
; %bb.74:                               ;   in Loop: Header=BB114_70 Depth=2
	s_ashr_i32 s67, s66, 31
	s_delay_alu instid0(SALU_CYCLE_1) | instskip(NEXT) | instid1(SALU_CYCLE_1)
	s_mul_u64 s[76:77], s[20:21], s[66:67]
	v_lshl_add_u64 v[0:1], s[76:77], 3, v[138:139]
	global_load_b64 v[0:1], v[0:1], off
	s_wait_loadcnt 0x0
	ds_store_b64 v191, v[0:1]
.LBB114_75:                             ;   in Loop: Header=BB114_70 Depth=2
	s_wait_xcnt 0x0
	s_or_b32 exec_lo, exec_lo, s75
	s_cmp_eq_u32 s74, 0
	v_add_nc_u64_e32 v[0:1], v[106:107], v[60:61]
	s_cselect_b32 s67, -1, 0
	s_cmp_lg_u32 s74, 0
	s_wait_dscnt 0x0
	s_cselect_b32 s75, -1, 0
	s_barrier_signal -1
	s_and_b32 vcc_lo, exec_lo, s75
	s_barrier_wait -1
	s_cbranch_vccz .LBB114_83
; %bb.76:                               ;   in Loop: Header=BB114_70 Depth=2
	v_mov_b64_e32 v[140:141], 0
	v_mov_b64_e32 v[142:143], 0
	s_mov_b32 s76, exec_lo
	v_cmpx_gt_i32_e64 s74, v184
	s_cbranch_execz .LBB114_78
; %bb.77:                               ;   in Loop: Header=BB114_70 Depth=2
	global_load_b64 v[142:143], v[0:1], off
.LBB114_78:                             ;   in Loop: Header=BB114_70 Depth=2
	s_wait_xcnt 0x0
	s_or_b32 exec_lo, exec_lo, s76
	s_delay_alu instid0(SALU_CYCLE_1)
	s_mov_b32 s76, exec_lo
	v_cmpx_gt_i32_e64 s74, v193
	s_cbranch_execz .LBB114_80
; %bb.79:                               ;   in Loop: Header=BB114_70 Depth=2
	v_add_nc_u64_e32 v[2:3], v[110:111], v[60:61]
	global_load_b64 v[140:141], v[2:3], off
.LBB114_80:                             ;   in Loop: Header=BB114_70 Depth=2
	s_wait_xcnt 0x0
	s_or_b32 exec_lo, exec_lo, s76
	v_mov_b64_e32 v[144:145], 0
	s_mov_b32 s76, exec_lo
	v_cmpx_gt_i32_e64 s74, v194
	s_cbranch_execz .LBB114_82
; %bb.81:                               ;   in Loop: Header=BB114_70 Depth=2
	v_add_nc_u64_e32 v[2:3], v[108:109], v[60:61]
	global_load_b64 v[144:145], v[2:3], off
.LBB114_82:                             ;   in Loop: Header=BB114_70 Depth=2
	s_wait_xcnt 0x0
	s_or_b32 exec_lo, exec_lo, s76
	v_cmp_gt_i32_e64 s76, s74, v195
	s_branch .LBB114_85
.LBB114_83:                             ;   in Loop: Header=BB114_70 Depth=2
	s_mov_b32 s76, 0
                                        ; implicit-def: $vgpr144_vgpr145
                                        ; implicit-def: $vgpr140_vgpr141
                                        ; implicit-def: $vgpr142_vgpr143
	s_cbranch_execz .LBB114_85
; %bb.84:                               ;   in Loop: Header=BB114_70 Depth=2
	v_add_nc_u64_e32 v[2:3], v[110:111], v[60:61]
	v_add_nc_u64_e32 v[4:5], v[108:109], v[60:61]
	s_or_b32 s76, s76, exec_lo
	s_wait_loadcnt 0x0
	global_load_b64 v[142:143], v[0:1], off
	global_load_b64 v[140:141], v[2:3], off
	global_load_b64 v[144:145], v[4:5], off
.LBB114_85:                             ;   in Loop: Header=BB114_70 Depth=2
	v_mov_b64_e32 v[146:147], 0
	s_wait_xcnt 0x0
	s_delay_alu instid0(VALU_DEP_2)
	s_and_saveexec_b32 s77, s76
	s_cbranch_execz .LBB114_87
; %bb.86:                               ;   in Loop: Header=BB114_70 Depth=2
	v_add_nc_u64_e32 v[0:1], v[112:113], v[60:61]
	global_load_b64 v[146:147], v[0:1], off
.LBB114_87:                             ;   in Loop: Header=BB114_70 Depth=2
	s_wait_xcnt 0x0
	s_or_b32 exec_lo, exec_lo, s77
	ds_load_b64 v[0:1], v190
	v_cndmask_b32_e64 v40, 0, 1, s75
	s_and_not1_b32 vcc_lo, exec_lo, s75
	s_wait_loadcnt_dscnt 0x0
	v_pk_mul_f32 v[2:3], v[0:1], v[142:143] op_sel:[1,1] op_sel_hi:[0,1]
	v_pk_mul_f32 v[4:5], v[0:1], v[140:141] op_sel:[1,1] op_sel_hi:[0,1]
	;; [unrolled: 1-line block ×4, first 2 shown]
	s_delay_alu instid0(VALU_DEP_4)
	v_pk_fma_f32 v[10:11], v[0:1], v[142:143], v[2:3] neg_lo:[0,0,1] neg_hi:[0,0,1]
	v_pk_fma_f32 v[2:3], v[0:1], v[142:143], v[2:3] op_sel_hi:[1,0,1]
	v_pk_fma_f32 v[12:13], v[0:1], v[140:141], v[4:5] neg_lo:[0,0,1] neg_hi:[0,0,1]
	v_pk_fma_f32 v[4:5], v[0:1], v[140:141], v[4:5] op_sel_hi:[1,0,1]
	;; [unrolled: 2-line block ×3, first 2 shown]
	v_pk_fma_f32 v[16:17], v[0:1], v[146:147], v[8:9] op_sel_hi:[1,0,1]
	v_pk_fma_f32 v[8:9], v[0:1], v[146:147], v[8:9] neg_lo:[0,0,1] neg_hi:[0,0,1]
	v_dual_mov_b32 v11, v3 :: v_dual_mov_b32 v13, v5
	s_delay_alu instid0(VALU_DEP_3)
	v_dual_mov_b32 v15, v7 :: v_dual_mov_b32 v9, v17
	ds_load_b128 v[4:7], v192
	ds_load_b128 v[0:3], v192 offset:16
	ds_store_2addr_b64 v185, v[10:11], v[12:13] offset1:67
	ds_store_2addr_b64 v185, v[14:15], v[8:9] offset0:134 offset1:201
	s_wait_dscnt 0x0
	s_barrier_signal -1
	s_barrier_wait -1
	ds_load_2addr_b64 v[20:23], v175 offset1:1
	ds_load_2addr_b64 v[16:19], v175 offset0:2 offset1:3
	v_add_nc_u64_e32 v[8:9], v[114:115], v[60:61]
	s_wait_dscnt 0x0
	s_barrier_signal -1
	s_barrier_wait -1
	s_cbranch_vccnz .LBB114_95
; %bb.88:                               ;   in Loop: Header=BB114_70 Depth=2
	v_mov_b64_e32 v[148:149], 0
	v_mov_b64_e32 v[150:151], 0
	s_mov_b32 s75, exec_lo
	v_cmpx_gt_i32_e64 s74, v196
	s_cbranch_execz .LBB114_90
; %bb.89:                               ;   in Loop: Header=BB114_70 Depth=2
	global_load_b64 v[150:151], v[8:9], off
.LBB114_90:                             ;   in Loop: Header=BB114_70 Depth=2
	s_wait_xcnt 0x0
	s_or_b32 exec_lo, exec_lo, s75
	s_delay_alu instid0(SALU_CYCLE_1)
	s_mov_b32 s75, exec_lo
	v_cmpx_gt_i32_e64 s74, v197
	s_cbranch_execz .LBB114_92
; %bb.91:                               ;   in Loop: Header=BB114_70 Depth=2
	v_add_nc_u64_e32 v[10:11], v[116:117], v[60:61]
	global_load_b64 v[148:149], v[10:11], off
.LBB114_92:                             ;   in Loop: Header=BB114_70 Depth=2
	s_wait_xcnt 0x0
	s_or_b32 exec_lo, exec_lo, s75
	v_mov_b64_e32 v[152:153], 0
	s_mov_b32 s75, exec_lo
	v_cmpx_gt_i32_e64 s74, v198
	s_cbranch_execz .LBB114_94
; %bb.93:                               ;   in Loop: Header=BB114_70 Depth=2
	v_add_nc_u64_e32 v[10:11], v[118:119], v[60:61]
	global_load_b64 v[152:153], v[10:11], off
.LBB114_94:                             ;   in Loop: Header=BB114_70 Depth=2
	s_wait_xcnt 0x0
	s_or_b32 exec_lo, exec_lo, s75
	v_cmp_gt_i32_e64 s75, s74, v199
	s_branch .LBB114_97
.LBB114_95:                             ;   in Loop: Header=BB114_70 Depth=2
	s_mov_b32 s75, 0
                                        ; implicit-def: $vgpr152_vgpr153
                                        ; implicit-def: $vgpr148_vgpr149
                                        ; implicit-def: $vgpr150_vgpr151
	s_cbranch_execz .LBB114_97
; %bb.96:                               ;   in Loop: Header=BB114_70 Depth=2
	v_add_nc_u64_e32 v[10:11], v[116:117], v[60:61]
	v_add_nc_u64_e32 v[12:13], v[118:119], v[60:61]
	s_or_b32 s75, s75, exec_lo
	s_wait_loadcnt 0x0
	global_load_b64 v[150:151], v[8:9], off
	global_load_b64 v[148:149], v[10:11], off
	;; [unrolled: 1-line block ×3, first 2 shown]
.LBB114_97:                             ;   in Loop: Header=BB114_70 Depth=2
	v_mov_b64_e32 v[154:155], 0
	s_wait_xcnt 0x0
	s_delay_alu instid0(VALU_DEP_2)
	s_and_saveexec_b32 s76, s75
	s_cbranch_execz .LBB114_99
; %bb.98:                               ;   in Loop: Header=BB114_70 Depth=2
	v_add_nc_u64_e32 v[8:9], v[120:121], v[60:61]
	global_load_b64 v[154:155], v[8:9], off
.LBB114_99:                             ;   in Loop: Header=BB114_70 Depth=2
	s_wait_xcnt 0x0
	s_or_b32 exec_lo, exec_lo, s76
	ds_load_b64 v[8:9], v190
	v_cmp_ne_u32_e32 vcc_lo, 1, v40
	s_and_b32 vcc_lo, exec_lo, vcc_lo
	s_wait_loadcnt_dscnt 0x0
	v_pk_mul_f32 v[10:11], v[8:9], v[150:151] op_sel:[1,1] op_sel_hi:[0,1]
	v_pk_mul_f32 v[12:13], v[8:9], v[148:149] op_sel:[1,1] op_sel_hi:[0,1]
	;; [unrolled: 1-line block ×4, first 2 shown]
	s_delay_alu instid0(VALU_DEP_4)
	v_pk_fma_f32 v[26:27], v[8:9], v[150:151], v[10:11] neg_lo:[0,0,1] neg_hi:[0,0,1]
	v_pk_fma_f32 v[10:11], v[8:9], v[150:151], v[10:11] op_sel_hi:[1,0,1]
	v_pk_fma_f32 v[28:29], v[8:9], v[148:149], v[12:13] neg_lo:[0,0,1] neg_hi:[0,0,1]
	v_pk_fma_f32 v[12:13], v[8:9], v[148:149], v[12:13] op_sel_hi:[1,0,1]
	;; [unrolled: 2-line block ×3, first 2 shown]
	v_pk_fma_f32 v[32:33], v[8:9], v[154:155], v[24:25] op_sel_hi:[1,0,1]
	v_pk_fma_f32 v[24:25], v[8:9], v[154:155], v[24:25] neg_lo:[0,0,1] neg_hi:[0,0,1]
	v_dual_mov_b32 v27, v11 :: v_dual_mov_b32 v29, v13
	s_delay_alu instid0(VALU_DEP_3)
	v_dual_mov_b32 v31, v15 :: v_dual_mov_b32 v25, v33
	ds_load_b128 v[12:15], v192 offset:128
	ds_load_b128 v[8:11], v192 offset:144
	ds_store_2addr_b64 v185, v[26:27], v[28:29] offset1:67
	ds_store_2addr_b64 v185, v[30:31], v[24:25] offset0:134 offset1:201
	s_wait_dscnt 0x0
	s_barrier_signal -1
	s_barrier_wait -1
	ds_load_2addr_b64 v[36:39], v175 offset1:1
	ds_load_2addr_b64 v[32:35], v175 offset0:2 offset1:3
	v_add_nc_u64_e32 v[24:25], v[122:123], v[60:61]
	s_wait_dscnt 0x0
	s_barrier_signal -1
	s_barrier_wait -1
	s_cbranch_vccnz .LBB114_107
; %bb.100:                              ;   in Loop: Header=BB114_70 Depth=2
	v_mov_b64_e32 v[156:157], 0
	v_mov_b64_e32 v[158:159], 0
	s_mov_b32 s75, exec_lo
	v_cmpx_gt_i32_e64 s74, v200
	s_cbranch_execz .LBB114_102
; %bb.101:                              ;   in Loop: Header=BB114_70 Depth=2
	global_load_b64 v[158:159], v[24:25], off
.LBB114_102:                            ;   in Loop: Header=BB114_70 Depth=2
	s_wait_xcnt 0x0
	s_or_b32 exec_lo, exec_lo, s75
	s_delay_alu instid0(SALU_CYCLE_1)
	s_mov_b32 s75, exec_lo
	v_cmpx_gt_i32_e64 s74, v201
	s_cbranch_execz .LBB114_104
; %bb.103:                              ;   in Loop: Header=BB114_70 Depth=2
	v_add_nc_u64_e32 v[26:27], v[124:125], v[60:61]
	global_load_b64 v[156:157], v[26:27], off
.LBB114_104:                            ;   in Loop: Header=BB114_70 Depth=2
	s_wait_xcnt 0x0
	s_or_b32 exec_lo, exec_lo, s75
	v_mov_b64_e32 v[160:161], 0
	s_mov_b32 s75, exec_lo
	v_cmpx_gt_i32_e64 s74, v202
	s_cbranch_execz .LBB114_106
; %bb.105:                              ;   in Loop: Header=BB114_70 Depth=2
	v_add_nc_u64_e32 v[26:27], v[126:127], v[60:61]
	global_load_b64 v[160:161], v[26:27], off
.LBB114_106:                            ;   in Loop: Header=BB114_70 Depth=2
	s_wait_xcnt 0x0
	s_or_b32 exec_lo, exec_lo, s75
	v_cmp_gt_i32_e64 s75, s74, v203
	s_branch .LBB114_109
.LBB114_107:                            ;   in Loop: Header=BB114_70 Depth=2
	s_mov_b32 s75, 0
                                        ; implicit-def: $vgpr160_vgpr161
                                        ; implicit-def: $vgpr156_vgpr157
                                        ; implicit-def: $vgpr158_vgpr159
	s_cbranch_execz .LBB114_109
; %bb.108:                              ;   in Loop: Header=BB114_70 Depth=2
	v_add_nc_u64_e32 v[26:27], v[124:125], v[60:61]
	v_add_nc_u64_e32 v[28:29], v[126:127], v[60:61]
	s_or_b32 s75, s75, exec_lo
	s_wait_loadcnt 0x0
	global_load_b64 v[158:159], v[24:25], off
	global_load_b64 v[156:157], v[26:27], off
	;; [unrolled: 1-line block ×3, first 2 shown]
.LBB114_109:                            ;   in Loop: Header=BB114_70 Depth=2
	v_mov_b64_e32 v[162:163], 0
	s_wait_xcnt 0x0
	s_delay_alu instid0(VALU_DEP_2)
	s_and_saveexec_b32 s76, s75
	s_cbranch_execz .LBB114_111
; %bb.110:                              ;   in Loop: Header=BB114_70 Depth=2
	v_add_nc_u64_e32 v[24:25], v[128:129], v[60:61]
	global_load_b64 v[162:163], v[24:25], off
.LBB114_111:                            ;   in Loop: Header=BB114_70 Depth=2
	s_wait_xcnt 0x0
	s_or_b32 exec_lo, exec_lo, s76
	ds_load_b64 v[24:25], v190
	ds_load_b128 v[28:31], v192 offset:256
	v_cmp_ne_u32_e32 vcc_lo, 1, v40
	v_add_nc_u64_e32 v[40:41], v[130:131], v[60:61]
	s_and_b32 vcc_lo, exec_lo, vcc_lo
	s_wait_loadcnt_dscnt 0x1
	v_pk_mul_f32 v[26:27], v[24:25], v[158:159] op_sel:[0,1]
	v_pk_mul_f32 v[42:43], v[24:25], v[156:157] op_sel:[0,1]
	;; [unrolled: 1-line block ×4, first 2 shown]
	s_delay_alu instid0(VALU_DEP_4)
	v_pk_fma_f32 v[48:49], v[24:25], v[158:159], v[26:27] op_sel:[0,0,1] op_sel_hi:[1,1,0] neg_lo:[0,0,1] neg_hi:[0,0,1]
	v_pk_fma_f32 v[26:27], v[24:25], v[158:159], v[26:27] op_sel:[0,0,1] op_sel_hi:[1,0,0]
	v_pk_fma_f32 v[50:51], v[24:25], v[156:157], v[42:43] op_sel:[0,0,1] op_sel_hi:[1,1,0] neg_lo:[0,0,1] neg_hi:[0,0,1]
	v_pk_fma_f32 v[42:43], v[24:25], v[156:157], v[42:43] op_sel:[0,0,1] op_sel_hi:[1,0,0]
	;; [unrolled: 2-line block ×3, first 2 shown]
	v_pk_fma_f32 v[54:55], v[24:25], v[162:163], v[46:47] op_sel:[0,0,1] op_sel_hi:[1,0,0]
	v_pk_fma_f32 v[46:47], v[24:25], v[162:163], v[46:47] op_sel:[0,0,1] op_sel_hi:[1,1,0] neg_lo:[0,0,1] neg_hi:[0,0,1]
	v_dual_mov_b32 v49, v27 :: v_dual_mov_b32 v51, v43
	s_delay_alu instid0(VALU_DEP_3)
	v_dual_mov_b32 v53, v45 :: v_dual_mov_b32 v47, v55
	ds_load_b128 v[24:27], v192 offset:272
	ds_store_2addr_b64 v185, v[48:49], v[50:51] offset1:67
	ds_store_2addr_b64 v185, v[52:53], v[46:47] offset0:134 offset1:201
	s_wait_dscnt 0x0
	s_barrier_signal -1
	s_barrier_wait -1
	ds_load_2addr_b64 v[52:55], v175 offset1:1
	ds_load_2addr_b64 v[48:51], v175 offset0:2 offset1:3
	s_wait_dscnt 0x0
	s_barrier_signal -1
	s_barrier_wait -1
	s_cbranch_vccnz .LBB114_119
; %bb.112:                              ;   in Loop: Header=BB114_70 Depth=2
	v_mov_b64_e32 v[164:165], 0
	v_mov_b64_e32 v[166:167], 0
	s_mov_b32 s75, exec_lo
	v_cmpx_gt_i32_e64 s74, v204
	s_cbranch_execz .LBB114_114
; %bb.113:                              ;   in Loop: Header=BB114_70 Depth=2
	global_load_b64 v[166:167], v[40:41], off
.LBB114_114:                            ;   in Loop: Header=BB114_70 Depth=2
	s_wait_xcnt 0x0
	s_or_b32 exec_lo, exec_lo, s75
	s_delay_alu instid0(SALU_CYCLE_1)
	s_mov_b32 s75, exec_lo
	v_cmpx_gt_i32_e64 s74, v205
	s_cbranch_execz .LBB114_116
; %bb.115:                              ;   in Loop: Header=BB114_70 Depth=2
	v_add_nc_u64_e32 v[42:43], v[132:133], v[60:61]
	global_load_b64 v[164:165], v[42:43], off
.LBB114_116:                            ;   in Loop: Header=BB114_70 Depth=2
	s_wait_xcnt 0x0
	s_or_b32 exec_lo, exec_lo, s75
	v_mov_b64_e32 v[168:169], 0
	s_mov_b32 s75, exec_lo
	v_cmpx_gt_i32_e64 s74, v57
	s_cbranch_execz .LBB114_118
; %bb.117:                              ;   in Loop: Header=BB114_70 Depth=2
	v_add_nc_u64_e32 v[42:43], v[134:135], v[60:61]
	global_load_b64 v[168:169], v[42:43], off
.LBB114_118:                            ;   in Loop: Header=BB114_70 Depth=2
	s_wait_xcnt 0x0
	s_or_b32 exec_lo, exec_lo, s75
	v_cmp_gt_i32_e64 s75, s74, v206
	s_branch .LBB114_121
.LBB114_119:                            ;   in Loop: Header=BB114_70 Depth=2
	s_mov_b32 s75, 0
                                        ; implicit-def: $vgpr168_vgpr169
                                        ; implicit-def: $vgpr164_vgpr165
                                        ; implicit-def: $vgpr166_vgpr167
	s_cbranch_execz .LBB114_121
; %bb.120:                              ;   in Loop: Header=BB114_70 Depth=2
	v_add_nc_u64_e32 v[42:43], v[132:133], v[60:61]
	v_add_nc_u64_e32 v[44:45], v[134:135], v[60:61]
	s_or_b32 s75, s75, exec_lo
	s_wait_loadcnt 0x0
	global_load_b64 v[166:167], v[40:41], off
	global_load_b64 v[164:165], v[42:43], off
	;; [unrolled: 1-line block ×3, first 2 shown]
.LBB114_121:                            ;   in Loop: Header=BB114_70 Depth=2
	v_mov_b64_e32 v[170:171], 0
	s_wait_xcnt 0x0
	s_delay_alu instid0(VALU_DEP_2)
	s_and_saveexec_b32 s76, s75
	s_cbranch_execz .LBB114_123
; %bb.122:                              ;   in Loop: Header=BB114_70 Depth=2
	v_add_nc_u64_e32 v[40:41], v[136:137], v[60:61]
	global_load_b64 v[170:171], v[40:41], off
.LBB114_123:                            ;   in Loop: Header=BB114_70 Depth=2
	s_wait_xcnt 0x0
	s_or_b32 exec_lo, exec_lo, s76
	ds_load_b64 v[44:45], v190
	ds_load_b128 v[40:43], v192 offset:384
	v_pk_add_f32 v[36:37], v[36:37], 0 op_sel_hi:[1,0]
	v_pk_add_f32 v[20:21], v[20:21], 0 op_sel_hi:[1,0]
	;; [unrolled: 1-line block ×3, first 2 shown]
	v_cmp_gt_i32_e32 vcc_lo, s74, v172
	s_delay_alu instid0(VALU_DEP_4) | instskip(NEXT) | instid1(VALU_DEP_4)
	v_pk_add_f32 v[36:37], v[36:37], v[38:39]
	v_pk_add_f32 v[20:21], v[20:21], v[22:23]
	s_delay_alu instid0(VALU_DEP_4) | instskip(SKIP_1) | instid1(VALU_DEP_3)
	v_pk_add_f32 v[52:53], v[52:53], v[54:55]
	s_or_b32 s67, s67, vcc_lo
	v_pk_add_f32 v[32:33], v[36:37], v[32:33]
	s_delay_alu instid0(VALU_DEP_3) | instskip(NEXT) | instid1(VALU_DEP_3)
	v_pk_add_f32 v[16:17], v[20:21], v[16:17]
	v_pk_add_f32 v[38:39], v[52:53], v[48:49]
	s_and_b32 s74, s15, s67
	s_delay_alu instid0(VALU_DEP_3) | instskip(NEXT) | instid1(VALU_DEP_3)
	v_pk_add_f32 v[32:33], v[32:33], v[34:35]
	v_pk_add_f32 v[16:17], v[16:17], v[18:19]
	s_wait_loadcnt_dscnt 0x1
	v_pk_mul_f32 v[46:47], v[44:45], v[166:167] op_sel:[0,1]
	v_pk_mul_f32 v[208:209], v[44:45], v[164:165] op_sel:[0,1]
	;; [unrolled: 1-line block ×4, first 2 shown]
	s_delay_alu instid0(VALU_DEP_4)
	v_pk_fma_f32 v[214:215], v[44:45], v[166:167], v[46:47] op_sel:[0,0,1] op_sel_hi:[1,1,0] neg_lo:[0,0,1] neg_hi:[0,0,1]
	v_pk_fma_f32 v[46:47], v[44:45], v[166:167], v[46:47] op_sel:[0,0,1] op_sel_hi:[1,0,0]
	v_pk_fma_f32 v[216:217], v[44:45], v[164:165], v[208:209] op_sel:[0,0,1] op_sel_hi:[1,1,0] neg_lo:[0,0,1] neg_hi:[0,0,1]
	v_pk_fma_f32 v[208:209], v[44:45], v[164:165], v[208:209] op_sel:[0,0,1] op_sel_hi:[1,0,0]
	;; [unrolled: 2-line block ×3, first 2 shown]
	v_pk_fma_f32 v[220:221], v[44:45], v[170:171], v[212:213] op_sel:[0,0,1] op_sel_hi:[1,0,0]
	v_pk_fma_f32 v[212:213], v[44:45], v[170:171], v[212:213] op_sel:[0,0,1] op_sel_hi:[1,1,0] neg_lo:[0,0,1] neg_hi:[0,0,1]
	v_dual_mov_b32 v215, v47 :: v_dual_mov_b32 v217, v209
	s_delay_alu instid0(VALU_DEP_3)
	v_dual_mov_b32 v219, v211 :: v_dual_mov_b32 v213, v221
	ds_load_b128 v[44:47], v192 offset:400
	ds_store_2addr_b64 v185, v[214:215], v[216:217] offset1:67
	ds_store_2addr_b64 v185, v[218:219], v[212:213] offset0:134 offset1:201
	s_wait_dscnt 0x0
	s_barrier_signal -1
	s_barrier_wait -1
	ds_load_2addr_b64 v[208:211], v175 offset1:1
	ds_load_2addr_b64 v[212:215], v175 offset0:2 offset1:3
	s_wait_dscnt 0x0
	s_barrier_signal -1
	s_barrier_wait -1
	v_pk_add_f32 v[208:209], v[208:209], 0 op_sel_hi:[1,0]
	s_delay_alu instid0(VALU_DEP_1) | instskip(NEXT) | instid1(VALU_DEP_1)
	v_pk_add_f32 v[22:23], v[208:209], v[210:211]
	v_pk_add_f32 v[20:21], v[22:23], v[212:213]
	;; [unrolled: 1-line block ×3, first 2 shown]
	s_delay_alu instid0(VALU_DEP_2)
	v_pk_add_f32 v[18:19], v[20:21], v[214:215]
	ds_store_2addr_b64 v189, v[16:17], v[32:33] offset1:16
	ds_store_2addr_b64 v189, v[22:23], v[18:19] offset0:32 offset1:48
	s_wait_dscnt 0x0
	s_barrier_signal -1
	s_barrier_wait -1
	s_and_saveexec_b32 s67, s74
	s_cbranch_execz .LBB114_69
; %bb.124:                              ;   in Loop: Header=BB114_70 Depth=2
	ds_load_b64 v[36:37], v176
	ds_load_2addr_b64 v[16:19], v176 offset0:1 offset1:2
	ds_load_2addr_b64 v[20:23], v176 offset0:3 offset1:4
	;; [unrolled: 1-line block ×3, first 2 shown]
	s_wait_dscnt 0x2
	v_dual_add_f32 v16, v16, v36 :: v_dual_add_f32 v17, v17, v37
	s_delay_alu instid0(VALU_DEP_1) | instskip(SKIP_3) | instid1(VALU_DEP_1)
	v_dual_add_f32 v36, v18, v16 :: v_dual_add_f32 v37, v19, v17
	ds_load_2addr_b64 v[16:19], v176 offset0:7 offset1:8
	s_wait_dscnt 0x2
	v_dual_add_f32 v20, v36, v20 :: v_dual_add_f32 v21, v37, v21
	v_dual_add_f32 v36, v20, v22 :: v_dual_add_f32 v37, v21, v23
	ds_load_2addr_b64 v[20:23], v176 offset0:9 offset1:10
	s_wait_dscnt 0x2
	v_pk_add_f32 v[32:33], v[36:37], v[32:33]
	s_delay_alu instid0(VALU_DEP_1) | instskip(SKIP_3) | instid1(VALU_DEP_1)
	v_pk_add_f32 v[36:37], v[32:33], v[34:35]
	ds_load_2addr_b64 v[32:35], v176 offset0:11 offset1:12
	s_wait_dscnt 0x2
	v_pk_add_f32 v[16:17], v[36:37], v[16:17]
	v_pk_add_f32 v[16:17], v[16:17], v[18:19]
	s_wait_dscnt 0x1
	s_delay_alu instid0(VALU_DEP_1)
	v_pk_add_f32 v[20:21], v[16:17], v[20:21]
	ds_load_2addr_b64 v[16:19], v176 offset0:13 offset1:14
	v_pk_add_f32 v[20:21], v[20:21], v[22:23]
	ds_load_b64 v[22:23], v177
	s_wait_dscnt 0x2
	v_pk_add_f32 v[20:21], v[20:21], v[32:33]
	s_delay_alu instid0(VALU_DEP_1) | instskip(SKIP_1) | instid1(VALU_DEP_1)
	v_pk_add_f32 v[20:21], v[20:21], v[34:35]
	s_wait_dscnt 0x1
	v_pk_add_f32 v[16:17], v[20:21], v[16:17]
	s_delay_alu instid0(VALU_DEP_1) | instskip(SKIP_2) | instid1(VALU_DEP_2)
	v_pk_add_f32 v[16:17], v[16:17], v[18:19]
	v_add_nc_u32_e32 v18, s66, v172
	s_wait_dscnt 0x0
	v_pk_add_f32 v[16:17], v[16:17], v[22:23]
	global_store_b64 v18, v[16:17], s[18:19] scale_offset
	s_branch .LBB114_69
.LBB114_125:                            ;   in Loop: Header=BB114_4 Depth=1
	ds_store_b64 v186, v[104:105]
	s_wait_dscnt 0x0
	s_barrier_signal -1
	s_barrier_wait -1
	s_and_saveexec_b32 s66, s71
	s_cbranch_execz .LBB114_2
; %bb.126:                              ;   in Loop: Header=BB114_4 Depth=1
	ds_load_2addr_b64 v[0:3], v60 offset1:67
	ds_load_2addr_b64 v[4:7], v60 offset0:134 offset1:201
	s_wait_dscnt 0x1
	v_pk_add_f32 v[0:1], v[2:3], v[0:1]
	v_lshl_add_u64 v[2:3], v[62:63], 3, s[18:19]
	s_wait_dscnt 0x0
	s_delay_alu instid0(VALU_DEP_2) | instskip(NEXT) | instid1(VALU_DEP_1)
	v_pk_add_f32 v[0:1], v[4:5], v[0:1]
	v_pk_add_f32 v[0:1], v[0:1], v[6:7]
	global_store_b64 v[2:3], v[0:1], off
	s_branch .LBB114_2
.LBB114_127:                            ;   in Loop: Header=BB114_4 Depth=1
	ds_load_b64 v[2:3], v182
	s_wait_dscnt 0x0
	ds_store_b64 v174, v[2:3]
	s_or_b32 exec_lo, exec_lo, s18
	s_and_saveexec_b32 s18, s10
	s_cbranch_execz .LBB114_27
.LBB114_128:                            ;   in Loop: Header=BB114_4 Depth=1
	ds_load_b64 v[2:3], v183
	s_wait_dscnt 0x0
	ds_store_b64 v174, v[2:3] offset:8
	s_or_b32 exec_lo, exec_lo, s18
	s_and_saveexec_b32 s18, s5
	s_cbranch_execz .LBB114_28
.LBB114_129:                            ;   in Loop: Header=BB114_4 Depth=1
	ds_load_b64 v[2:3], v183 offset:264
	s_wait_dscnt 0x0
	ds_store_b64 v174, v[2:3] offset:16
	s_or_b32 exec_lo, exec_lo, s18
	s_and_saveexec_b32 s18, s6
	s_cbranch_execnz .LBB114_29
	s_branch .LBB114_30
.LBB114_130:                            ;   in Loop: Header=BB114_4 Depth=1
	ds_load_b64 v[2:3], v182
	s_wait_dscnt 0x0
	ds_store_b64 v174, v[2:3]
	s_or_b32 exec_lo, exec_lo, s18
	s_and_saveexec_b32 s18, s10
	s_cbranch_execz .LBB114_46
.LBB114_131:                            ;   in Loop: Header=BB114_4 Depth=1
	ds_load_b64 v[2:3], v183
	s_wait_dscnt 0x0
	ds_store_b64 v174, v[2:3] offset:8
	s_or_b32 exec_lo, exec_lo, s18
	s_and_saveexec_b32 s18, s5
	s_cbranch_execz .LBB114_47
.LBB114_132:                            ;   in Loop: Header=BB114_4 Depth=1
	ds_load_b64 v[2:3], v183 offset:264
	s_wait_dscnt 0x0
	ds_store_b64 v174, v[2:3] offset:16
	s_or_b32 exec_lo, exec_lo, s18
	s_and_saveexec_b32 s18, s6
	s_cbranch_execnz .LBB114_48
	s_branch .LBB114_49
.LBB114_133:
	s_sendmsg sendmsg(MSG_DEALLOC_VGPRS)
	s_endpgm
	.section	.rodata,"a",@progbits
	.p2align	6, 0x0
	.amdhsa_kernel _ZL26rocblas_hemvn_kernel_upperILb0ELi64ELi4ELi33ELi32ELi16ElPK19rocblas_complex_numIfES3_PS1_EviT6_lT7_lT5_lS6_lS7_lS5_lT8_i
		.amdhsa_group_segment_fixed_size 9600
		.amdhsa_private_segment_fixed_size 0
		.amdhsa_kernarg_size 376
		.amdhsa_user_sgpr_count 2
		.amdhsa_user_sgpr_dispatch_ptr 0
		.amdhsa_user_sgpr_queue_ptr 0
		.amdhsa_user_sgpr_kernarg_segment_ptr 1
		.amdhsa_user_sgpr_dispatch_id 0
		.amdhsa_user_sgpr_kernarg_preload_length 0
		.amdhsa_user_sgpr_kernarg_preload_offset 0
		.amdhsa_user_sgpr_private_segment_size 0
		.amdhsa_wavefront_size32 1
		.amdhsa_uses_dynamic_stack 0
		.amdhsa_enable_private_segment 0
		.amdhsa_system_sgpr_workgroup_id_x 1
		.amdhsa_system_sgpr_workgroup_id_y 0
		.amdhsa_system_sgpr_workgroup_id_z 1
		.amdhsa_system_sgpr_workgroup_info 0
		.amdhsa_system_vgpr_workitem_id 1
		.amdhsa_next_free_vgpr 222
		.amdhsa_next_free_sgpr 78
		.amdhsa_named_barrier_count 0
		.amdhsa_reserve_vcc 1
		.amdhsa_float_round_mode_32 0
		.amdhsa_float_round_mode_16_64 0
		.amdhsa_float_denorm_mode_32 3
		.amdhsa_float_denorm_mode_16_64 3
		.amdhsa_fp16_overflow 0
		.amdhsa_memory_ordered 1
		.amdhsa_forward_progress 1
		.amdhsa_inst_pref_size 67
		.amdhsa_round_robin_scheduling 0
		.amdhsa_exception_fp_ieee_invalid_op 0
		.amdhsa_exception_fp_denorm_src 0
		.amdhsa_exception_fp_ieee_div_zero 0
		.amdhsa_exception_fp_ieee_overflow 0
		.amdhsa_exception_fp_ieee_underflow 0
		.amdhsa_exception_fp_ieee_inexact 0
		.amdhsa_exception_int_div_zero 0
	.end_amdhsa_kernel
	.section	.text._ZL26rocblas_hemvn_kernel_upperILb0ELi64ELi4ELi33ELi32ELi16ElPK19rocblas_complex_numIfES3_PS1_EviT6_lT7_lT5_lS6_lS7_lS5_lT8_i,"axG",@progbits,_ZL26rocblas_hemvn_kernel_upperILb0ELi64ELi4ELi33ELi32ELi16ElPK19rocblas_complex_numIfES3_PS1_EviT6_lT7_lT5_lS6_lS7_lS5_lT8_i,comdat
.Lfunc_end114:
	.size	_ZL26rocblas_hemvn_kernel_upperILb0ELi64ELi4ELi33ELi32ELi16ElPK19rocblas_complex_numIfES3_PS1_EviT6_lT7_lT5_lS6_lS7_lS5_lT8_i, .Lfunc_end114-_ZL26rocblas_hemvn_kernel_upperILb0ELi64ELi4ELi33ELi32ELi16ElPK19rocblas_complex_numIfES3_PS1_EviT6_lT7_lT5_lS6_lS7_lS5_lT8_i
                                        ; -- End function
	.set _ZL26rocblas_hemvn_kernel_upperILb0ELi64ELi4ELi33ELi32ELi16ElPK19rocblas_complex_numIfES3_PS1_EviT6_lT7_lT5_lS6_lS7_lS5_lT8_i.num_vgpr, 222
	.set _ZL26rocblas_hemvn_kernel_upperILb0ELi64ELi4ELi33ELi32ELi16ElPK19rocblas_complex_numIfES3_PS1_EviT6_lT7_lT5_lS6_lS7_lS5_lT8_i.num_agpr, 0
	.set _ZL26rocblas_hemvn_kernel_upperILb0ELi64ELi4ELi33ELi32ELi16ElPK19rocblas_complex_numIfES3_PS1_EviT6_lT7_lT5_lS6_lS7_lS5_lT8_i.numbered_sgpr, 78
	.set _ZL26rocblas_hemvn_kernel_upperILb0ELi64ELi4ELi33ELi32ELi16ElPK19rocblas_complex_numIfES3_PS1_EviT6_lT7_lT5_lS6_lS7_lS5_lT8_i.num_named_barrier, 0
	.set _ZL26rocblas_hemvn_kernel_upperILb0ELi64ELi4ELi33ELi32ELi16ElPK19rocblas_complex_numIfES3_PS1_EviT6_lT7_lT5_lS6_lS7_lS5_lT8_i.private_seg_size, 0
	.set _ZL26rocblas_hemvn_kernel_upperILb0ELi64ELi4ELi33ELi32ELi16ElPK19rocblas_complex_numIfES3_PS1_EviT6_lT7_lT5_lS6_lS7_lS5_lT8_i.uses_vcc, 1
	.set _ZL26rocblas_hemvn_kernel_upperILb0ELi64ELi4ELi33ELi32ELi16ElPK19rocblas_complex_numIfES3_PS1_EviT6_lT7_lT5_lS6_lS7_lS5_lT8_i.uses_flat_scratch, 0
	.set _ZL26rocblas_hemvn_kernel_upperILb0ELi64ELi4ELi33ELi32ELi16ElPK19rocblas_complex_numIfES3_PS1_EviT6_lT7_lT5_lS6_lS7_lS5_lT8_i.has_dyn_sized_stack, 0
	.set _ZL26rocblas_hemvn_kernel_upperILb0ELi64ELi4ELi33ELi32ELi16ElPK19rocblas_complex_numIfES3_PS1_EviT6_lT7_lT5_lS6_lS7_lS5_lT8_i.has_recursion, 0
	.set _ZL26rocblas_hemvn_kernel_upperILb0ELi64ELi4ELi33ELi32ELi16ElPK19rocblas_complex_numIfES3_PS1_EviT6_lT7_lT5_lS6_lS7_lS5_lT8_i.has_indirect_call, 0
	.section	.AMDGPU.csdata,"",@progbits
; Kernel info:
; codeLenInByte = 8476
; TotalNumSgprs: 80
; NumVgprs: 222
; ScratchSize: 0
; MemoryBound: 1
; FloatMode: 240
; IeeeMode: 1
; LDSByteSize: 9600 bytes/workgroup (compile time only)
; SGPRBlocks: 0
; VGPRBlocks: 13
; NumSGPRsForWavesPerEU: 80
; NumVGPRsForWavesPerEU: 222
; NamedBarCnt: 0
; Occupancy: 4
; WaveLimiterHint : 0
; COMPUTE_PGM_RSRC2:SCRATCH_EN: 0
; COMPUTE_PGM_RSRC2:USER_SGPR: 2
; COMPUTE_PGM_RSRC2:TRAP_HANDLER: 0
; COMPUTE_PGM_RSRC2:TGID_X_EN: 1
; COMPUTE_PGM_RSRC2:TGID_Y_EN: 0
; COMPUTE_PGM_RSRC2:TGID_Z_EN: 1
; COMPUTE_PGM_RSRC2:TIDIG_COMP_CNT: 1
	.section	.text._ZL26rocblas_hemvn_kernel_upperILb0ELi64ELi4ELi33ELi32ELi16EiPK19rocblas_complex_numIfES3_PS1_EviT6_lT7_lT5_lS6_lS7_lS5_lT8_i,"axG",@progbits,_ZL26rocblas_hemvn_kernel_upperILb0ELi64ELi4ELi33ELi32ELi16EiPK19rocblas_complex_numIfES3_PS1_EviT6_lT7_lT5_lS6_lS7_lS5_lT8_i,comdat
	.globl	_ZL26rocblas_hemvn_kernel_upperILb0ELi64ELi4ELi33ELi32ELi16EiPK19rocblas_complex_numIfES3_PS1_EviT6_lT7_lT5_lS6_lS7_lS5_lT8_i ; -- Begin function _ZL26rocblas_hemvn_kernel_upperILb0ELi64ELi4ELi33ELi32ELi16EiPK19rocblas_complex_numIfES3_PS1_EviT6_lT7_lT5_lS6_lS7_lS5_lT8_i
	.p2align	8
	.type	_ZL26rocblas_hemvn_kernel_upperILb0ELi64ELi4ELi33ELi32ELi16EiPK19rocblas_complex_numIfES3_PS1_EviT6_lT7_lT5_lS6_lS7_lS5_lT8_i,@function
_ZL26rocblas_hemvn_kernel_upperILb0ELi64ELi4ELi33ELi32ELi16EiPK19rocblas_complex_numIfES3_PS1_EviT6_lT7_lT5_lS6_lS7_lS5_lT8_i: ; @_ZL26rocblas_hemvn_kernel_upperILb0ELi64ELi4ELi33ELi32ELi16EiPK19rocblas_complex_numIfES3_PS1_EviT6_lT7_lT5_lS6_lS7_lS5_lT8_i
; %bb.0:
	s_clause 0x1
	s_load_b64 s[2:3], s[0:1], 0x84
	s_load_b32 s33, s[0:1], 0x70
	s_bfe_u32 s4, ttmp6, 0x40014
	s_lshr_b32 s5, ttmp7, 16
	s_add_co_i32 s4, s4, 1
	s_bfe_u32 s6, ttmp6, 0x40008
	s_mul_i32 s7, s5, s4
	s_getreg_b32 s4, hwreg(HW_REG_IB_STS2, 6, 4)
	s_add_co_i32 s6, s6, s7
	s_mov_b32 s35, 0
	s_wait_kmcnt 0x0
	s_lshr_b32 s7, s2, 16
	s_and_b32 s2, s2, 0xffff
	s_and_b32 s3, s3, 0xffff
	s_mul_i32 s2, s7, s2
	s_cmp_eq_u32 s4, 0
	s_mul_i32 s2, s2, s3
	s_cselect_b32 s34, s5, s6
	s_cmp_lg_u32 s2, 0x100
	s_cselect_b32 s2, -1, 0
	s_cmp_ge_u32 s34, s33
	s_cselect_b32 s3, -1, 0
	s_delay_alu instid0(SALU_CYCLE_1) | instskip(NEXT) | instid1(SALU_CYCLE_1)
	s_or_b32 s2, s2, s3
	s_and_b32 vcc_lo, exec_lo, s2
	s_cbranch_vccnz .LBB115_133
; %bb.1:
	s_clause 0x3
	s_load_b32 s2, s[0:1], 0x0
	s_load_b32 s62, s[0:1], 0x28
	s_load_b96 s[16:18], s[0:1], 0x40
	s_load_b256 s[20:27], s[0:1], 0x8
	s_add_nc_u64 s[6:7], s[0:1], 0x78
	s_clause 0x1
	s_load_b128 s[28:31], s[0:1], 0x30
	s_load_b256 s[36:43], s[0:1], 0x50
	s_wait_xcnt 0x0
	s_bfe_u32 s0, ttmp6, 0x4000c
	v_and_b32_e32 v188, 0x3ff, v0
	s_add_co_i32 s0, s0, 1
	v_bfe_u32 v1, v0, 10, 10
	s_and_b32 s1, ttmp6, 15
	s_mul_i32 s0, ttmp9, s0
	s_load_b32 s44, s[6:7], 0x0
	s_add_co_i32 s1, s1, s0
	v_lshl_add_u32 v6, v1, 6, v188
	v_dual_lshlrev_b32 v196, 2, v1 :: v_dual_bitop2_b32 v56, 31, v0 bitop3:0x40
	s_mov_b32 s45, s35
	v_lshl_add_u32 v198, v1, 5, 0x2180
	s_delay_alu instid0(VALU_DEP_3) | instskip(NEXT) | instid1(VALU_DEP_3)
	v_dual_lshrrev_b32 v7, 5, v6 :: v_dual_mov_b32 v63, 0
	v_lshlrev_b32_e32 v190, 3, v56
	s_wait_kmcnt 0x0
	s_ashr_i32 s3, s2, 31
	s_ashr_i32 s63, s62, 31
	s_cmp_eq_u32 s4, 0
	v_mad_u32 v2, s62, v7, v56
	s_cselect_b32 s46, ttmp9, s1
	s_lshr_b32 s0, s3, 26
	s_lshl_b32 s54, s46, 6
	s_delay_alu instid0(SALU_CYCLE_1)
	v_dual_lshlrev_b32 v189, 3, v188 :: v_dual_add_nc_u32 v58, s54, v188
	s_add_co_i32 s0, s2, s0
	s_add_co_i32 s1, s44, -1
	s_and_not1_b32 s0, s0, 63
	s_lshl_b64 s[4:5], s[16:17], 3
	v_mul_lo_u32 v4, s18, v58
	s_lshl_b64 s[6:7], s[26:27], 3
	s_sub_co_i32 s68, s2, s0
	s_cmp_eq_u32 s46, s1
	s_add_nc_u64 s[4:5], s[30:31], s[4:5]
	s_cselect_b32 s26, s68, 0
	s_add_nc_u64 s[6:7], s[24:25], s[6:7]
	s_cmp_lg_u32 s26, 0
	v_mov_b32_e32 v57, v63
	s_cselect_b32 s69, -1, 0
	s_delay_alu instid0(VALU_DEP_2) | instskip(SKIP_3) | instid1(VALU_DEP_1)
	v_dual_ashrrev_i32 v3, 31, v2 :: v_dual_ashrrev_i32 v5, 31, v4
	s_cmp_eq_u32 s26, 0
	s_mul_u64 s[24:25], s[44:45], s[2:3]
	s_cselect_b32 s1, -1, 0
	v_lshlrev_b64_e32 v[2:3], 3, v[2:3]
	s_ashr_i32 s55, s54, 31
	v_lshl_add_u64 v[60:61], v[4:5], 3, s[4:5]
	s_lshl_b64 s[4:5], s[54:55], 3
	s_ashr_i32 s47, s46, 31
	s_add_nc_u64 s[4:5], s[6:7], s[4:5]
	s_mul_u64 s[6:7], s[2:3], s[46:47]
	v_add_nc_u64_e32 v[4:5], s[4:5], v[2:3]
	s_mul_i32 s4, s62, s54
	s_lshl_b64 s[2:3], s[6:7], 3
	s_ashr_i32 s5, s4, 31
	s_sub_co_i32 s15, s26, 32
	s_add_nc_u64 s[30:31], s[42:43], s[2:3]
	v_cmp_gt_i32_e64 s12, s15, v7
	v_lshl_add_u64 v[64:65], s[4:5], 3, v[4:5]
	v_dual_add_nc_u32 v4, 8, v7 :: v_dual_add_nc_u32 v5, 16, v7
	v_add_nc_u32_e32 v8, 24, v7
	v_lshl_or_b32 v192, v56, 8, v190
	v_and_b32_e32 v10, 0x7fe0, v6
	s_delay_alu instid0(VALU_DEP_4)
	v_cmp_gt_i32_e64 s3, s26, v4
	v_cmp_gt_i32_e64 s13, s15, v4
	;; [unrolled: 1-line block ×5, first 2 shown]
	v_and_b32_e32 v8, 15, v0
	v_mad_u32 v4, s62, v196, v188
	v_dual_lshlrev_b32 v9, 2, v7 :: v_dual_add_nc_u32 v193, v192, v10
	v_cmp_gt_i32_e32 vcc_lo, s26, v188
	v_cmp_gt_i32_e64 s4, s26, v5
	v_cmp_gt_i32_e64 s2, s26, v7
	s_delay_alu instid0(VALU_DEP_4)
	v_cmp_gt_u32_e64 s6, v9, v56
	v_dual_lshlrev_b32 v15, 3, v7 :: v_dual_bitop2_b32 v11, 1, v9 bitop3:0x54
	v_cmp_ge_u32_e64 s7, v9, v56
	v_or_b32_e32 v13, 2, v9
	v_dual_ashrrev_i32 v5, 31, v4 :: v_dual_bitop2_b32 v9, 3, v9 bitop3:0x54
	v_mul_u32_u24_e32 v191, 0x108, v7
	v_mul_u32_u24_e32 v12, 0x420, v7
	s_lshl_b32 s52, s62, 5
	s_delay_alu instid0(VALU_DEP_3)
	v_cmp_gt_u32_e64 s9, v9, v56
	v_dual_ashrrev_i32 v59, 31, v58 :: v_dual_bitop2_b32 v9, 32, v56 bitop3:0x54
	v_cmp_eq_u32_e64 s16, 1, v7
	v_mul_i32_i24_e32 v197, 0xffffffe8, v7
	v_dual_lshrrev_b32 v7, 4, v6 :: v_dual_bitop2_b32 v0, 48, v0 bitop3:0x40
	s_ashr_i32 s53, s52, 31
	s_or_b32 s19, s1, vcc_lo
	s_lshl_b32 s42, s62, 3
	s_lshl_b32 s48, s62, 4
	s_mul_i32 s50, s62, 24
	s_mul_i32 s54, s18, s54
	v_sub_nc_u64_e32 v[66:67], 0, v[2:3]
	v_add_nc_u64_e32 v[2:3], s[52:53], v[4:5]
	v_cmp_gt_i32_e64 s11, s26, v9
	s_add_co_i32 s64, s46, 1
	v_dual_lshlrev_b32 v9, 5, v7 :: v_dual_lshlrev_b32 v0, 3, v0
	v_add_nc_u32_e32 v204, v192, v15
	s_xor_b32 s70, s19, -1
	s_ashr_i32 s27, s26, 31
	s_ashr_i32 s43, s42, 31
	;; [unrolled: 1-line block ×5, first 2 shown]
	s_cmp_lt_u32 s64, s44
	v_cmp_eq_u32_e64 s0, 0, v1
	s_cselect_b32 s45, -1, 0
	s_lshl_b32 s58, s62, 1
	v_mad_u32_u24 v199, 0x860, v1, v189
	v_mad_u32_u24 v201, 0x218, v8, v0
	;; [unrolled: 1-line block ×3, first 2 shown]
	v_lshlrev_b64_e32 v[0:1], 3, v[4:5]
	s_mul_i32 s60, s62, 3
	s_ashr_i32 s59, s58, 31
	v_lshlrev_b64_e32 v[2:3], 3, v[2:3]
	s_ashr_i32 s61, s60, 31
	s_mul_i32 s73, s18, s64
	s_lshl_b64 s[64:65], s[52:53], 3
	s_lshl_b64 s[78:79], s[58:59], 3
	s_lshl_b32 s71, s18, 6
	s_and_b32 s72, s0, s19
	s_lshl_b64 s[18:19], s[62:63], 3
	s_lshl_b64 s[66:67], s[62:63], 4
	s_add_nc_u64 s[58:59], s[64:65], s[78:79]
	s_lshl_b64 s[80:81], s[60:61], 3
	s_add_nc_u64 s[74:75], s[66:67], s[64:65]
	s_add_nc_u64 s[76:77], s[18:19], s[64:65]
	v_add_nc_u64_e32 v[74:75], s[58:59], v[0:1]
	s_add_nc_u64 s[58:59], s[64:65], s[80:81]
	s_lshl_b64 s[60:61], s[48:49], 3
	v_mad_nc_i64_i32 v[98:99], s48, 24, v[2:3]
	v_add_nc_u64_e32 v[72:73], s[76:77], v[0:1]
	v_add_nc_u64_e32 v[76:77], s[58:59], v[0:1]
	s_add_nc_u64 s[58:59], s[64:65], s[60:61]
	s_add_nc_u64 s[76:77], s[76:77], s[60:61]
	;; [unrolled: 1-line block ×3, first 2 shown]
	v_add_nc_u64_e32 v[68:69], s[64:65], v[0:1]
	v_add_nc_u64_e32 v[84:85], s[60:61], v[0:1]
	s_lshl_b64 s[60:61], s[48:49], 4
	v_add_nc_u64_e32 v[78:79], s[58:59], v[0:1]
	v_add_nc_u64_e32 v[80:81], s[76:77], v[0:1]
	s_add_nc_u64 s[76:77], s[58:59], s[78:79]
	s_add_nc_u64 s[58:59], s[58:59], s[80:81]
	;; [unrolled: 1-line block ×3, first 2 shown]
	v_add_nc_u64_e32 v[70:71], s[74:75], v[0:1]
	v_add_nc_u64_e32 v[86:87], s[58:59], v[0:1]
	s_add_nc_u64 s[58:59], s[64:65], s[18:19]
	s_add_nc_u64 s[60:61], s[74:75], s[60:61]
	s_mul_u64 s[74:75], s[48:49], 24
	v_mul_u32_u24_e32 v11, 0x108, v11
	v_mul_u32_u24_e32 v14, 33, v56
	v_add_nc_u32_e32 v194, 0x2380, v10
	v_or_b32_e32 v10, 0x78, v189
	v_mad_u32_u24 v200, 0x218, v8, v9
	v_mul_i32_i24_e32 v7, 0xffffffe8, v7
	v_add_nc_u64_e32 v[82:83], s[76:77], v[0:1]
	v_add_nc_u64_e32 v[88:89], s[64:65], v[0:1]
	s_add_nc_u64 s[76:77], s[64:65], s[78:79]
	s_add_nc_u64 s[64:65], s[64:65], s[80:81]
	v_add_nc_u64_e32 v[90:91], s[58:59], v[0:1]
	s_add_nc_u64 s[58:59], s[74:75], s[66:67]
	v_add_nc_u64_e32 v[92:93], s[76:77], v[0:1]
	v_add_nc_u64_e32 v[94:95], s[60:61], v[0:1]
	;; [unrolled: 1-line block ×4, first 2 shown]
	v_sub_nc_u64_e32 v[102:103], 0, v[56:57]
	v_add_nc_u64_e32 v[104:105], s[18:19], v[98:99]
	v_add_nc_u64_e32 v[106:107], s[78:79], v[98:99]
	;; [unrolled: 1-line block ×3, first 2 shown]
	v_mov_b64_e32 v[110:111], 0
	v_cmp_gt_i32_e64 s1, s26, v56
	v_cmp_gt_u32_e64 s8, v13, v56
	v_lshl_add_u32 v195, v14, 3, v15
	v_cmp_gt_u32_e64 s10, 32, v6
	v_cmp_gt_u32_e64 s17, 64, v6
	v_mad_u32_u24 v202, 0x218, v8, v10
	v_add_nc_u32_e32 v205, 0x2380, v15
	v_dual_add_nc_u32 v206, v200, v7 :: v_dual_add_nc_u32 v207, v190, v12
	v_dual_add_nc_u32 v208, v190, v11 :: v_dual_bitop2_b32 v211, 1, v196 bitop3:0x54
	v_add_nc_u32_e32 v209, 0x2380, v189
	v_add_nc_u32_e32 v210, 0x2180, v189
	v_dual_add_nc_u32 v214, 16, v196 :: v_dual_bitop2_b32 v212, 2, v196 bitop3:0x54
	v_dual_add_nc_u32 v215, 17, v196 :: v_dual_bitop2_b32 v213, 3, v196 bitop3:0x54
	v_dual_add_nc_u32 v216, 18, v196 :: v_dual_add_nc_u32 v217, 19, v196
	v_dual_add_nc_u32 v218, 32, v196 :: v_dual_add_nc_u32 v219, 33, v196
	;; [unrolled: 1-line block ×5, first 2 shown]
	v_add_nc_u32_e32 v225, 64, v58
	s_sub_nc_u64 s[54:55], 0, s[54:55]
	s_add_co_i32 s47, s44, -2
	s_sub_nc_u64 s[56:57], 0, s[26:27]
	s_mov_b64 s[58:59], 0xffffffffffffff00
	s_mov_b64 s[60:61], 0xfffffffffffffef8
	s_lshl_b64 s[62:63], s[62:63], 6
	s_lshl_b32 s73, s73, 6
	s_lshl_b64 s[64:65], s[48:49], 5
	s_branch .LBB115_4
.LBB115_2:                              ;   in Loop: Header=BB115_4 Depth=1
	s_wait_xcnt 0x0
	s_or_b32 exec_lo, exec_lo, s66
.LBB115_3:                              ;   in Loop: Header=BB115_4 Depth=1
	s_add_co_i32 s34, s34, 0x10000
	s_delay_alu instid0(SALU_CYCLE_1)
	s_cmp_lt_u32 s34, s33
	s_cbranch_scc0 .LBB115_133
.LBB115_4:                              ; =>This Loop Header: Depth=1
                                        ;     Child Loop BB115_70 Depth 2
	s_mul_u64 s[18:19], s[22:23], s[34:35]
	s_delay_alu instid0(SALU_CYCLE_1) | instskip(NEXT) | instid1(SALU_CYCLE_1)
	s_lshl_b64 s[18:19], s[18:19], 3
	s_add_nc_u64 s[18:19], s[20:21], s[18:19]
	global_load_b64 v[0:1], v63, s[18:19]
	s_wait_xcnt 0x0
	s_mov_b32 s19, -1
	s_wait_loadcnt 0x0
	v_or_b32_e32 v0, v0, v1
	s_delay_alu instid0(VALU_DEP_1) | instskip(NEXT) | instid1(VALU_DEP_1)
	v_and_b32_e32 v0, 0x7fffffff, v0
	v_cmp_ne_u32_e64 s18, 0, v0
	s_and_b32 vcc_lo, exec_lo, s18
	s_cbranch_vccnz .LBB115_6
; %bb.5:                                ;   in Loop: Header=BB115_4 Depth=1
	s_mul_u64 s[66:67], s[40:41], s[34:35]
	s_delay_alu instid0(SALU_CYCLE_1) | instskip(NEXT) | instid1(SALU_CYCLE_1)
	s_lshl_b64 s[66:67], s[66:67], 3
	s_add_nc_u64 s[66:67], s[38:39], s[66:67]
	global_load_b64 v[0:1], v63, s[66:67]
	s_wait_loadcnt 0x0
	v_cmp_neq_f32_e32 vcc_lo, 1.0, v0
	v_cmp_neq_f32_e64 s19, 0, v1
	s_or_b32 s19, vcc_lo, s19
.LBB115_6:                              ;   in Loop: Header=BB115_4 Depth=1
	s_delay_alu instid0(SALU_CYCLE_1)
	s_and_not1_b32 vcc_lo, exec_lo, s19
	s_cbranch_vccnz .LBB115_3
; %bb.7:                                ;   in Loop: Header=BB115_4 Depth=1
	s_and_not1_b32 vcc_lo, exec_lo, s18
	s_cbranch_vccnz .LBB115_3
; %bb.8:                                ;   in Loop: Header=BB115_4 Depth=1
	s_mul_u64 s[18:19], s[36:37], s[34:35]
	s_delay_alu instid0(SALU_CYCLE_1)
	v_lshl_add_u64 v[12:13], s[18:19], 3, v[60:61]
	s_wait_xcnt 0x0
	s_and_saveexec_b32 s18, s0
	s_cbranch_execz .LBB115_13
; %bb.9:                                ;   in Loop: Header=BB115_4 Depth=1
	s_and_saveexec_b32 s19, s70
	s_delay_alu instid0(SALU_CYCLE_1)
	s_xor_b32 s19, exec_lo, s19
; %bb.10:                               ;   in Loop: Header=BB115_4 Depth=1
	ds_store_b64 v209, v[110:111]
; %bb.11:                               ;   in Loop: Header=BB115_4 Depth=1
	s_and_not1_saveexec_b32 s19, s19
	s_cbranch_execz .LBB115_13
; %bb.12:                               ;   in Loop: Header=BB115_4 Depth=1
	global_load_b64 v[0:1], v[12:13], off
	s_wait_loadcnt 0x0
	ds_store_b64 v209, v[0:1]
.LBB115_13:                             ;   in Loop: Header=BB115_4 Depth=1
	s_wait_xcnt 0x0
	s_or_b32 exec_lo, exec_lo, s18
	s_mul_u64 s[18:19], s[28:29], s[34:35]
	s_and_b32 vcc_lo, exec_lo, s69
	v_lshl_add_u64 v[2:3], s[18:19], 3, v[64:65]
	s_mov_b32 s18, -1
                                        ; implicit-def: $vgpr0_vgpr1
	s_cbranch_vccz .LBB115_23
; %bb.14:                               ;   in Loop: Header=BB115_4 Depth=1
	s_delay_alu instid0(VALU_DEP_1) | instskip(SKIP_2) | instid1(VALU_DEP_3)
	v_lshl_add_u64 v[0:1], v[102:103], 3, v[2:3]
	v_dual_mov_b32 v6, 0 :: v_dual_mov_b32 v4, 0
	v_mov_b32_e32 v5, 0
	v_lshl_add_u64 v[0:1], s[26:27], 3, v[0:1]
	s_delay_alu instid0(VALU_DEP_1) | instskip(NEXT) | instid1(VALU_DEP_1)
	v_add_nc_u64_e32 v[0:1], -8, v[0:1]
	v_dual_cndmask_b32 v1, v1, v3, s1 :: v_dual_cndmask_b32 v0, v0, v2, s1
	s_and_saveexec_b32 s18, s2
	s_cbranch_execz .LBB115_16
; %bb.15:                               ;   in Loop: Header=BB115_4 Depth=1
	global_load_b64 v[4:5], v[0:1], off
.LBB115_16:                             ;   in Loop: Header=BB115_4 Depth=1
	s_wait_xcnt 0x0
	s_or_b32 exec_lo, exec_lo, s18
	v_dual_mov_b32 v7, 0 :: v_dual_add_nc_u32 v10, v190, v191
	s_wait_loadcnt 0x0
	ds_store_b64 v10, v[4:5]
	s_and_saveexec_b32 s18, s3
	s_cbranch_execz .LBB115_18
; %bb.17:                               ;   in Loop: Header=BB115_4 Depth=1
	v_lshl_add_u64 v[4:5], s[42:43], 3, v[0:1]
	global_load_b64 v[6:7], v[4:5], off
.LBB115_18:                             ;   in Loop: Header=BB115_4 Depth=1
	s_wait_xcnt 0x0
	s_or_b32 exec_lo, exec_lo, s18
	v_dual_mov_b32 v4, 0 :: v_dual_mov_b32 v8, 0
	v_mov_b32_e32 v9, 0
	s_wait_loadcnt 0x0
	ds_store_b64 v10, v[6:7] offset:2112
	s_and_saveexec_b32 s18, s4
	s_cbranch_execz .LBB115_20
; %bb.19:                               ;   in Loop: Header=BB115_4 Depth=1
	v_lshl_add_u64 v[6:7], s[48:49], 3, v[0:1]
	global_load_b64 v[8:9], v[6:7], off
.LBB115_20:                             ;   in Loop: Header=BB115_4 Depth=1
	s_wait_xcnt 0x0
	s_or_b32 exec_lo, exec_lo, s18
	v_mov_b32_e32 v5, 0
	s_wait_loadcnt 0x0
	ds_store_b64 v10, v[8:9] offset:4224
	s_and_saveexec_b32 s18, s5
	s_cbranch_execz .LBB115_22
; %bb.21:                               ;   in Loop: Header=BB115_4 Depth=1
	v_lshl_add_u64 v[4:5], s[50:51], 3, v[0:1]
	global_load_b64 v[4:5], v[4:5], off
.LBB115_22:                             ;   in Loop: Header=BB115_4 Depth=1
	s_wait_xcnt 0x0
	s_or_b32 exec_lo, exec_lo, s18
	v_lshlrev_b32_e32 v62, 3, v56
	s_mov_b32 s18, 0
	s_wait_loadcnt 0x0
	ds_store_b64 v10, v[4:5] offset:6336
	v_add_nc_u64_e32 v[0:1], v[0:1], v[62:63]
	s_delay_alu instid0(VALU_DEP_1) | instskip(NEXT) | instid1(VALU_DEP_1)
	v_lshl_add_u64 v[0:1], s[56:57], 3, v[0:1]
	v_add_nc_u64_e32 v[0:1], 8, v[0:1]
	s_delay_alu instid0(VALU_DEP_1)
	v_dual_cndmask_b32 v1, v1, v3, s1 :: v_dual_cndmask_b32 v0, v0, v2, s1
.LBB115_23:                             ;   in Loop: Header=BB115_4 Depth=1
	v_add_nc_u32_e32 v16, v190, v191
	s_and_b32 vcc_lo, exec_lo, s18
	s_cbranch_vccz .LBB115_25
; %bb.24:                               ;   in Loop: Header=BB115_4 Depth=1
	v_lshl_add_u64 v[0:1], s[42:43], 3, v[2:3]
	s_delay_alu instid0(VALU_DEP_1) | instskip(NEXT) | instid1(VALU_DEP_1)
	v_add_nc_u64_e32 v[4:5], s[62:63], v[0:1]
	v_add_nc_u64_e32 v[6:7], s[62:63], v[4:5]
	s_clause 0x3
	global_load_b64 v[8:9], v[2:3], off
	global_load_b64 v[10:11], v[0:1], off
	;; [unrolled: 1-line block ×4, first 2 shown]
	s_wait_xcnt 0x2
	v_mov_b64_e32 v[0:1], v[2:3]
	s_wait_loadcnt 0x3
	ds_store_b64 v16, v[8:9]
	s_wait_loadcnt 0x2
	ds_store_b64 v16, v[10:11] offset:2112
	s_wait_loadcnt 0x1
	ds_store_b64 v16, v[4:5] offset:4224
	s_wait_loadcnt 0x0
	ds_store_b64 v16, v[6:7] offset:6336
.LBB115_25:                             ;   in Loop: Header=BB115_4 Depth=1
	s_wait_dscnt 0x0
	s_barrier_signal -1
	s_barrier_wait -1
	s_wait_xcnt 0x0
	s_and_saveexec_b32 s18, s6
	s_cbranch_execnz .LBB115_127
; %bb.26:                               ;   in Loop: Header=BB115_4 Depth=1
	s_or_b32 exec_lo, exec_lo, s18
	s_and_saveexec_b32 s18, s7
	s_cbranch_execnz .LBB115_128
.LBB115_27:                             ;   in Loop: Header=BB115_4 Depth=1
	s_or_b32 exec_lo, exec_lo, s18
	s_and_saveexec_b32 s18, s8
	s_cbranch_execnz .LBB115_129
.LBB115_28:                             ;   in Loop: Header=BB115_4 Depth=1
	s_or_b32 exec_lo, exec_lo, s18
	s_and_saveexec_b32 s18, s9
	s_cbranch_execz .LBB115_30
.LBB115_29:                             ;   in Loop: Header=BB115_4 Depth=1
	ds_load_b64 v[2:3], v208 offset:528
	s_wait_dscnt 0x0
	ds_store_b64 v193, v[2:3] offset:24
.LBB115_30:                             ;   in Loop: Header=BB115_4 Depth=1
	s_or_b32 exec_lo, exec_lo, s18
	s_wait_dscnt 0x0
	s_barrier_signal -1
	s_barrier_wait -1
	ds_load_b64 v[10:11], v207
	ds_load_b128 v[2:5], v194
	ds_load_2addr_b64 v[6:9], v208 offset1:33
	ds_load_b128 v[18:21], v194 offset:16
	ds_load_b64 v[14:15], v208 offset:528
	v_mov_b64_e32 v[112:113], 0
	s_wait_dscnt 0x0
	s_barrier_signal -1
	s_barrier_wait -1
	v_pk_mul_f32 v[22:23], v[2:3], v[10:11] op_sel:[1,1] op_sel_hi:[0,1]
	v_dual_mov_b32 v24, v5 :: v_dual_mov_b32 v25, v4
	v_pk_mul_f32 v[26:27], v[18:19], v[8:9] op_sel:[1,1] op_sel_hi:[0,1]
	v_dual_mov_b32 v30, v21 :: v_dual_mov_b32 v31, v20
	s_delay_alu instid0(VALU_DEP_4) | instskip(NEXT) | instid1(VALU_DEP_4)
	v_pk_fma_f32 v[28:29], v[2:3], v[10:11], v[22:23] op_sel_hi:[1,0,1]
	v_pk_mul_f32 v[24:25], v[24:25], v[6:7] op_sel:[0,1]
	v_pk_fma_f32 v[2:3], v[2:3], v[10:11], v[22:23] neg_lo:[0,0,1] neg_hi:[0,0,1]
	v_pk_fma_f32 v[22:23], v[18:19], v[8:9], v[26:27] op_sel_hi:[1,0,1]
	s_delay_alu instid0(VALU_DEP_3)
	v_pk_fma_f32 v[10:11], v[4:5], v[6:7], v[24:25] op_sel_hi:[1,0,1]
	v_mov_b32_e32 v3, v29
	v_pk_fma_f32 v[4:5], v[4:5], v[6:7], v[24:25] neg_lo:[0,0,1] neg_hi:[0,0,1]
	v_pk_mul_f32 v[28:29], v[30:31], v[14:15] op_sel:[0,1]
	v_pk_fma_f32 v[6:7], v[18:19], v[8:9], v[26:27] neg_lo:[0,0,1] neg_hi:[0,0,1]
	v_mov_b32_e32 v5, v11
	v_pk_add_f32 v[2:3], v[2:3], 0 op_sel_hi:[1,0]
	s_delay_alu instid0(VALU_DEP_4) | instskip(SKIP_1) | instid1(VALU_DEP_3)
	v_pk_fma_f32 v[8:9], v[20:21], v[14:15], v[28:29] op_sel_hi:[1,0,1]
	v_mov_b32_e32 v7, v23
	v_pk_add_f32 v[2:3], v[2:3], v[4:5]
	v_pk_fma_f32 v[4:5], v[20:21], v[14:15], v[28:29] neg_lo:[0,0,1] neg_hi:[0,0,1]
	s_delay_alu instid0(VALU_DEP_4) | instskip(NEXT) | instid1(VALU_DEP_3)
	v_mov_b32_e32 v5, v9
	v_pk_add_f32 v[2:3], v[2:3], v[6:7]
	s_delay_alu instid0(VALU_DEP_1)
	v_pk_add_f32 v[2:3], v[2:3], v[4:5]
	ds_store_b64 v195, v[2:3]
	s_wait_dscnt 0x0
	s_barrier_signal -1
	s_barrier_wait -1
	s_and_saveexec_b32 s18, s10
	s_cbranch_execz .LBB115_32
; %bb.31:                               ;   in Loop: Header=BB115_4 Depth=1
	ds_load_2addr_b64 v[2:5], v192 offset1:7
	ds_load_2addr_b64 v[6:9], v192 offset0:1 offset1:2
	ds_load_2addr_b64 v[18:21], v192 offset0:3 offset1:4
	;; [unrolled: 1-line block ×3, first 2 shown]
	s_wait_dscnt 0x2
	v_dual_add_f32 v2, v6, v2 :: v_dual_add_f32 v3, v7, v3
	s_delay_alu instid0(VALU_DEP_1) | instskip(SKIP_1) | instid1(VALU_DEP_1)
	v_dual_add_f32 v2, v8, v2 :: v_dual_add_f32 v3, v9, v3
	s_wait_dscnt 0x1
	v_dual_add_f32 v2, v2, v18 :: v_dual_add_f32 v3, v3, v19
	s_delay_alu instid0(VALU_DEP_1) | instskip(SKIP_1) | instid1(VALU_DEP_1)
	v_dual_add_f32 v2, v2, v20 :: v_dual_add_f32 v3, v3, v21
	s_wait_dscnt 0x0
	v_dual_add_f32 v2, v2, v22 :: v_dual_add_f32 v3, v3, v23
	s_delay_alu instid0(VALU_DEP_1) | instskip(NEXT) | instid1(VALU_DEP_1)
	v_dual_add_f32 v2, v2, v24 :: v_dual_add_f32 v3, v3, v25
	v_pk_add_f32 v[112:113], v[2:3], v[4:5]
.LBB115_32:                             ;   in Loop: Header=BB115_4 Depth=1
	s_or_b32 exec_lo, exec_lo, s18
	v_lshl_add_u64 v[4:5], s[52:53], 3, v[0:1]
	s_and_b32 vcc_lo, exec_lo, s69
	s_mov_b32 s18, -1
	s_barrier_signal -1
	s_delay_alu instid0(VALU_DEP_1)
	v_add_nc_u64_e32 v[2:3], 0x100, v[4:5]
	s_barrier_wait -1
                                        ; implicit-def: $vgpr0_vgpr1
	s_cbranch_vccz .LBB115_42
; %bb.33:                               ;   in Loop: Header=BB115_4 Depth=1
	v_lshl_add_u64 v[0:1], v[102:103], 3, v[4:5]
	v_dual_mov_b32 v8, 0 :: v_dual_mov_b32 v6, 0
	v_mov_b32_e32 v7, 0
	s_delay_alu instid0(VALU_DEP_3) | instskip(NEXT) | instid1(VALU_DEP_1)
	v_lshl_add_u64 v[0:1], s[26:27], 3, v[0:1]
	v_add_nc_u64_e32 v[0:1], -8, v[0:1]
	s_delay_alu instid0(VALU_DEP_1)
	v_dual_cndmask_b32 v1, v1, v3, s11 :: v_dual_cndmask_b32 v0, v0, v2, s11
	s_and_saveexec_b32 s18, s12
	s_cbranch_execz .LBB115_35
; %bb.34:                               ;   in Loop: Header=BB115_4 Depth=1
	global_load_b64 v[6:7], v[0:1], off
.LBB115_35:                             ;   in Loop: Header=BB115_4 Depth=1
	s_wait_xcnt 0x0
	s_or_b32 exec_lo, exec_lo, s18
	v_mov_b32_e32 v9, 0
	s_wait_loadcnt 0x0
	ds_store_b64 v16, v[6:7]
	s_and_saveexec_b32 s18, s13
	s_cbranch_execz .LBB115_37
; %bb.36:                               ;   in Loop: Header=BB115_4 Depth=1
	v_lshl_add_u64 v[6:7], s[42:43], 3, v[0:1]
	global_load_b64 v[8:9], v[6:7], off
.LBB115_37:                             ;   in Loop: Header=BB115_4 Depth=1
	s_wait_xcnt 0x0
	s_or_b32 exec_lo, exec_lo, s18
	v_dual_mov_b32 v6, 0 :: v_dual_mov_b32 v10, 0
	v_mov_b32_e32 v11, 0
	s_wait_loadcnt 0x0
	ds_store_b64 v16, v[8:9] offset:2112
	s_and_saveexec_b32 s18, s14
	s_cbranch_execz .LBB115_39
; %bb.38:                               ;   in Loop: Header=BB115_4 Depth=1
	v_lshl_add_u64 v[8:9], s[48:49], 3, v[0:1]
	global_load_b64 v[10:11], v[8:9], off
.LBB115_39:                             ;   in Loop: Header=BB115_4 Depth=1
	s_wait_xcnt 0x0
	s_or_b32 exec_lo, exec_lo, s18
	v_mov_b32_e32 v7, 0
	s_wait_loadcnt 0x0
	ds_store_b64 v16, v[10:11] offset:4224
	s_and_saveexec_b32 s18, s15
	s_cbranch_execz .LBB115_41
; %bb.40:                               ;   in Loop: Header=BB115_4 Depth=1
	v_lshl_add_u64 v[6:7], s[50:51], 3, v[0:1]
	global_load_b64 v[6:7], v[6:7], off
.LBB115_41:                             ;   in Loop: Header=BB115_4 Depth=1
	s_wait_xcnt 0x0
	s_or_b32 exec_lo, exec_lo, s18
	v_lshlrev_b32_e32 v62, 3, v56
	s_mov_b32 s18, 0
	s_wait_loadcnt 0x0
	ds_store_b64 v16, v[6:7] offset:6336
	v_add_nc_u64_e32 v[0:1], v[0:1], v[62:63]
	s_delay_alu instid0(VALU_DEP_1) | instskip(NEXT) | instid1(VALU_DEP_1)
	v_lshl_add_u64 v[0:1], s[56:57], 3, v[0:1]
	v_add_nc_u64_e32 v[0:1], 0x108, v[0:1]
	s_delay_alu instid0(VALU_DEP_1)
	v_dual_cndmask_b32 v1, v1, v3, s11 :: v_dual_cndmask_b32 v0, v0, v2, s11
.LBB115_42:                             ;   in Loop: Header=BB115_4 Depth=1
	s_and_b32 vcc_lo, exec_lo, s18
	s_cbranch_vccz .LBB115_44
; %bb.43:                               ;   in Loop: Header=BB115_4 Depth=1
	v_lshl_add_u64 v[0:1], s[42:43], 3, v[4:5]
	s_delay_alu instid0(VALU_DEP_1) | instskip(NEXT) | instid1(VALU_DEP_1)
	v_add_nc_u64_e32 v[6:7], s[62:63], v[0:1]
	v_add_nc_u64_e32 v[8:9], s[62:63], v[6:7]
	s_clause 0x3
	global_load_b64 v[4:5], v[4:5], off offset:256
	global_load_b64 v[10:11], v[0:1], off offset:256
	;; [unrolled: 1-line block ×4, first 2 shown]
	s_wait_xcnt 0x2
	v_mov_b64_e32 v[0:1], v[2:3]
	s_wait_loadcnt 0x3
	ds_store_b64 v16, v[4:5]
	s_wait_loadcnt 0x2
	ds_store_b64 v16, v[10:11] offset:2112
	s_wait_loadcnt 0x1
	ds_store_b64 v16, v[6:7] offset:4224
	;; [unrolled: 2-line block ×3, first 2 shown]
.LBB115_44:                             ;   in Loop: Header=BB115_4 Depth=1
	s_wait_dscnt 0x0
	s_barrier_signal -1
	s_barrier_wait -1
	s_wait_xcnt 0x0
	s_and_saveexec_b32 s18, s6
	s_cbranch_execnz .LBB115_130
; %bb.45:                               ;   in Loop: Header=BB115_4 Depth=1
	s_or_b32 exec_lo, exec_lo, s18
	s_and_saveexec_b32 s18, s7
	s_cbranch_execnz .LBB115_131
.LBB115_46:                             ;   in Loop: Header=BB115_4 Depth=1
	s_or_b32 exec_lo, exec_lo, s18
	s_and_saveexec_b32 s18, s8
	s_cbranch_execnz .LBB115_132
.LBB115_47:                             ;   in Loop: Header=BB115_4 Depth=1
	s_or_b32 exec_lo, exec_lo, s18
	s_and_saveexec_b32 s18, s9
	s_cbranch_execz .LBB115_49
.LBB115_48:                             ;   in Loop: Header=BB115_4 Depth=1
	ds_load_b64 v[2:3], v208 offset:528
	s_wait_dscnt 0x0
	ds_store_b64 v193, v[2:3] offset:24
.LBB115_49:                             ;   in Loop: Header=BB115_4 Depth=1
	s_or_b32 exec_lo, exec_lo, s18
	s_wait_dscnt 0x0
	s_barrier_signal -1
	s_barrier_wait -1
	ds_load_b64 v[10:11], v207
	ds_load_b128 v[2:5], v194 offset:256
	ds_load_2addr_b64 v[6:9], v208 offset1:33
	ds_load_b128 v[18:21], v194 offset:272
	ds_load_b64 v[14:15], v208 offset:528
	s_wait_dscnt 0x0
	s_barrier_signal -1
	s_barrier_wait -1
	v_pk_mul_f32 v[22:23], v[2:3], v[10:11] op_sel:[1,1] op_sel_hi:[0,1]
	v_dual_mov_b32 v24, v5 :: v_dual_mov_b32 v25, v4
	v_pk_mul_f32 v[26:27], v[18:19], v[8:9] op_sel:[1,1] op_sel_hi:[0,1]
	v_dual_mov_b32 v30, v21 :: v_dual_mov_b32 v31, v20
	s_delay_alu instid0(VALU_DEP_4) | instskip(NEXT) | instid1(VALU_DEP_4)
	v_pk_fma_f32 v[28:29], v[2:3], v[10:11], v[22:23] op_sel_hi:[1,0,1]
	v_pk_mul_f32 v[24:25], v[24:25], v[6:7] op_sel:[0,1]
	v_pk_fma_f32 v[2:3], v[2:3], v[10:11], v[22:23] neg_lo:[0,0,1] neg_hi:[0,0,1]
	v_pk_fma_f32 v[22:23], v[18:19], v[8:9], v[26:27] op_sel_hi:[1,0,1]
	s_delay_alu instid0(VALU_DEP_3)
	v_pk_fma_f32 v[10:11], v[4:5], v[6:7], v[24:25] op_sel_hi:[1,0,1]
	v_mov_b32_e32 v3, v29
	v_pk_fma_f32 v[4:5], v[4:5], v[6:7], v[24:25] neg_lo:[0,0,1] neg_hi:[0,0,1]
	v_pk_mul_f32 v[28:29], v[30:31], v[14:15] op_sel:[0,1]
	v_pk_fma_f32 v[6:7], v[18:19], v[8:9], v[26:27] neg_lo:[0,0,1] neg_hi:[0,0,1]
	v_mov_b32_e32 v5, v11
	v_pk_add_f32 v[2:3], v[2:3], 0 op_sel_hi:[1,0]
	s_delay_alu instid0(VALU_DEP_4) | instskip(SKIP_1) | instid1(VALU_DEP_3)
	v_pk_fma_f32 v[8:9], v[20:21], v[14:15], v[28:29] op_sel_hi:[1,0,1]
	v_mov_b32_e32 v7, v23
	v_pk_add_f32 v[2:3], v[2:3], v[4:5]
	v_pk_fma_f32 v[4:5], v[20:21], v[14:15], v[28:29] neg_lo:[0,0,1] neg_hi:[0,0,1]
	s_delay_alu instid0(VALU_DEP_4) | instskip(NEXT) | instid1(VALU_DEP_3)
	v_mov_b32_e32 v5, v9
	v_pk_add_f32 v[2:3], v[2:3], v[6:7]
	s_delay_alu instid0(VALU_DEP_1)
	v_pk_add_f32 v[2:3], v[2:3], v[4:5]
	ds_store_b64 v195, v[2:3]
	s_wait_dscnt 0x0
	s_barrier_signal -1
	s_barrier_wait -1
	s_and_saveexec_b32 s18, s16
	s_cbranch_execz .LBB115_51
; %bb.50:                               ;   in Loop: Header=BB115_4 Depth=1
	ds_load_2addr_b64 v[2:5], v192 offset1:7
	ds_load_2addr_b64 v[6:9], v192 offset0:1 offset1:2
	ds_load_2addr_b64 v[18:21], v192 offset0:3 offset1:4
	;; [unrolled: 1-line block ×3, first 2 shown]
	s_wait_dscnt 0x2
	v_dual_add_f32 v2, v6, v2 :: v_dual_add_f32 v3, v7, v3
	s_delay_alu instid0(VALU_DEP_1) | instskip(SKIP_1) | instid1(VALU_DEP_1)
	v_dual_add_f32 v2, v8, v2 :: v_dual_add_f32 v3, v9, v3
	s_wait_dscnt 0x1
	v_dual_add_f32 v2, v2, v18 :: v_dual_add_f32 v3, v3, v19
	s_delay_alu instid0(VALU_DEP_1) | instskip(SKIP_1) | instid1(VALU_DEP_1)
	v_dual_add_f32 v2, v2, v20 :: v_dual_add_f32 v3, v3, v21
	s_wait_dscnt 0x0
	v_dual_add_f32 v2, v2, v22 :: v_dual_add_f32 v3, v3, v23
	s_delay_alu instid0(VALU_DEP_1) | instskip(NEXT) | instid1(VALU_DEP_1)
	v_pk_add_f32 v[2:3], v[2:3], v[24:25]
	v_pk_add_f32 v[112:113], v[2:3], v[4:5]
.LBB115_51:                             ;   in Loop: Header=BB115_4 Depth=1
	s_or_b32 exec_lo, exec_lo, s18
	v_add_nc_u64_e32 v[2:3], s[58:59], v[0:1]
	s_and_b32 vcc_lo, exec_lo, s69
	s_mov_b32 s18, -1
	s_barrier_signal -1
	s_barrier_wait -1
                                        ; implicit-def: $vgpr14_vgpr15
	s_cbranch_vccz .LBB115_61
; %bb.52:                               ;   in Loop: Header=BB115_4 Depth=1
	v_lshl_add_u64 v[4:5], v[102:103], 3, v[0:1]
	v_dual_mov_b32 v8, 0 :: v_dual_mov_b32 v6, 0
	v_mov_b32_e32 v7, 0
	s_delay_alu instid0(VALU_DEP_3) | instskip(NEXT) | instid1(VALU_DEP_1)
	v_lshl_add_u64 v[4:5], s[26:27], 3, v[4:5]
	v_add_nc_u64_e32 v[4:5], s[60:61], v[4:5]
	s_delay_alu instid0(VALU_DEP_1)
	v_dual_cndmask_b32 v5, v5, v3, s1 :: v_dual_cndmask_b32 v4, v4, v2, s1
	s_and_saveexec_b32 s18, s12
	s_cbranch_execz .LBB115_54
; %bb.53:                               ;   in Loop: Header=BB115_4 Depth=1
	global_load_b64 v[6:7], v[4:5], off
.LBB115_54:                             ;   in Loop: Header=BB115_4 Depth=1
	s_wait_xcnt 0x0
	s_or_b32 exec_lo, exec_lo, s18
	v_mov_b32_e32 v9, 0
	s_wait_loadcnt 0x0
	ds_store_b64 v16, v[6:7]
	s_and_saveexec_b32 s18, s13
	s_cbranch_execz .LBB115_56
; %bb.55:                               ;   in Loop: Header=BB115_4 Depth=1
	v_lshl_add_u64 v[6:7], s[42:43], 3, v[4:5]
	global_load_b64 v[8:9], v[6:7], off
.LBB115_56:                             ;   in Loop: Header=BB115_4 Depth=1
	s_wait_xcnt 0x0
	s_or_b32 exec_lo, exec_lo, s18
	v_dual_mov_b32 v6, 0 :: v_dual_mov_b32 v10, 0
	v_mov_b32_e32 v11, 0
	s_wait_loadcnt 0x0
	ds_store_b64 v16, v[8:9] offset:2112
	s_and_saveexec_b32 s18, s14
	s_cbranch_execz .LBB115_58
; %bb.57:                               ;   in Loop: Header=BB115_4 Depth=1
	v_lshl_add_u64 v[8:9], s[48:49], 3, v[4:5]
	global_load_b64 v[10:11], v[8:9], off
.LBB115_58:                             ;   in Loop: Header=BB115_4 Depth=1
	s_wait_xcnt 0x0
	s_or_b32 exec_lo, exec_lo, s18
	v_mov_b32_e32 v7, 0
	s_wait_loadcnt 0x0
	ds_store_b64 v16, v[10:11] offset:4224
	s_and_saveexec_b32 s18, s15
	s_cbranch_execz .LBB115_60
; %bb.59:                               ;   in Loop: Header=BB115_4 Depth=1
	v_lshl_add_u64 v[6:7], s[50:51], 3, v[4:5]
	global_load_b64 v[6:7], v[6:7], off
.LBB115_60:                             ;   in Loop: Header=BB115_4 Depth=1
	s_wait_xcnt 0x0
	s_or_b32 exec_lo, exec_lo, s18
	v_lshlrev_b32_e32 v62, 3, v56
	s_mov_b32 s18, 0
	s_wait_loadcnt 0x0
	ds_store_b64 v16, v[6:7] offset:6336
	v_add_nc_u64_e32 v[4:5], v[4:5], v[62:63]
	s_delay_alu instid0(VALU_DEP_1) | instskip(NEXT) | instid1(VALU_DEP_1)
	v_lshl_add_u64 v[4:5], s[56:57], 3, v[4:5]
	v_add_nc_u64_e32 v[4:5], 8, v[4:5]
	s_delay_alu instid0(VALU_DEP_1)
	v_dual_cndmask_b32 v15, v5, v3, s1 :: v_dual_cndmask_b32 v14, v4, v2, s1
.LBB115_61:                             ;   in Loop: Header=BB115_4 Depth=1
	s_and_b32 vcc_lo, exec_lo, s18
	s_cbranch_vccz .LBB115_63
; %bb.62:                               ;   in Loop: Header=BB115_4 Depth=1
	v_lshl_add_u64 v[4:5], s[42:43], 3, v[0:1]
	v_mov_b64_e32 v[14:15], v[2:3]
	s_delay_alu instid0(VALU_DEP_2) | instskip(NEXT) | instid1(VALU_DEP_1)
	v_add_nc_u64_e32 v[6:7], s[62:63], v[4:5]
	v_add_nc_u64_e32 v[8:9], s[62:63], v[6:7]
	s_clause 0x3
	global_load_b64 v[0:1], v[0:1], off offset:-256
	global_load_b64 v[4:5], v[4:5], off offset:-256
	;; [unrolled: 1-line block ×4, first 2 shown]
	s_wait_loadcnt 0x3
	ds_store_b64 v16, v[0:1]
	s_wait_loadcnt 0x2
	ds_store_b64 v16, v[4:5] offset:2112
	s_wait_loadcnt 0x1
	ds_store_b64 v16, v[6:7] offset:4224
	;; [unrolled: 2-line block ×3, first 2 shown]
.LBB115_63:                             ;   in Loop: Header=BB115_4 Depth=1
	s_wait_xcnt 0x3
	v_dual_add_nc_u32 v0, v193, v197 :: v_dual_add_nc_u32 v1, v194, v197
	s_wait_dscnt 0x0
	s_barrier_signal -1
	s_barrier_wait -1
	s_wait_xcnt 0x2
	ds_load_b64 v[4:5], v0
	s_wait_xcnt 0x1
	ds_load_b64 v[6:7], v1
	ds_load_2addr_b64 v[20:23], v204 offset0:8 offset1:16
	ds_load_2addr_b64 v[24:27], v205 offset0:8 offset1:16
	ds_load_b64 v[28:29], v204 offset:192
	ds_load_b64 v[30:31], v205 offset:192
	ds_load_2addr_b64 v[0:3], v208 offset1:33
	ds_load_b64 v[18:19], v207
	ds_load_b64 v[16:17], v208 offset:528
	s_wait_dscnt 0x7
	s_wait_xcnt 0x0
	v_pk_mul_f32 v[8:9], v[6:7], v[4:5] op_sel:[1,1] op_sel_hi:[0,1]
	s_wait_dscnt 0x5
	v_pk_mul_f32 v[10:11], v[24:25], v[20:21] op_sel:[1,1] op_sel_hi:[0,1]
	v_pk_mul_f32 v[34:35], v[26:27], v[22:23] op_sel:[1,1] op_sel_hi:[0,1]
	s_delay_alu instid0(VALU_DEP_3) | instskip(SKIP_1) | instid1(VALU_DEP_4)
	v_pk_fma_f32 v[32:33], v[6:7], v[4:5], v[8:9] op_sel_hi:[1,0,1]
	v_pk_fma_f32 v[4:5], v[6:7], v[4:5], v[8:9] neg_lo:[0,0,1] neg_hi:[0,0,1]
	v_pk_fma_f32 v[36:37], v[24:25], v[20:21], v[10:11] op_sel_hi:[1,0,1]
	v_pk_fma_f32 v[20:21], v[24:25], v[20:21], v[10:11] neg_lo:[0,0,1] neg_hi:[0,0,1]
	v_pk_fma_f32 v[24:25], v[26:27], v[22:23], v[34:35] op_sel_hi:[1,0,1]
	v_mov_b32_e32 v5, v33
	s_wait_dscnt 0x3
	v_pk_mul_f32 v[32:33], v[30:31], v[28:29] op_sel:[1,1] op_sel_hi:[0,1]
	v_mov_b32_e32 v21, v37
	v_pk_fma_f32 v[22:23], v[26:27], v[22:23], v[34:35] neg_lo:[0,0,1] neg_hi:[0,0,1]
	v_mov_b32_e32 v23, v25
	v_pk_add_f32 v[36:37], v[4:5], 0 op_sel_hi:[1,0]
	ds_load_b128 v[8:11], v194 offset:256
	ds_load_b128 v[4:7], v194 offset:272
	v_pk_fma_f32 v[24:25], v[30:31], v[28:29], v[32:33] op_sel_hi:[1,0,1]
	v_pk_fma_f32 v[26:27], v[30:31], v[28:29], v[32:33] neg_lo:[0,0,1] neg_hi:[0,0,1]
	s_wait_dscnt 0x0
	v_pk_add_f32 v[20:21], v[36:37], v[20:21]
	s_barrier_signal -1
	v_mov_b32_e32 v27, v25
	s_barrier_wait -1
	s_delay_alu instid0(VALU_DEP_2) | instskip(NEXT) | instid1(VALU_DEP_1)
	v_pk_add_f32 v[20:21], v[20:21], v[22:23]
	v_pk_add_f32 v[20:21], v[20:21], v[26:27]
	ds_store_b64 v195, v[20:21]
	s_wait_dscnt 0x0
	s_barrier_signal -1
	s_barrier_wait -1
	s_and_saveexec_b32 s18, s16
	s_cbranch_execz .LBB115_65
; %bb.64:                               ;   in Loop: Header=BB115_4 Depth=1
	ds_load_2addr_b64 v[20:23], v192 offset1:1
	ds_load_2addr_b64 v[24:27], v192 offset0:2 offset1:3
	ds_load_2addr_b64 v[28:31], v192 offset0:4 offset1:5
	s_wait_dscnt 0x2
	v_pk_add_f32 v[20:21], v[112:113], v[20:21]
	s_delay_alu instid0(VALU_DEP_1) | instskip(SKIP_1) | instid1(VALU_DEP_1)
	v_pk_add_f32 v[20:21], v[20:21], v[22:23]
	s_wait_dscnt 0x1
	v_pk_add_f32 v[24:25], v[20:21], v[24:25]
	ds_load_2addr_b64 v[20:23], v192 offset0:6 offset1:7
	v_pk_add_f32 v[24:25], v[24:25], v[26:27]
	s_wait_dscnt 0x1
	s_delay_alu instid0(VALU_DEP_1) | instskip(NEXT) | instid1(VALU_DEP_1)
	v_pk_add_f32 v[24:25], v[24:25], v[28:29]
	v_pk_add_f32 v[24:25], v[24:25], v[30:31]
	s_wait_dscnt 0x0
	s_delay_alu instid0(VALU_DEP_1) | instskip(NEXT) | instid1(VALU_DEP_1)
	v_pk_add_f32 v[20:21], v[24:25], v[20:21]
	v_pk_add_f32 v[112:113], v[20:21], v[22:23]
.LBB115_65:                             ;   in Loop: Header=BB115_4 Depth=1
	s_or_b32 exec_lo, exec_lo, s18
	v_pk_mul_f32 v[20:21], v[8:9], v[18:19] op_sel:[1,1] op_sel_hi:[0,1]
	v_dual_mov_b32 v22, v11 :: v_dual_mov_b32 v23, v10
	v_pk_mul_f32 v[24:25], v[4:5], v[2:3] op_sel:[1,1] op_sel_hi:[0,1]
	v_dual_mov_b32 v28, v7 :: v_dual_mov_b32 v29, v6
	s_delay_alu instid0(VALU_DEP_4) | instskip(NEXT) | instid1(VALU_DEP_4)
	v_pk_fma_f32 v[26:27], v[8:9], v[18:19], v[20:21] op_sel_hi:[1,0,1]
	v_pk_mul_f32 v[22:23], v[22:23], v[0:1] op_sel:[0,1]
	v_pk_fma_f32 v[8:9], v[8:9], v[18:19], v[20:21] neg_lo:[0,0,1] neg_hi:[0,0,1]
	v_pk_fma_f32 v[20:21], v[4:5], v[2:3], v[24:25] op_sel_hi:[1,0,1]
	v_pk_fma_f32 v[2:3], v[4:5], v[2:3], v[24:25] neg_lo:[0,0,1] neg_hi:[0,0,1]
	s_delay_alu instid0(VALU_DEP_4)
	v_pk_fma_f32 v[18:19], v[10:11], v[0:1], v[22:23] op_sel_hi:[1,0,1]
	v_mov_b32_e32 v9, v27
	v_pk_fma_f32 v[0:1], v[10:11], v[0:1], v[22:23] neg_lo:[0,0,1] neg_hi:[0,0,1]
	v_pk_mul_f32 v[26:27], v[28:29], v[16:17] op_sel:[0,1]
	s_barrier_signal -1
	v_mov_b32_e32 v1, v19
	v_pk_add_f32 v[8:9], v[8:9], 0 op_sel_hi:[1,0]
	s_barrier_wait -1
	v_pk_fma_f32 v[4:5], v[6:7], v[16:17], v[26:27] op_sel_hi:[1,0,1]
	v_mov_b32_e32 v3, v21
	v_pk_fma_f32 v[6:7], v[6:7], v[16:17], v[26:27] neg_lo:[0,0,1] neg_hi:[0,0,1]
	v_pk_add_f32 v[0:1], v[8:9], v[0:1]
	s_delay_alu instid0(VALU_DEP_4) | instskip(NEXT) | instid1(VALU_DEP_2)
	v_mov_b32_e32 v7, v5
	v_pk_add_f32 v[0:1], v[0:1], v[2:3]
	s_delay_alu instid0(VALU_DEP_1)
	v_pk_add_f32 v[0:1], v[0:1], v[6:7]
	ds_store_b64 v195, v[0:1]
	s_wait_dscnt 0x0
	s_barrier_signal -1
	s_barrier_wait -1
	s_and_saveexec_b32 s18, s10
	s_cbranch_execz .LBB115_67
; %bb.66:                               ;   in Loop: Header=BB115_4 Depth=1
	ds_load_2addr_b64 v[0:3], v192 offset1:1
	ds_load_2addr_b64 v[4:7], v192 offset0:2 offset1:3
	ds_load_2addr_b64 v[8:11], v192 offset0:4 offset1:5
	s_wait_dscnt 0x2
	v_pk_add_f32 v[0:1], v[112:113], v[0:1]
	s_delay_alu instid0(VALU_DEP_1) | instskip(SKIP_1) | instid1(VALU_DEP_1)
	v_pk_add_f32 v[0:1], v[0:1], v[2:3]
	s_wait_dscnt 0x1
	v_pk_add_f32 v[4:5], v[0:1], v[4:5]
	ds_load_2addr_b64 v[0:3], v192 offset0:6 offset1:7
	v_pk_add_f32 v[4:5], v[4:5], v[6:7]
	s_wait_dscnt 0x1
	s_delay_alu instid0(VALU_DEP_1) | instskip(NEXT) | instid1(VALU_DEP_1)
	v_pk_add_f32 v[4:5], v[4:5], v[8:9]
	v_pk_add_f32 v[4:5], v[4:5], v[10:11]
	s_wait_dscnt 0x0
	s_delay_alu instid0(VALU_DEP_1) | instskip(NEXT) | instid1(VALU_DEP_1)
	v_pk_add_f32 v[0:1], v[4:5], v[0:1]
	v_pk_add_f32 v[112:113], v[0:1], v[2:3]
.LBB115_67:                             ;   in Loop: Header=BB115_4 Depth=1
	s_or_b32 exec_lo, exec_lo, s18
	s_mul_u64 s[18:19], s[24:25], s[34:35]
	s_and_not1_b32 vcc_lo, exec_lo, s45
	s_lshl_b64 s[18:19], s[18:19], 3
	s_delay_alu instid0(SALU_CYCLE_1)
	s_add_nc_u64 s[18:19], s[30:31], s[18:19]
	s_barrier_signal -1
	s_barrier_wait -1
	s_cbranch_vccnz .LBB115_125
; %bb.68:                               ;   in Loop: Header=BB115_4 Depth=1
	v_add_nc_u64_e32 v[114:115], v[14:15], v[68:69]
	v_add_nc_u64_e32 v[116:117], v[14:15], v[70:71]
	v_add_nc_u64_e32 v[118:119], v[14:15], v[72:73]
	v_add_nc_u64_e32 v[120:121], v[14:15], v[74:75]
	v_add_nc_u64_e32 v[122:123], v[14:15], v[76:77]
	v_add_nc_u64_e32 v[124:125], v[14:15], v[78:79]
	v_add_nc_u64_e32 v[126:127], v[14:15], v[80:81]
	v_add_nc_u64_e32 v[128:129], v[14:15], v[82:83]
	v_add_nc_u64_e32 v[130:131], v[14:15], v[84:85]
	v_add_nc_u64_e32 v[132:133], v[14:15], v[86:87]
	v_add_nc_u64_e32 v[134:135], v[14:15], v[88:89]
	v_add_nc_u64_e32 v[136:137], v[14:15], v[90:91]
	v_add_nc_u64_e32 v[138:139], v[14:15], v[92:93]
	v_add_nc_u64_e32 v[140:141], v[14:15], v[94:95]
	v_add_nc_u64_e32 v[142:143], v[14:15], v[96:97]
	v_add_nc_u64_e32 v[144:145], v[14:15], v[98:99]
	v_add_nc_u64_e32 v[146:147], v[14:15], v[104:105]
	v_add_nc_u64_e32 v[148:149], v[14:15], v[106:107]
	v_add_nc_u64_e32 v[150:151], v[14:15], v[100:101]
	v_add_nc_u64_e32 v[152:153], v[14:15], v[108:109]
	v_lshl_add_u64 v[154:155], s[54:55], 3, v[12:13]
	v_mov_b32_e32 v62, v225
	s_mov_b32 s66, s73
	s_mov_b32 s74, s46
	s_branch .LBB115_70
.LBB115_69:                             ;   in Loop: Header=BB115_70 Depth=2
	s_wait_xcnt 0x0
	s_or_b32 exec_lo, exec_lo, s67
	v_dual_mul_f32 v22, v5, v159 :: v_dual_mul_f32 v5, v5, v158
	v_dual_mov_b32 v20, v177 :: v_dual_mov_b32 v21, v177
	v_mov_b32_e32 v177, v176
	s_delay_alu instid0(VALU_DEP_3) | instskip(NEXT) | instid1(VALU_DEP_4)
	v_dual_fma_f32 v22, v4, v158, -v22 :: v_dual_mul_f32 v23, v7, v157
	v_dual_fmac_f32 v5, v4, v159 :: v_dual_mul_f32 v4, v7, v156
	v_dual_mov_b32 v16, v175 :: v_dual_mov_b32 v17, v175
	s_delay_alu instid0(VALU_DEP_3) | instskip(SKIP_1) | instid1(VALU_DEP_4)
	v_dual_add_f32 v7, v112, v22 :: v_dual_fma_f32 v22, v6, v156, -v23
	v_mul_f32_e32 v23, v1, v161
	v_add_f32_e32 v5, v113, v5
	v_dual_fmac_f32 v4, v6, v157 :: v_dual_mul_f32 v1, v1, v160
	s_delay_alu instid0(VALU_DEP_3) | instskip(NEXT) | instid1(VALU_DEP_2)
	v_dual_add_f32 v6, v7, v22 :: v_dual_fma_f32 v7, v0, v160, -v23
	v_dual_mul_f32 v22, v3, v163 :: v_dual_add_f32 v4, v5, v4
	s_delay_alu instid0(VALU_DEP_3) | instskip(NEXT) | instid1(VALU_DEP_3)
	v_dual_fmac_f32 v1, v0, v161 :: v_dual_mul_f32 v0, v3, v162
	v_add_f32_e32 v3, v6, v7
	s_delay_alu instid0(VALU_DEP_3) | instskip(NEXT) | instid1(VALU_DEP_3)
	v_dual_fma_f32 v5, v2, v162, -v22 :: v_dual_mul_f32 v6, v13, v167
	v_dual_add_f32 v1, v4, v1 :: v_dual_fmac_f32 v0, v2, v163
	s_delay_alu instid0(VALU_DEP_2) | instskip(NEXT) | instid1(VALU_DEP_3)
	v_dual_mul_f32 v2, v13, v166 :: v_dual_add_f32 v3, v3, v5
	v_dual_fma_f32 v4, v12, v166, -v6 :: v_dual_mul_f32 v5, v15, v165
	s_delay_alu instid0(VALU_DEP_2) | instskip(SKIP_1) | instid1(VALU_DEP_3)
	v_dual_add_f32 v0, v1, v0 :: v_dual_fmac_f32 v2, v12, v167
	v_mul_f32_e32 v6, v15, v164
	v_add_f32_e32 v3, v3, v4
	s_delay_alu instid0(VALU_DEP_4) | instskip(NEXT) | instid1(VALU_DEP_3)
	v_dual_fma_f32 v4, v14, v164, -v5 :: v_dual_mul_f32 v5, v9, v169
	v_dual_add_f32 v7, v0, v2 :: v_dual_fmac_f32 v6, v14, v165
	v_dual_mul_f32 v1, v9, v168 :: v_dual_mov_b32 v175, v174
	s_delay_alu instid0(VALU_DEP_3) | instskip(NEXT) | instid1(VALU_DEP_2)
	v_dual_mov_b32 v18, v173 :: v_dual_fma_f32 v0, v8, v168, -v5
	v_dual_add_f32 v2, v3, v4 :: v_dual_fmac_f32 v1, v8, v169
	v_dual_mul_f32 v4, v11, v171 :: v_dual_mul_f32 v5, v11, v170
	v_dual_add_f32 v3, v7, v6 :: v_dual_mov_b32 v19, v173
	v_dual_mov_b32 v173, v172 :: v_dual_mov_b32 v6, v179
	s_delay_alu instid0(VALU_DEP_3) | instskip(SKIP_4) | instid1(VALU_DEP_4)
	v_fma_f32 v4, v10, v170, -v4
	v_pk_mul_f32 v[8:9], v[28:29], v[16:17]
	v_fmac_f32_e32 v5, v10, v171
	v_pk_add_f32 v[0:1], v[2:3], v[0:1]
	v_dual_mov_b32 v7, v179 :: v_dual_mov_b32 v179, v178
	v_pk_fma_f32 v[2:3], v[28:29], v[174:175], v[8:9] op_sel:[0,0,1] op_sel_hi:[1,1,0]
	v_pk_fma_f32 v[8:9], v[28:29], v[174:175], v[8:9] op_sel:[0,0,1] op_sel_hi:[1,1,0] neg_lo:[0,0,1] neg_hi:[0,0,1]
	s_delay_alu instid0(VALU_DEP_4) | instskip(SKIP_1) | instid1(VALU_DEP_4)
	v_pk_add_f32 v[0:1], v[0:1], v[4:5]
	v_pk_mul_f32 v[4:5], v[30:31], v[18:19]
	v_dual_mov_b32 v2, v183 :: v_dual_mov_b32 v9, v3
	v_dual_mov_b32 v3, v183 :: v_dual_mov_b32 v183, v182
	s_delay_alu instid0(VALU_DEP_3)
	v_pk_fma_f32 v[10:11], v[30:31], v[172:173], v[4:5] op_sel:[0,0,1] op_sel_hi:[1,1,0]
	v_pk_fma_f32 v[4:5], v[30:31], v[172:173], v[4:5] op_sel:[0,0,1] op_sel_hi:[1,1,0] neg_lo:[0,0,1] neg_hi:[0,0,1]
	v_mov_b32_e32 v10, v181
	v_pk_add_f32 v[0:1], v[0:1], v[8:9]
	v_pk_mul_f32 v[8:9], v[24:25], v[20:21]
	v_dual_mov_b32 v5, v11 :: v_dual_mov_b32 v11, v181
	v_mov_b32_e32 v181, v180
	v_pk_mul_f32 v[2:3], v[40:41], v[2:3]
	s_delay_alu instid0(VALU_DEP_4) | instskip(NEXT) | instid1(VALU_DEP_4)
	v_pk_fma_f32 v[12:13], v[24:25], v[176:177], v[8:9] op_sel:[0,0,1] op_sel_hi:[1,1,0]
	v_pk_add_f32 v[0:1], v[0:1], v[4:5]
	v_pk_mul_f32 v[4:5], v[26:27], v[6:7]
	v_pk_fma_f32 v[6:7], v[24:25], v[176:177], v[8:9] op_sel:[0,0,1] op_sel_hi:[1,1,0] neg_lo:[0,0,1] neg_hi:[0,0,1]
	s_delay_alu instid0(VALU_DEP_4) | instskip(SKIP_1) | instid1(VALU_DEP_4)
	v_dual_mov_b32 v12, v185 :: v_dual_mov_b32 v7, v13
	v_dual_mov_b32 v13, v185 :: v_dual_mov_b32 v185, v184
	v_pk_fma_f32 v[8:9], v[26:27], v[178:179], v[4:5] op_sel:[0,0,1] op_sel_hi:[1,1,0]
	v_pk_fma_f32 v[4:5], v[26:27], v[178:179], v[4:5] op_sel:[0,0,1] op_sel_hi:[1,1,0] neg_lo:[0,0,1] neg_hi:[0,0,1]
	v_mov_b32_e32 v8, v187
	v_pk_add_f32 v[0:1], v[0:1], v[6:7]
	v_pk_mul_f32 v[6:7], v[42:43], v[10:11]
	v_mov_b32_e32 v5, v9
	v_pk_fma_f32 v[10:11], v[40:41], v[182:183], v[2:3] op_sel:[0,0,1] op_sel_hi:[1,1,0]
	v_pk_fma_f32 v[2:3], v[40:41], v[182:183], v[2:3] op_sel:[0,0,1] op_sel_hi:[1,1,0] neg_lo:[0,0,1] neg_hi:[0,0,1]
	v_dual_mov_b32 v9, v187 :: v_dual_mov_b32 v187, v186
	s_delay_alu instid0(VALU_DEP_4)
	v_pk_add_f32 v[0:1], v[0:1], v[4:5]
	v_pk_fma_f32 v[4:5], v[42:43], v[180:181], v[6:7] op_sel:[0,0,1] op_sel_hi:[1,1,0]
	v_pk_mul_f32 v[12:13], v[44:45], v[12:13]
	v_mov_b32_e32 v3, v11
	v_pk_fma_f32 v[6:7], v[42:43], v[180:181], v[6:7] op_sel:[0,0,1] op_sel_hi:[1,1,0] neg_lo:[0,0,1] neg_hi:[0,0,1]
	v_pk_mul_f32 v[8:9], v[46:47], v[8:9]
	v_mov_b32_e32 v7, v5
	v_pk_fma_f32 v[4:5], v[44:45], v[184:185], v[12:13] op_sel:[0,0,1] op_sel_hi:[1,1,0]
	v_pk_add_f32 v[0:1], v[0:1], v[2:3]
	v_pk_fma_f32 v[2:3], v[44:45], v[184:185], v[12:13] op_sel:[0,0,1] op_sel_hi:[1,1,0] neg_lo:[0,0,1] neg_hi:[0,0,1]
	v_add_nc_u64_e32 v[114:115], s[64:65], v[114:115]
	v_add_nc_u64_e32 v[116:117], s[64:65], v[116:117]
	v_mov_b32_e32 v3, v5
	v_pk_fma_f32 v[4:5], v[46:47], v[186:187], v[8:9] op_sel:[0,0,1] op_sel_hi:[1,1,0]
	v_pk_add_f32 v[0:1], v[0:1], v[6:7]
	v_pk_fma_f32 v[6:7], v[46:47], v[186:187], v[8:9] op_sel:[0,0,1] op_sel_hi:[1,1,0] neg_lo:[0,0,1] neg_hi:[0,0,1]
	v_add_nc_u64_e32 v[118:119], s[64:65], v[118:119]
	v_add_nc_u64_e32 v[120:121], s[64:65], v[120:121]
	v_mov_b32_e32 v7, v5
	v_pk_add_f32 v[0:1], v[0:1], v[2:3]
	v_add_nc_u64_e32 v[122:123], s[64:65], v[122:123]
	v_add_nc_u64_e32 v[124:125], s[64:65], v[124:125]
	;; [unrolled: 1-line block ×16, first 2 shown]
	v_pk_add_f32 v[112:113], v[0:1], v[6:7]
	v_add_nc_u32_e32 v62, 64, v62
	s_add_co_i32 s67, s74, 1
	s_add_co_i32 s74, s74, 2
	;; [unrolled: 1-line block ×3, first 2 shown]
	s_cmp_ge_u32 s74, s44
	s_mov_b32 s74, s67
	s_wait_storecnt 0x0
	s_barrier_signal -1
	s_barrier_wait -1
	s_cbranch_scc1 .LBB115_125
.LBB115_70:                             ;   Parent Loop BB115_4 Depth=1
                                        ; =>  This Inner Loop Header: Depth=2
	s_cmp_eq_u32 s47, s74
	s_cselect_b32 s75, s68, 0
	s_and_saveexec_b32 s76, s0
	s_cbranch_execz .LBB115_75
; %bb.71:                               ;   in Loop: Header=BB115_70 Depth=2
	v_cmp_le_i32_e32 vcc_lo, s75, v188
	s_cmp_lg_u32 s75, 0
	s_cselect_b32 s67, -1, 0
	s_delay_alu instid0(SALU_CYCLE_1) | instskip(NEXT) | instid1(SALU_CYCLE_1)
	s_and_b32 s67, s67, vcc_lo
	s_and_saveexec_b32 s77, s67
	s_delay_alu instid0(SALU_CYCLE_1)
	s_xor_b32 s67, exec_lo, s77
; %bb.72:                               ;   in Loop: Header=BB115_70 Depth=2
	ds_store_b64 v210, v[110:111]
; %bb.73:                               ;   in Loop: Header=BB115_70 Depth=2
	s_and_not1_saveexec_b32 s67, s67
	s_cbranch_execz .LBB115_75
; %bb.74:                               ;   in Loop: Header=BB115_70 Depth=2
	s_ashr_i32 s67, s66, 31
	s_delay_alu instid0(SALU_CYCLE_1)
	v_lshl_add_u64 v[0:1], s[66:67], 3, v[154:155]
	global_load_b64 v[0:1], v[0:1], off
	s_wait_loadcnt 0x0
	ds_store_b64 v210, v[0:1]
.LBB115_75:                             ;   in Loop: Header=BB115_70 Depth=2
	s_wait_xcnt 0x0
	s_or_b32 exec_lo, exec_lo, s76
	s_cmp_eq_u32 s75, 0
	v_add_nc_u64_e32 v[0:1], v[114:115], v[66:67]
	s_cselect_b32 s67, -1, 0
	s_cmp_lg_u32 s75, 0
	s_wait_dscnt 0x0
	s_cselect_b32 s76, -1, 0
	s_barrier_signal -1
	s_and_b32 vcc_lo, exec_lo, s76
	s_barrier_wait -1
	s_cbranch_vccz .LBB115_83
; %bb.76:                               ;   in Loop: Header=BB115_70 Depth=2
	v_mov_b64_e32 v[156:157], 0
	v_mov_b64_e32 v[158:159], 0
	s_mov_b32 s77, exec_lo
	v_cmpx_gt_i32_e64 s75, v196
	s_cbranch_execz .LBB115_78
; %bb.77:                               ;   in Loop: Header=BB115_70 Depth=2
	global_load_b64 v[158:159], v[0:1], off
.LBB115_78:                             ;   in Loop: Header=BB115_70 Depth=2
	s_wait_xcnt 0x0
	s_or_b32 exec_lo, exec_lo, s77
	s_delay_alu instid0(SALU_CYCLE_1)
	s_mov_b32 s77, exec_lo
	v_cmpx_gt_i32_e64 s75, v211
	s_cbranch_execz .LBB115_80
; %bb.79:                               ;   in Loop: Header=BB115_70 Depth=2
	v_add_nc_u64_e32 v[2:3], v[118:119], v[66:67]
	global_load_b64 v[156:157], v[2:3], off
.LBB115_80:                             ;   in Loop: Header=BB115_70 Depth=2
	s_wait_xcnt 0x0
	s_or_b32 exec_lo, exec_lo, s77
	v_mov_b64_e32 v[160:161], 0
	s_mov_b32 s77, exec_lo
	v_cmpx_gt_i32_e64 s75, v212
	s_cbranch_execz .LBB115_82
; %bb.81:                               ;   in Loop: Header=BB115_70 Depth=2
	v_add_nc_u64_e32 v[2:3], v[120:121], v[66:67]
	global_load_b64 v[160:161], v[2:3], off
.LBB115_82:                             ;   in Loop: Header=BB115_70 Depth=2
	s_wait_xcnt 0x0
	s_or_b32 exec_lo, exec_lo, s77
	v_cmp_gt_i32_e64 s77, s75, v213
	s_branch .LBB115_85
.LBB115_83:                             ;   in Loop: Header=BB115_70 Depth=2
	s_mov_b32 s77, 0
                                        ; implicit-def: $vgpr160_vgpr161
                                        ; implicit-def: $vgpr156_vgpr157
                                        ; implicit-def: $vgpr158_vgpr159
	s_cbranch_execz .LBB115_85
; %bb.84:                               ;   in Loop: Header=BB115_70 Depth=2
	v_add_nc_u64_e32 v[2:3], v[118:119], v[66:67]
	v_add_nc_u64_e32 v[4:5], v[116:117], v[66:67]
	s_or_b32 s77, s77, exec_lo
	s_wait_loadcnt 0x0
	global_load_b64 v[158:159], v[0:1], off
	global_load_b64 v[156:157], v[2:3], off
	;; [unrolled: 1-line block ×3, first 2 shown]
.LBB115_85:                             ;   in Loop: Header=BB115_70 Depth=2
	v_mov_b64_e32 v[162:163], 0
	s_wait_xcnt 0x0
	s_delay_alu instid0(VALU_DEP_2)
	s_and_saveexec_b32 s78, s77
	s_cbranch_execz .LBB115_87
; %bb.86:                               ;   in Loop: Header=BB115_70 Depth=2
	v_add_nc_u64_e32 v[0:1], v[122:123], v[66:67]
	global_load_b64 v[162:163], v[0:1], off
.LBB115_87:                             ;   in Loop: Header=BB115_70 Depth=2
	s_wait_xcnt 0x0
	s_or_b32 exec_lo, exec_lo, s78
	ds_load_b64 v[0:1], v209
	v_cndmask_b32_e64 v40, 0, 1, s76
	s_and_not1_b32 vcc_lo, exec_lo, s76
	s_wait_loadcnt_dscnt 0x0
	v_pk_mul_f32 v[2:3], v[0:1], v[158:159] op_sel:[1,1] op_sel_hi:[0,1]
	v_pk_mul_f32 v[4:5], v[0:1], v[156:157] op_sel:[1,1] op_sel_hi:[0,1]
	;; [unrolled: 1-line block ×4, first 2 shown]
	s_delay_alu instid0(VALU_DEP_4)
	v_pk_fma_f32 v[10:11], v[0:1], v[158:159], v[2:3] neg_lo:[0,0,1] neg_hi:[0,0,1]
	v_pk_fma_f32 v[2:3], v[0:1], v[158:159], v[2:3] op_sel_hi:[1,0,1]
	v_pk_fma_f32 v[12:13], v[0:1], v[156:157], v[4:5] neg_lo:[0,0,1] neg_hi:[0,0,1]
	v_pk_fma_f32 v[4:5], v[0:1], v[156:157], v[4:5] op_sel_hi:[1,0,1]
	;; [unrolled: 2-line block ×3, first 2 shown]
	v_pk_fma_f32 v[16:17], v[0:1], v[162:163], v[8:9] op_sel_hi:[1,0,1]
	v_pk_fma_f32 v[8:9], v[0:1], v[162:163], v[8:9] neg_lo:[0,0,1] neg_hi:[0,0,1]
	v_dual_mov_b32 v11, v3 :: v_dual_mov_b32 v13, v5
	s_delay_alu instid0(VALU_DEP_3)
	v_dual_mov_b32 v15, v7 :: v_dual_mov_b32 v9, v17
	ds_load_b128 v[4:7], v198
	ds_load_b128 v[0:3], v198 offset:16
	ds_store_2addr_b64 v199, v[10:11], v[12:13] offset1:67
	ds_store_2addr_b64 v199, v[14:15], v[8:9] offset0:134 offset1:201
	s_wait_dscnt 0x0
	s_barrier_signal -1
	s_barrier_wait -1
	ds_load_2addr_b64 v[20:23], v200 offset1:1
	ds_load_2addr_b64 v[16:19], v200 offset0:2 offset1:3
	v_add_nc_u64_e32 v[8:9], v[124:125], v[66:67]
	s_wait_dscnt 0x0
	s_barrier_signal -1
	s_barrier_wait -1
	s_cbranch_vccnz .LBB115_95
; %bb.88:                               ;   in Loop: Header=BB115_70 Depth=2
	v_mov_b64_e32 v[164:165], 0
	v_mov_b64_e32 v[166:167], 0
	s_mov_b32 s76, exec_lo
	v_cmpx_gt_i32_e64 s75, v214
	s_cbranch_execz .LBB115_90
; %bb.89:                               ;   in Loop: Header=BB115_70 Depth=2
	global_load_b64 v[166:167], v[8:9], off
.LBB115_90:                             ;   in Loop: Header=BB115_70 Depth=2
	s_wait_xcnt 0x0
	s_or_b32 exec_lo, exec_lo, s76
	s_delay_alu instid0(SALU_CYCLE_1)
	s_mov_b32 s76, exec_lo
	v_cmpx_gt_i32_e64 s75, v215
	s_cbranch_execz .LBB115_92
; %bb.91:                               ;   in Loop: Header=BB115_70 Depth=2
	v_add_nc_u64_e32 v[10:11], v[126:127], v[66:67]
	global_load_b64 v[164:165], v[10:11], off
.LBB115_92:                             ;   in Loop: Header=BB115_70 Depth=2
	s_wait_xcnt 0x0
	s_or_b32 exec_lo, exec_lo, s76
	v_mov_b64_e32 v[168:169], 0
	s_mov_b32 s76, exec_lo
	v_cmpx_gt_i32_e64 s75, v216
	s_cbranch_execz .LBB115_94
; %bb.93:                               ;   in Loop: Header=BB115_70 Depth=2
	v_add_nc_u64_e32 v[10:11], v[128:129], v[66:67]
	global_load_b64 v[168:169], v[10:11], off
.LBB115_94:                             ;   in Loop: Header=BB115_70 Depth=2
	s_wait_xcnt 0x0
	s_or_b32 exec_lo, exec_lo, s76
	v_cmp_gt_i32_e64 s76, s75, v217
	s_branch .LBB115_97
.LBB115_95:                             ;   in Loop: Header=BB115_70 Depth=2
	s_mov_b32 s76, 0
                                        ; implicit-def: $vgpr168_vgpr169
                                        ; implicit-def: $vgpr164_vgpr165
                                        ; implicit-def: $vgpr166_vgpr167
	s_cbranch_execz .LBB115_97
; %bb.96:                               ;   in Loop: Header=BB115_70 Depth=2
	v_add_nc_u64_e32 v[10:11], v[126:127], v[66:67]
	v_add_nc_u64_e32 v[12:13], v[130:131], v[66:67]
	s_or_b32 s76, s76, exec_lo
	s_wait_loadcnt 0x0
	global_load_b64 v[166:167], v[8:9], off
	global_load_b64 v[164:165], v[10:11], off
	;; [unrolled: 1-line block ×3, first 2 shown]
.LBB115_97:                             ;   in Loop: Header=BB115_70 Depth=2
	v_mov_b64_e32 v[170:171], 0
	s_wait_xcnt 0x0
	s_delay_alu instid0(VALU_DEP_2)
	s_and_saveexec_b32 s77, s76
	s_cbranch_execz .LBB115_99
; %bb.98:                               ;   in Loop: Header=BB115_70 Depth=2
	v_add_nc_u64_e32 v[8:9], v[132:133], v[66:67]
	global_load_b64 v[170:171], v[8:9], off
.LBB115_99:                             ;   in Loop: Header=BB115_70 Depth=2
	s_wait_xcnt 0x0
	s_or_b32 exec_lo, exec_lo, s77
	ds_load_b64 v[8:9], v209
	v_cmp_ne_u32_e32 vcc_lo, 1, v40
	s_and_b32 vcc_lo, exec_lo, vcc_lo
	s_wait_loadcnt_dscnt 0x0
	v_pk_mul_f32 v[10:11], v[8:9], v[166:167] op_sel:[1,1] op_sel_hi:[0,1]
	v_pk_mul_f32 v[12:13], v[8:9], v[164:165] op_sel:[1,1] op_sel_hi:[0,1]
	;; [unrolled: 1-line block ×4, first 2 shown]
	s_delay_alu instid0(VALU_DEP_4)
	v_pk_fma_f32 v[26:27], v[8:9], v[166:167], v[10:11] neg_lo:[0,0,1] neg_hi:[0,0,1]
	v_pk_fma_f32 v[10:11], v[8:9], v[166:167], v[10:11] op_sel_hi:[1,0,1]
	v_pk_fma_f32 v[28:29], v[8:9], v[164:165], v[12:13] neg_lo:[0,0,1] neg_hi:[0,0,1]
	v_pk_fma_f32 v[12:13], v[8:9], v[164:165], v[12:13] op_sel_hi:[1,0,1]
	;; [unrolled: 2-line block ×3, first 2 shown]
	v_pk_fma_f32 v[32:33], v[8:9], v[170:171], v[24:25] op_sel_hi:[1,0,1]
	v_pk_fma_f32 v[24:25], v[8:9], v[170:171], v[24:25] neg_lo:[0,0,1] neg_hi:[0,0,1]
	v_dual_mov_b32 v27, v11 :: v_dual_mov_b32 v29, v13
	s_delay_alu instid0(VALU_DEP_3)
	v_dual_mov_b32 v31, v15 :: v_dual_mov_b32 v25, v33
	ds_load_b128 v[12:15], v198 offset:128
	ds_load_b128 v[8:11], v198 offset:144
	ds_store_2addr_b64 v199, v[26:27], v[28:29] offset1:67
	ds_store_2addr_b64 v199, v[30:31], v[24:25] offset0:134 offset1:201
	s_wait_dscnt 0x0
	s_barrier_signal -1
	s_barrier_wait -1
	ds_load_2addr_b64 v[36:39], v200 offset1:1
	ds_load_2addr_b64 v[32:35], v200 offset0:2 offset1:3
	v_add_nc_u64_e32 v[24:25], v[134:135], v[66:67]
	s_wait_dscnt 0x0
	s_barrier_signal -1
	s_barrier_wait -1
	s_cbranch_vccnz .LBB115_107
; %bb.100:                              ;   in Loop: Header=BB115_70 Depth=2
	v_mov_b64_e32 v[172:173], 0
	v_mov_b64_e32 v[174:175], 0
	s_mov_b32 s76, exec_lo
	v_cmpx_gt_i32_e64 s75, v218
	s_cbranch_execz .LBB115_102
; %bb.101:                              ;   in Loop: Header=BB115_70 Depth=2
	global_load_b64 v[174:175], v[24:25], off
.LBB115_102:                            ;   in Loop: Header=BB115_70 Depth=2
	s_wait_xcnt 0x0
	s_or_b32 exec_lo, exec_lo, s76
	s_delay_alu instid0(SALU_CYCLE_1)
	s_mov_b32 s76, exec_lo
	v_cmpx_gt_i32_e64 s75, v219
	s_cbranch_execz .LBB115_104
; %bb.103:                              ;   in Loop: Header=BB115_70 Depth=2
	v_add_nc_u64_e32 v[26:27], v[136:137], v[66:67]
	global_load_b64 v[172:173], v[26:27], off
.LBB115_104:                            ;   in Loop: Header=BB115_70 Depth=2
	s_wait_xcnt 0x0
	s_or_b32 exec_lo, exec_lo, s76
	v_mov_b64_e32 v[176:177], 0
	s_mov_b32 s76, exec_lo
	v_cmpx_gt_i32_e64 s75, v220
	s_cbranch_execz .LBB115_106
; %bb.105:                              ;   in Loop: Header=BB115_70 Depth=2
	v_add_nc_u64_e32 v[26:27], v[138:139], v[66:67]
	global_load_b64 v[176:177], v[26:27], off
.LBB115_106:                            ;   in Loop: Header=BB115_70 Depth=2
	s_wait_xcnt 0x0
	s_or_b32 exec_lo, exec_lo, s76
	v_cmp_gt_i32_e64 s76, s75, v221
	s_branch .LBB115_109
.LBB115_107:                            ;   in Loop: Header=BB115_70 Depth=2
	s_mov_b32 s76, 0
                                        ; implicit-def: $vgpr176_vgpr177
                                        ; implicit-def: $vgpr172_vgpr173
                                        ; implicit-def: $vgpr174_vgpr175
	s_cbranch_execz .LBB115_109
; %bb.108:                              ;   in Loop: Header=BB115_70 Depth=2
	v_add_nc_u64_e32 v[26:27], v[136:137], v[66:67]
	v_add_nc_u64_e32 v[28:29], v[140:141], v[66:67]
	s_or_b32 s76, s76, exec_lo
	s_wait_loadcnt 0x0
	global_load_b64 v[174:175], v[24:25], off
	global_load_b64 v[172:173], v[26:27], off
	;; [unrolled: 1-line block ×3, first 2 shown]
.LBB115_109:                            ;   in Loop: Header=BB115_70 Depth=2
	v_mov_b64_e32 v[178:179], 0
	s_wait_xcnt 0x0
	s_delay_alu instid0(VALU_DEP_2)
	s_and_saveexec_b32 s77, s76
	s_cbranch_execz .LBB115_111
; %bb.110:                              ;   in Loop: Header=BB115_70 Depth=2
	v_add_nc_u64_e32 v[24:25], v[142:143], v[66:67]
	global_load_b64 v[178:179], v[24:25], off
.LBB115_111:                            ;   in Loop: Header=BB115_70 Depth=2
	s_wait_xcnt 0x0
	s_or_b32 exec_lo, exec_lo, s77
	ds_load_b64 v[24:25], v209
	ds_load_b128 v[28:31], v198 offset:256
	v_cmp_ne_u32_e32 vcc_lo, 1, v40
	v_add_nc_u64_e32 v[40:41], v[144:145], v[66:67]
	s_and_b32 vcc_lo, exec_lo, vcc_lo
	s_wait_loadcnt_dscnt 0x1
	v_pk_mul_f32 v[26:27], v[24:25], v[174:175] op_sel:[0,1]
	v_pk_mul_f32 v[42:43], v[24:25], v[172:173] op_sel:[0,1]
	;; [unrolled: 1-line block ×4, first 2 shown]
	s_delay_alu instid0(VALU_DEP_4)
	v_pk_fma_f32 v[48:49], v[24:25], v[174:175], v[26:27] op_sel:[0,0,1] op_sel_hi:[1,1,0] neg_lo:[0,0,1] neg_hi:[0,0,1]
	v_pk_fma_f32 v[26:27], v[24:25], v[174:175], v[26:27] op_sel:[0,0,1] op_sel_hi:[1,0,0]
	v_pk_fma_f32 v[50:51], v[24:25], v[172:173], v[42:43] op_sel:[0,0,1] op_sel_hi:[1,1,0] neg_lo:[0,0,1] neg_hi:[0,0,1]
	v_pk_fma_f32 v[42:43], v[24:25], v[172:173], v[42:43] op_sel:[0,0,1] op_sel_hi:[1,0,0]
	;; [unrolled: 2-line block ×3, first 2 shown]
	v_pk_fma_f32 v[54:55], v[24:25], v[178:179], v[46:47] op_sel:[0,0,1] op_sel_hi:[1,0,0]
	v_pk_fma_f32 v[46:47], v[24:25], v[178:179], v[46:47] op_sel:[0,0,1] op_sel_hi:[1,1,0] neg_lo:[0,0,1] neg_hi:[0,0,1]
	v_dual_mov_b32 v49, v27 :: v_dual_mov_b32 v51, v43
	s_delay_alu instid0(VALU_DEP_3)
	v_dual_mov_b32 v53, v45 :: v_dual_mov_b32 v47, v55
	ds_load_b128 v[24:27], v198 offset:272
	ds_store_2addr_b64 v199, v[48:49], v[50:51] offset1:67
	ds_store_2addr_b64 v199, v[52:53], v[46:47] offset0:134 offset1:201
	s_wait_dscnt 0x0
	s_barrier_signal -1
	s_barrier_wait -1
	ds_load_2addr_b64 v[52:55], v200 offset1:1
	ds_load_2addr_b64 v[48:51], v200 offset0:2 offset1:3
	s_wait_dscnt 0x0
	s_barrier_signal -1
	s_barrier_wait -1
	s_cbranch_vccnz .LBB115_119
; %bb.112:                              ;   in Loop: Header=BB115_70 Depth=2
	v_mov_b64_e32 v[180:181], 0
	v_mov_b64_e32 v[182:183], 0
	s_mov_b32 s76, exec_lo
	v_cmpx_gt_i32_e64 s75, v222
	s_cbranch_execz .LBB115_114
; %bb.113:                              ;   in Loop: Header=BB115_70 Depth=2
	global_load_b64 v[182:183], v[40:41], off
.LBB115_114:                            ;   in Loop: Header=BB115_70 Depth=2
	s_wait_xcnt 0x0
	s_or_b32 exec_lo, exec_lo, s76
	s_delay_alu instid0(SALU_CYCLE_1)
	s_mov_b32 s76, exec_lo
	v_cmpx_gt_i32_e64 s75, v223
	s_cbranch_execz .LBB115_116
; %bb.115:                              ;   in Loop: Header=BB115_70 Depth=2
	v_add_nc_u64_e32 v[42:43], v[146:147], v[66:67]
	global_load_b64 v[180:181], v[42:43], off
.LBB115_116:                            ;   in Loop: Header=BB115_70 Depth=2
	s_wait_xcnt 0x0
	s_or_b32 exec_lo, exec_lo, s76
	v_mov_b64_e32 v[184:185], 0
	s_mov_b32 s76, exec_lo
	v_cmpx_gt_i32_e64 s75, v224
	s_cbranch_execz .LBB115_118
; %bb.117:                              ;   in Loop: Header=BB115_70 Depth=2
	v_add_nc_u64_e32 v[42:43], v[148:149], v[66:67]
	global_load_b64 v[184:185], v[42:43], off
.LBB115_118:                            ;   in Loop: Header=BB115_70 Depth=2
	s_wait_xcnt 0x0
	s_or_b32 exec_lo, exec_lo, s76
	v_cmp_gt_i32_e64 s76, s75, v57
	s_branch .LBB115_121
.LBB115_119:                            ;   in Loop: Header=BB115_70 Depth=2
	s_mov_b32 s76, 0
                                        ; implicit-def: $vgpr184_vgpr185
                                        ; implicit-def: $vgpr180_vgpr181
                                        ; implicit-def: $vgpr182_vgpr183
	s_cbranch_execz .LBB115_121
; %bb.120:                              ;   in Loop: Header=BB115_70 Depth=2
	v_add_nc_u64_e32 v[42:43], v[146:147], v[66:67]
	v_add_nc_u64_e32 v[44:45], v[150:151], v[66:67]
	s_or_b32 s76, s76, exec_lo
	s_wait_loadcnt 0x0
	global_load_b64 v[182:183], v[40:41], off
	global_load_b64 v[180:181], v[42:43], off
	;; [unrolled: 1-line block ×3, first 2 shown]
.LBB115_121:                            ;   in Loop: Header=BB115_70 Depth=2
	v_mov_b64_e32 v[186:187], 0
	s_wait_xcnt 0x0
	s_delay_alu instid0(VALU_DEP_2)
	s_and_saveexec_b32 s77, s76
	s_cbranch_execz .LBB115_123
; %bb.122:                              ;   in Loop: Header=BB115_70 Depth=2
	v_add_nc_u64_e32 v[40:41], v[152:153], v[66:67]
	global_load_b64 v[186:187], v[40:41], off
.LBB115_123:                            ;   in Loop: Header=BB115_70 Depth=2
	s_wait_xcnt 0x0
	s_or_b32 exec_lo, exec_lo, s77
	ds_load_b64 v[44:45], v209
	ds_load_b128 v[40:43], v198 offset:384
	v_pk_add_f32 v[36:37], v[36:37], 0 op_sel_hi:[1,0]
	v_pk_add_f32 v[20:21], v[20:21], 0 op_sel_hi:[1,0]
	;; [unrolled: 1-line block ×3, first 2 shown]
	v_cmp_gt_i32_e32 vcc_lo, s75, v188
	s_delay_alu instid0(VALU_DEP_4) | instskip(NEXT) | instid1(VALU_DEP_4)
	v_pk_add_f32 v[36:37], v[36:37], v[38:39]
	v_pk_add_f32 v[20:21], v[20:21], v[22:23]
	s_delay_alu instid0(VALU_DEP_4) | instskip(SKIP_1) | instid1(VALU_DEP_3)
	v_pk_add_f32 v[52:53], v[52:53], v[54:55]
	s_or_b32 s67, s67, vcc_lo
	v_pk_add_f32 v[32:33], v[36:37], v[32:33]
	s_delay_alu instid0(VALU_DEP_3) | instskip(NEXT) | instid1(VALU_DEP_3)
	v_pk_add_f32 v[16:17], v[20:21], v[16:17]
	v_pk_add_f32 v[38:39], v[52:53], v[48:49]
	s_and_b32 s75, s17, s67
	s_delay_alu instid0(VALU_DEP_3) | instskip(NEXT) | instid1(VALU_DEP_3)
	v_pk_add_f32 v[32:33], v[32:33], v[34:35]
	v_pk_add_f32 v[16:17], v[16:17], v[18:19]
	s_wait_loadcnt_dscnt 0x1
	v_pk_mul_f32 v[46:47], v[44:45], v[182:183] op_sel:[0,1]
	v_pk_mul_f32 v[226:227], v[44:45], v[180:181] op_sel:[0,1]
	;; [unrolled: 1-line block ×4, first 2 shown]
	s_delay_alu instid0(VALU_DEP_4)
	v_pk_fma_f32 v[232:233], v[44:45], v[182:183], v[46:47] op_sel:[0,0,1] op_sel_hi:[1,1,0] neg_lo:[0,0,1] neg_hi:[0,0,1]
	v_pk_fma_f32 v[46:47], v[44:45], v[182:183], v[46:47] op_sel:[0,0,1] op_sel_hi:[1,0,0]
	v_pk_fma_f32 v[234:235], v[44:45], v[180:181], v[226:227] op_sel:[0,0,1] op_sel_hi:[1,1,0] neg_lo:[0,0,1] neg_hi:[0,0,1]
	v_pk_fma_f32 v[226:227], v[44:45], v[180:181], v[226:227] op_sel:[0,0,1] op_sel_hi:[1,0,0]
	;; [unrolled: 2-line block ×3, first 2 shown]
	v_pk_fma_f32 v[238:239], v[44:45], v[186:187], v[230:231] op_sel:[0,0,1] op_sel_hi:[1,0,0]
	v_pk_fma_f32 v[230:231], v[44:45], v[186:187], v[230:231] op_sel:[0,0,1] op_sel_hi:[1,1,0] neg_lo:[0,0,1] neg_hi:[0,0,1]
	v_dual_mov_b32 v233, v47 :: v_dual_mov_b32 v235, v227
	s_delay_alu instid0(VALU_DEP_3)
	v_dual_mov_b32 v237, v229 :: v_dual_mov_b32 v231, v239
	ds_load_b128 v[44:47], v198 offset:400
	ds_store_2addr_b64 v199, v[232:233], v[234:235] offset1:67
	ds_store_2addr_b64 v199, v[236:237], v[230:231] offset0:134 offset1:201
	s_wait_dscnt 0x0
	s_barrier_signal -1
	s_barrier_wait -1
	ds_load_2addr_b64 v[226:229], v200 offset1:1
	ds_load_2addr_b64 v[230:233], v200 offset0:2 offset1:3
	s_wait_dscnt 0x0
	s_barrier_signal -1
	s_barrier_wait -1
	v_pk_add_f32 v[226:227], v[226:227], 0 op_sel_hi:[1,0]
	s_delay_alu instid0(VALU_DEP_1) | instskip(NEXT) | instid1(VALU_DEP_1)
	v_pk_add_f32 v[22:23], v[226:227], v[228:229]
	v_pk_add_f32 v[20:21], v[22:23], v[230:231]
	;; [unrolled: 1-line block ×3, first 2 shown]
	s_delay_alu instid0(VALU_DEP_2)
	v_pk_add_f32 v[18:19], v[20:21], v[232:233]
	ds_store_2addr_b64 v206, v[16:17], v[32:33] offset1:16
	ds_store_2addr_b64 v206, v[22:23], v[18:19] offset0:32 offset1:48
	s_wait_dscnt 0x0
	s_barrier_signal -1
	s_barrier_wait -1
	s_and_saveexec_b32 s67, s75
	s_cbranch_execz .LBB115_69
; %bb.124:                              ;   in Loop: Header=BB115_70 Depth=2
	ds_load_b64 v[36:37], v201
	ds_load_2addr_b64 v[16:19], v201 offset0:1 offset1:2
	ds_load_2addr_b64 v[20:23], v201 offset0:3 offset1:4
	;; [unrolled: 1-line block ×3, first 2 shown]
	s_wait_dscnt 0x2
	v_dual_add_f32 v16, v16, v36 :: v_dual_add_f32 v17, v17, v37
	s_delay_alu instid0(VALU_DEP_1) | instskip(SKIP_3) | instid1(VALU_DEP_1)
	v_dual_add_f32 v36, v18, v16 :: v_dual_add_f32 v37, v19, v17
	ds_load_2addr_b64 v[16:19], v201 offset0:7 offset1:8
	s_wait_dscnt 0x2
	v_dual_add_f32 v20, v36, v20 :: v_dual_add_f32 v21, v37, v21
	v_dual_add_f32 v36, v20, v22 :: v_dual_add_f32 v37, v21, v23
	ds_load_2addr_b64 v[20:23], v201 offset0:9 offset1:10
	s_wait_dscnt 0x2
	v_pk_add_f32 v[32:33], v[36:37], v[32:33]
	s_delay_alu instid0(VALU_DEP_1) | instskip(SKIP_3) | instid1(VALU_DEP_1)
	v_pk_add_f32 v[36:37], v[32:33], v[34:35]
	ds_load_2addr_b64 v[32:35], v201 offset0:11 offset1:12
	s_wait_dscnt 0x2
	v_pk_add_f32 v[16:17], v[36:37], v[16:17]
	v_pk_add_f32 v[16:17], v[16:17], v[18:19]
	s_wait_dscnt 0x1
	s_delay_alu instid0(VALU_DEP_1)
	v_pk_add_f32 v[20:21], v[16:17], v[20:21]
	ds_load_2addr_b64 v[16:19], v201 offset0:13 offset1:14
	v_pk_add_f32 v[20:21], v[20:21], v[22:23]
	ds_load_b64 v[22:23], v202
	s_wait_dscnt 0x2
	v_pk_add_f32 v[20:21], v[20:21], v[32:33]
	s_delay_alu instid0(VALU_DEP_1) | instskip(SKIP_1) | instid1(VALU_DEP_1)
	v_pk_add_f32 v[20:21], v[20:21], v[34:35]
	s_wait_dscnt 0x1
	v_pk_add_f32 v[16:17], v[20:21], v[16:17]
	s_delay_alu instid0(VALU_DEP_1) | instskip(SKIP_1) | instid1(VALU_DEP_1)
	v_pk_add_f32 v[16:17], v[16:17], v[18:19]
	s_wait_dscnt 0x0
	v_pk_add_f32 v[16:17], v[16:17], v[22:23]
	global_store_b64 v62, v[16:17], s[18:19] scale_offset
	s_branch .LBB115_69
.LBB115_125:                            ;   in Loop: Header=BB115_4 Depth=1
	ds_store_b64 v203, v[112:113]
	s_wait_dscnt 0x0
	s_barrier_signal -1
	s_barrier_wait -1
	s_and_saveexec_b32 s66, s72
	s_cbranch_execz .LBB115_2
; %bb.126:                              ;   in Loop: Header=BB115_4 Depth=1
	ds_load_2addr_b64 v[0:3], v189 offset1:67
	ds_load_2addr_b64 v[4:7], v189 offset0:134 offset1:201
	s_wait_dscnt 0x1
	v_pk_add_f32 v[0:1], v[2:3], v[0:1]
	v_lshl_add_u64 v[2:3], v[58:59], 3, s[18:19]
	s_wait_dscnt 0x0
	s_delay_alu instid0(VALU_DEP_2) | instskip(NEXT) | instid1(VALU_DEP_1)
	v_pk_add_f32 v[0:1], v[4:5], v[0:1]
	v_pk_add_f32 v[0:1], v[0:1], v[6:7]
	global_store_b64 v[2:3], v[0:1], off
	s_branch .LBB115_2
.LBB115_127:                            ;   in Loop: Header=BB115_4 Depth=1
	ds_load_b64 v[2:3], v207
	s_wait_dscnt 0x0
	ds_store_b64 v193, v[2:3]
	s_or_b32 exec_lo, exec_lo, s18
	s_and_saveexec_b32 s18, s7
	s_cbranch_execz .LBB115_27
.LBB115_128:                            ;   in Loop: Header=BB115_4 Depth=1
	ds_load_b64 v[2:3], v208
	s_wait_dscnt 0x0
	ds_store_b64 v193, v[2:3] offset:8
	s_or_b32 exec_lo, exec_lo, s18
	s_and_saveexec_b32 s18, s8
	s_cbranch_execz .LBB115_28
.LBB115_129:                            ;   in Loop: Header=BB115_4 Depth=1
	ds_load_b64 v[2:3], v208 offset:264
	s_wait_dscnt 0x0
	ds_store_b64 v193, v[2:3] offset:16
	s_or_b32 exec_lo, exec_lo, s18
	s_and_saveexec_b32 s18, s9
	s_cbranch_execnz .LBB115_29
	s_branch .LBB115_30
.LBB115_130:                            ;   in Loop: Header=BB115_4 Depth=1
	ds_load_b64 v[2:3], v207
	s_wait_dscnt 0x0
	ds_store_b64 v193, v[2:3]
	s_or_b32 exec_lo, exec_lo, s18
	s_and_saveexec_b32 s18, s7
	s_cbranch_execz .LBB115_46
.LBB115_131:                            ;   in Loop: Header=BB115_4 Depth=1
	ds_load_b64 v[2:3], v208
	s_wait_dscnt 0x0
	ds_store_b64 v193, v[2:3] offset:8
	s_or_b32 exec_lo, exec_lo, s18
	s_and_saveexec_b32 s18, s8
	s_cbranch_execz .LBB115_47
.LBB115_132:                            ;   in Loop: Header=BB115_4 Depth=1
	ds_load_b64 v[2:3], v208 offset:264
	s_wait_dscnt 0x0
	ds_store_b64 v193, v[2:3] offset:16
	s_or_b32 exec_lo, exec_lo, s18
	s_and_saveexec_b32 s18, s9
	s_cbranch_execnz .LBB115_48
	s_branch .LBB115_49
.LBB115_133:
	s_sendmsg sendmsg(MSG_DEALLOC_VGPRS)
	s_endpgm
	.section	.rodata,"a",@progbits
	.p2align	6, 0x0
	.amdhsa_kernel _ZL26rocblas_hemvn_kernel_upperILb0ELi64ELi4ELi33ELi32ELi16EiPK19rocblas_complex_numIfES3_PS1_EviT6_lT7_lT5_lS6_lS7_lS5_lT8_i
		.amdhsa_group_segment_fixed_size 9600
		.amdhsa_private_segment_fixed_size 0
		.amdhsa_kernarg_size 376
		.amdhsa_user_sgpr_count 2
		.amdhsa_user_sgpr_dispatch_ptr 0
		.amdhsa_user_sgpr_queue_ptr 0
		.amdhsa_user_sgpr_kernarg_segment_ptr 1
		.amdhsa_user_sgpr_dispatch_id 0
		.amdhsa_user_sgpr_kernarg_preload_length 0
		.amdhsa_user_sgpr_kernarg_preload_offset 0
		.amdhsa_user_sgpr_private_segment_size 0
		.amdhsa_wavefront_size32 1
		.amdhsa_uses_dynamic_stack 0
		.amdhsa_enable_private_segment 0
		.amdhsa_system_sgpr_workgroup_id_x 1
		.amdhsa_system_sgpr_workgroup_id_y 0
		.amdhsa_system_sgpr_workgroup_id_z 1
		.amdhsa_system_sgpr_workgroup_info 0
		.amdhsa_system_vgpr_workitem_id 1
		.amdhsa_next_free_vgpr 240
		.amdhsa_next_free_sgpr 82
		.amdhsa_named_barrier_count 0
		.amdhsa_reserve_vcc 1
		.amdhsa_float_round_mode_32 0
		.amdhsa_float_round_mode_16_64 0
		.amdhsa_float_denorm_mode_32 3
		.amdhsa_float_denorm_mode_16_64 3
		.amdhsa_fp16_overflow 0
		.amdhsa_memory_ordered 1
		.amdhsa_forward_progress 1
		.amdhsa_inst_pref_size 68
		.amdhsa_round_robin_scheduling 0
		.amdhsa_exception_fp_ieee_invalid_op 0
		.amdhsa_exception_fp_denorm_src 0
		.amdhsa_exception_fp_ieee_div_zero 0
		.amdhsa_exception_fp_ieee_overflow 0
		.amdhsa_exception_fp_ieee_underflow 0
		.amdhsa_exception_fp_ieee_inexact 0
		.amdhsa_exception_int_div_zero 0
	.end_amdhsa_kernel
	.section	.text._ZL26rocblas_hemvn_kernel_upperILb0ELi64ELi4ELi33ELi32ELi16EiPK19rocblas_complex_numIfES3_PS1_EviT6_lT7_lT5_lS6_lS7_lS5_lT8_i,"axG",@progbits,_ZL26rocblas_hemvn_kernel_upperILb0ELi64ELi4ELi33ELi32ELi16EiPK19rocblas_complex_numIfES3_PS1_EviT6_lT7_lT5_lS6_lS7_lS5_lT8_i,comdat
.Lfunc_end115:
	.size	_ZL26rocblas_hemvn_kernel_upperILb0ELi64ELi4ELi33ELi32ELi16EiPK19rocblas_complex_numIfES3_PS1_EviT6_lT7_lT5_lS6_lS7_lS5_lT8_i, .Lfunc_end115-_ZL26rocblas_hemvn_kernel_upperILb0ELi64ELi4ELi33ELi32ELi16EiPK19rocblas_complex_numIfES3_PS1_EviT6_lT7_lT5_lS6_lS7_lS5_lT8_i
                                        ; -- End function
	.set _ZL26rocblas_hemvn_kernel_upperILb0ELi64ELi4ELi33ELi32ELi16EiPK19rocblas_complex_numIfES3_PS1_EviT6_lT7_lT5_lS6_lS7_lS5_lT8_i.num_vgpr, 240
	.set _ZL26rocblas_hemvn_kernel_upperILb0ELi64ELi4ELi33ELi32ELi16EiPK19rocblas_complex_numIfES3_PS1_EviT6_lT7_lT5_lS6_lS7_lS5_lT8_i.num_agpr, 0
	.set _ZL26rocblas_hemvn_kernel_upperILb0ELi64ELi4ELi33ELi32ELi16EiPK19rocblas_complex_numIfES3_PS1_EviT6_lT7_lT5_lS6_lS7_lS5_lT8_i.numbered_sgpr, 82
	.set _ZL26rocblas_hemvn_kernel_upperILb0ELi64ELi4ELi33ELi32ELi16EiPK19rocblas_complex_numIfES3_PS1_EviT6_lT7_lT5_lS6_lS7_lS5_lT8_i.num_named_barrier, 0
	.set _ZL26rocblas_hemvn_kernel_upperILb0ELi64ELi4ELi33ELi32ELi16EiPK19rocblas_complex_numIfES3_PS1_EviT6_lT7_lT5_lS6_lS7_lS5_lT8_i.private_seg_size, 0
	.set _ZL26rocblas_hemvn_kernel_upperILb0ELi64ELi4ELi33ELi32ELi16EiPK19rocblas_complex_numIfES3_PS1_EviT6_lT7_lT5_lS6_lS7_lS5_lT8_i.uses_vcc, 1
	.set _ZL26rocblas_hemvn_kernel_upperILb0ELi64ELi4ELi33ELi32ELi16EiPK19rocblas_complex_numIfES3_PS1_EviT6_lT7_lT5_lS6_lS7_lS5_lT8_i.uses_flat_scratch, 0
	.set _ZL26rocblas_hemvn_kernel_upperILb0ELi64ELi4ELi33ELi32ELi16EiPK19rocblas_complex_numIfES3_PS1_EviT6_lT7_lT5_lS6_lS7_lS5_lT8_i.has_dyn_sized_stack, 0
	.set _ZL26rocblas_hemvn_kernel_upperILb0ELi64ELi4ELi33ELi32ELi16EiPK19rocblas_complex_numIfES3_PS1_EviT6_lT7_lT5_lS6_lS7_lS5_lT8_i.has_recursion, 0
	.set _ZL26rocblas_hemvn_kernel_upperILb0ELi64ELi4ELi33ELi32ELi16EiPK19rocblas_complex_numIfES3_PS1_EviT6_lT7_lT5_lS6_lS7_lS5_lT8_i.has_indirect_call, 0
	.section	.AMDGPU.csdata,"",@progbits
; Kernel info:
; codeLenInByte = 8612
; TotalNumSgprs: 84
; NumVgprs: 240
; ScratchSize: 0
; MemoryBound: 1
; FloatMode: 240
; IeeeMode: 1
; LDSByteSize: 9600 bytes/workgroup (compile time only)
; SGPRBlocks: 0
; VGPRBlocks: 14
; NumSGPRsForWavesPerEU: 84
; NumVGPRsForWavesPerEU: 240
; NamedBarCnt: 0
; Occupancy: 4
; WaveLimiterHint : 0
; COMPUTE_PGM_RSRC2:SCRATCH_EN: 0
; COMPUTE_PGM_RSRC2:USER_SGPR: 2
; COMPUTE_PGM_RSRC2:TRAP_HANDLER: 0
; COMPUTE_PGM_RSRC2:TGID_X_EN: 1
; COMPUTE_PGM_RSRC2:TGID_Y_EN: 0
; COMPUTE_PGM_RSRC2:TGID_Z_EN: 1
; COMPUTE_PGM_RSRC2:TIDIG_COMP_CNT: 1
	.section	.text._ZL26rocblas_hemvn_kernel_upperILb0ELi64ELi4ELi33ELi32ELi16El19rocblas_complex_numIfEPKS1_PS1_EviT6_lT7_lT5_lS6_lS7_lS5_lT8_i,"axG",@progbits,_ZL26rocblas_hemvn_kernel_upperILb0ELi64ELi4ELi33ELi32ELi16El19rocblas_complex_numIfEPKS1_PS1_EviT6_lT7_lT5_lS6_lS7_lS5_lT8_i,comdat
	.globl	_ZL26rocblas_hemvn_kernel_upperILb0ELi64ELi4ELi33ELi32ELi16El19rocblas_complex_numIfEPKS1_PS1_EviT6_lT7_lT5_lS6_lS7_lS5_lT8_i ; -- Begin function _ZL26rocblas_hemvn_kernel_upperILb0ELi64ELi4ELi33ELi32ELi16El19rocblas_complex_numIfEPKS1_PS1_EviT6_lT7_lT5_lS6_lS7_lS5_lT8_i
	.p2align	8
	.type	_ZL26rocblas_hemvn_kernel_upperILb0ELi64ELi4ELi33ELi32ELi16El19rocblas_complex_numIfEPKS1_PS1_EviT6_lT7_lT5_lS6_lS7_lS5_lT8_i,@function
_ZL26rocblas_hemvn_kernel_upperILb0ELi64ELi4ELi33ELi32ELi16El19rocblas_complex_numIfEPKS1_PS1_EviT6_lT7_lT5_lS6_lS7_lS5_lT8_i: ; @_ZL26rocblas_hemvn_kernel_upperILb0ELi64ELi4ELi33ELi32ELi16El19rocblas_complex_numIfEPKS1_PS1_EviT6_lT7_lT5_lS6_lS7_lS5_lT8_i
; %bb.0:
	s_clause 0x1
	s_load_b64 s[4:5], s[0:1], 0x84
	s_load_b32 s33, s[0:1], 0x70
	s_bfe_u32 s2, ttmp6, 0x40014
	s_lshr_b32 s3, ttmp7, 16
	s_add_co_i32 s2, s2, 1
	s_bfe_u32 s6, ttmp6, 0x40008
	s_mul_i32 s7, s3, s2
	s_getreg_b32 s2, hwreg(HW_REG_IB_STS2, 6, 4)
	s_add_co_i32 s6, s6, s7
	s_mov_b32 s35, 0
	s_wait_kmcnt 0x0
	s_lshr_b32 s7, s4, 16
	s_and_b32 s4, s4, 0xffff
	s_and_b32 s5, s5, 0xffff
	s_mul_i32 s4, s7, s4
	s_cmp_eq_u32 s2, 0
	s_mul_i32 s4, s4, s5
	s_cselect_b32 s34, s3, s6
	s_cmp_lg_u32 s4, 0x100
	s_cselect_b32 s3, -1, 0
	s_cmp_ge_u32 s34, s33
	s_cselect_b32 s4, -1, 0
	s_delay_alu instid0(SALU_CYCLE_1) | instskip(NEXT) | instid1(SALU_CYCLE_1)
	s_or_b32 s3, s3, s4
	s_and_b32 vcc_lo, exec_lo, s3
	s_cbranch_vccnz .LBB116_131
; %bb.1:
	s_clause 0x4
	s_load_b32 s6, s[0:1], 0x0
	s_load_b64 s[4:5], s[0:1], 0x4
	s_load_b512 s[16:31], s[0:1], 0x18
	s_load_b64 s[8:9], s[0:1], 0x68
	s_load_b64 s[12:13], s[0:1], 0x58
	s_bfe_u32 s7, ttmp6, 0x4000c
	s_add_nc_u64 s[10:11], s[0:1], 0x78
	s_add_co_i32 s7, s7, 1
	s_and_b32 s3, ttmp6, 15
	s_wait_xcnt 0x0
	s_mul_i32 s0, ttmp9, s7
	v_and_b32_e32 v172, 0x3ff, v0
	s_add_co_i32 s3, s3, s0
	v_bfe_u32 v1, v0, 10, 10
	v_dual_mov_b32 v59, 0 :: v_dual_bitop2_b32 v56, 31, v0 bitop3:0x40
	s_load_b32 s36, s[10:11], 0x0
	s_mov_b32 s37, s35
	s_delay_alu instid0(VALU_DEP_2)
	v_lshl_add_u32 v36, v1, 6, v172
	v_dual_lshlrev_b32 v60, 3, v172 :: v_dual_lshlrev_b32 v58, 5, v1
	v_mov_b32_e32 v57, v59
	s_wait_kmcnt 0x0
	s_ashr_i32 s7, s6, 31
	s_cmp_eq_u32 s2, 0
	v_lshrrev_b32_e32 v37, 5, v36
	s_cselect_b32 s38, ttmp9, s3
	s_or_b32 s0, s4, s5
	s_lshl_b64 s[2:3], s[26:27], 3
	s_bitset0_b32 s0, 31
	s_lshl_b64 s[4:5], s[18:19], 3
	s_cmp_lg_u32 s0, 0
	v_mad_nc_u64_u32 v[2:3], s20, v37, v[56:57]
	s_cselect_b32 s54, -1, 0
	s_cmp_neq_f32 s12, 1.0
	s_add_nc_u64 s[10:11], s[24:25], s[2:3]
	v_dual_lshlrev_b32 v38, 3, v56 :: v_dual_add_nc_u32 v40, 8, v37
	s_cselect_b32 s50, -1, 0
	s_cmp_neq_f32 s13, 0
	s_mul_u64 s[18:19], s[36:37], s[6:7]
	s_add_nc_u64 s[12:13], s[16:17], s[4:5]
	v_add_nc_u32_e32 v41, 16, v37
	s_cselect_b32 s51, -1, 0
	s_lshl_b32 s56, s38, 6
	s_lshr_b32 s1, s7, 26
	v_dual_add_nc_u32 v62, s56, v172 :: v_dual_lshlrev_b32 v42, 2, v37
	s_add_co_i32 s1, s6, s1
	v_mad_u32 v3, s21, v37, v3
	s_and_not1_b32 s1, s1, 63
	s_delay_alu instid0(VALU_DEP_2)
	v_ashrrev_i32_e32 v63, 31, v62
	s_add_co_i32 s2, s36, -1
	s_sub_co_i32 s37, s6, s1
	s_cmp_eq_u32 s38, s2
	v_dual_add_nc_u32 v43, 24, v37 :: v_dual_bitop2_b32 v8, 2, v42 bitop3:0x54
	v_mul_u64_e32 v[4:5], s[28:29], v[62:63]
	s_cselect_b32 s24, s37, 0
	v_lshl_or_b32 v173, v56, 8, v38
	s_cmp_lg_u32 s24, 0
	v_lshlrev_b64_e32 v[2:3], 3, v[2:3]
	s_cselect_b32 s60, -1, 0
	s_cmp_eq_u32 s24, 0
	v_cmp_gt_i32_e32 vcc_lo, s24, v172
	s_cselect_b32 s5, -1, 0
	s_ashr_i32 s57, s56, 31
	s_ashr_i32 s39, s38, 31
	s_lshl_b64 s[14:15], s[56:57], 3
	v_and_b32_e32 v44, 0x7fe0, v36
	s_add_nc_u64 s[12:13], s[12:13], s[14:15]
	v_or_b32_e32 v9, 3, v42
	v_add_nc_u64_e32 v[6:7], s[12:13], v[2:3]
	s_mul_u64 s[6:7], s[6:7], s[38:39]
	s_mul_u64 s[12:13], s[20:21], s[56:57]
	s_lshl_b64 s[6:7], s[6:7], 3
	s_or_b32 s52, s5, vcc_lo
	s_add_nc_u64 s[40:41], s[8:9], s[6:7]
	v_cmp_gt_u32_e64 s5, v8, v56
	v_lshl_add_u64 v[64:65], s[12:13], 3, v[6:7]
	v_add_nc_u64_e32 v[6:7], 0x110, v[58:59]
	v_add_nc_u64_e32 v[10:11], 0x118, v[58:59]
	;; [unrolled: 1-line block ×9, first 2 shown]
	v_lshl_add_u64 v[66:67], v[4:5], 3, s[10:11]
	v_add_nc_u64_e32 v[4:5], 0x100, v[58:59]
	v_add_nc_u64_e32 v[26:27], 0x218, v[58:59]
	;; [unrolled: 1-line block ×6, first 2 shown]
	v_add_nc_u32_e32 v174, v173, v44
	v_cmp_gt_u32_e64 s6, v9, v56
	v_add_nc_u64_e32 v[8:9], 0x108, v[58:59]
	v_mul_u64_e32 v[4:5], s[20:21], v[4:5]
	v_mul_u64_e32 v[6:7], s[20:21], v[6:7]
	;; [unrolled: 1-line block ×16, first 2 shown]
	s_sub_co_i32 s16, s24, 32
	v_cmp_gt_i32_e64 s4, s24, v41
	v_cmp_gt_i32_e64 s7, s24, v43
	v_cmp_gt_u32_e64 s8, v42, v56
	v_cmp_ge_u32_e64 s10, v42, v56
	v_or_b32_e32 v42, 1, v42
	v_cmp_gt_i32_e64 s13, s16, v41
	v_cmp_gt_i32_e64 s14, s16, v43
	v_lshrrev_b32_e32 v41, 4, v36
	v_and_b32_e32 v43, 15, v0
	v_and_b32_e32 v0, 48, v0
	v_or_b32_e32 v45, 32, v56
	v_mul_u32_u24_e32 v39, 0x108, v37
	v_cmp_gt_i32_e64 s3, s24, v40
	v_cmp_gt_i32_e64 s11, s16, v40
	v_mul_u32_u24_e32 v40, 33, v56
	v_sub_nc_u64_e32 v[68:69], v[4:5], v[2:3]
	v_sub_nc_u64_e32 v[70:71], v[6:7], v[2:3]
	;; [unrolled: 1-line block ×16, first 2 shown]
	v_lshlrev_b32_e32 v2, 5, v41
	v_dual_lshlrev_b32 v4, 3, v37 :: v_dual_lshlrev_b32 v0, 3, v0
	v_or_b32_e32 v3, 0x78, v60
	v_lshlrev_b32_e32 v184, 2, v1
	s_delay_alu instid0(VALU_DEP_4)
	v_mad_u32_u24 v175, 0x218, v43, v2
	v_mul_u32_u24_e32 v2, 0x108, v42
	v_mad_u32_u24 v176, 0x218, v43, v0
	v_mul_u32_u24_e32 v0, 0x420, v37
	v_add_nc_u32_e32 v181, v38, v39
	s_add_co_i32 s53, s38, 1
	v_add_nc_u32_e32 v183, v38, v2
	v_cmp_eq_u32_e64 s0, 0, v1
	v_add_nc_u32_e32 v182, v38, v0
	v_mul_i32_i24_e32 v0, 0xffffffe8, v41
	s_ashr_i32 s25, s24, 31
	s_lshl_b64 s[26:27], s[20:21], 6
	s_xor_b32 s39, s52, -1
	s_lshl_b64 s[42:43], s[20:21], 7
	s_lshl_b64 s[46:47], s[20:21], 5
	v_sub_nc_u64_e32 v[100:101], 0, v[56:57]
	v_mov_b64_e32 v[102:103], 0
	s_cmp_lt_u32 s53, s36
	v_cmp_gt_i32_e64 s1, s24, v56
	v_cmp_gt_i32_e64 s2, s24, v37
	;; [unrolled: 1-line block ×3, first 2 shown]
	v_cmp_gt_u32_e64 s12, 32, v36
	v_cmp_gt_u32_e64 s15, 64, v36
	v_mad_u32_u24 v177, 0x218, v43, v3
	v_dual_mov_b32 v61, v59 :: v_dual_add_nc_u32 v178, 0x2380, v44
	v_lshl_add_u32 v179, v40, 3, v4
	v_cmp_gt_i32_e64 s16, s16, v37
	v_cmp_eq_u32_e64 s17, 1, v37
	v_mul_i32_i24_e32 v180, 0xffffffe8, v37
	v_mad_u32_u24 v185, 0x860, v1, v60
	v_mad_u32_u24 v186, 0x218, v1, v60
	v_cndmask_b32_e64 v187, 0, 1, s54
	v_add_nc_u32_e32 v188, v173, v4
	v_add_nc_u32_e32 v189, 0x2380, v4
	;; [unrolled: 1-line block ×6, first 2 shown]
	v_dual_add_nc_u32 v197, 16, v184 :: v_dual_bitop2_b32 v194, 1, v184 bitop3:0x54
	v_dual_add_nc_u32 v198, 17, v184 :: v_dual_bitop2_b32 v195, 2, v184 bitop3:0x54
	;; [unrolled: 1-line block ×3, first 2 shown]
	v_dual_add_nc_u32 v200, 19, v184 :: v_dual_add_nc_u32 v201, 32, v184
	v_dual_add_nc_u32 v202, 33, v184 :: v_dual_add_nc_u32 v203, 34, v184
	v_dual_add_nc_u32 v204, 35, v184 :: v_dual_add_nc_u32 v205, 48, v184
	v_dual_add_nc_u32 v206, 49, v184 :: v_dual_add_nc_u32 v207, 50, v184
	v_add_nc_u32_e32 v208, 51, v184
	s_mul_u64 s[48:49], s[28:29], s[56:57]
	s_cselect_b32 s61, -1, 0
	s_or_b32 s55, s50, s51
	s_mul_u64 s[44:45], s[20:21], 0xc0
	s_sub_nc_u64 s[48:49], 0, s[48:49]
	s_add_co_i32 s62, s36, -2
	s_and_b32 s63, s0, s52
	s_mov_b64 s[50:51], 0xffffffffffffff00
	s_mov_b64 s[52:53], 0xfffffffffffffef8
	s_or_b32 s64, s55, s54
	s_sub_nc_u64 s[54:55], 0, s[24:25]
	s_add_co_i32 s65, s56, 64
	s_lshl_b64 s[20:21], s[20:21], 9
	s_branch .LBB116_4
.LBB116_2:                              ;   in Loop: Header=BB116_4 Depth=1
	s_wait_xcnt 0x0
	s_or_b32 exec_lo, exec_lo, s58
.LBB116_3:                              ;   in Loop: Header=BB116_4 Depth=1
	s_add_co_i32 s34, s34, 0x10000
	s_delay_alu instid0(SALU_CYCLE_1)
	s_cmp_lt_u32 s34, s33
	s_cbranch_scc0 .LBB116_131
.LBB116_4:                              ; =>This Loop Header: Depth=1
                                        ;     Child Loop BB116_68 Depth 2
	s_and_not1_b32 vcc_lo, exec_lo, s64
	s_cbranch_vccnz .LBB116_3
; %bb.5:                                ;   in Loop: Header=BB116_4 Depth=1
	v_cmp_ne_u32_e32 vcc_lo, 1, v187
	s_cbranch_vccnz .LBB116_3
; %bb.6:                                ;   in Loop: Header=BB116_4 Depth=1
	s_mul_u64 s[56:57], s[30:31], s[34:35]
	s_delay_alu instid0(SALU_CYCLE_1)
	v_lshl_add_u64 v[12:13], s[56:57], 3, v[66:67]
	s_and_saveexec_b32 s56, s0
	s_cbranch_execz .LBB116_11
; %bb.7:                                ;   in Loop: Header=BB116_4 Depth=1
	s_and_saveexec_b32 s57, s39
	s_delay_alu instid0(SALU_CYCLE_1)
	s_xor_b32 s57, exec_lo, s57
; %bb.8:                                ;   in Loop: Header=BB116_4 Depth=1
	ds_store_b64 v191, v[102:103]
; %bb.9:                                ;   in Loop: Header=BB116_4 Depth=1
	s_and_not1_saveexec_b32 s57, s57
	s_cbranch_execz .LBB116_11
; %bb.10:                               ;   in Loop: Header=BB116_4 Depth=1
	global_load_b64 v[0:1], v[12:13], off
	s_wait_loadcnt 0x0
	ds_store_b64 v191, v[0:1]
.LBB116_11:                             ;   in Loop: Header=BB116_4 Depth=1
	s_wait_xcnt 0x0
	s_or_b32 exec_lo, exec_lo, s56
	s_mul_u64 s[56:57], s[22:23], s[34:35]
	s_and_b32 vcc_lo, exec_lo, s60
	v_lshl_add_u64 v[2:3], s[56:57], 3, v[64:65]
	s_mov_b32 s56, -1
                                        ; implicit-def: $vgpr0_vgpr1
	s_cbranch_vccz .LBB116_21
; %bb.12:                               ;   in Loop: Header=BB116_4 Depth=1
	s_delay_alu instid0(VALU_DEP_1) | instskip(SKIP_2) | instid1(VALU_DEP_3)
	v_lshl_add_u64 v[0:1], v[100:101], 3, v[2:3]
	v_dual_mov_b32 v6, 0 :: v_dual_mov_b32 v4, 0
	v_mov_b32_e32 v5, 0
	v_lshl_add_u64 v[0:1], s[24:25], 3, v[0:1]
	s_delay_alu instid0(VALU_DEP_1) | instskip(NEXT) | instid1(VALU_DEP_1)
	v_add_nc_u64_e32 v[0:1], -8, v[0:1]
	v_dual_cndmask_b32 v1, v1, v3, s1 :: v_dual_cndmask_b32 v0, v0, v2, s1
	s_and_saveexec_b32 s56, s2
	s_cbranch_execz .LBB116_14
; %bb.13:                               ;   in Loop: Header=BB116_4 Depth=1
	global_load_b64 v[4:5], v[0:1], off
.LBB116_14:                             ;   in Loop: Header=BB116_4 Depth=1
	s_wait_xcnt 0x0
	s_or_b32 exec_lo, exec_lo, s56
	v_mov_b32_e32 v7, 0
	s_wait_loadcnt 0x0
	ds_store_b64 v181, v[4:5]
	s_and_saveexec_b32 s56, s3
	s_cbranch_execz .LBB116_16
; %bb.15:                               ;   in Loop: Header=BB116_4 Depth=1
	v_add_nc_u64_e32 v[4:5], s[26:27], v[0:1]
	global_load_b64 v[6:7], v[4:5], off
.LBB116_16:                             ;   in Loop: Header=BB116_4 Depth=1
	s_wait_xcnt 0x0
	s_or_b32 exec_lo, exec_lo, s56
	v_dual_mov_b32 v4, 0 :: v_dual_mov_b32 v8, 0
	v_mov_b32_e32 v9, 0
	s_wait_loadcnt 0x0
	ds_store_b64 v181, v[6:7] offset:2112
	s_and_saveexec_b32 s56, s4
	s_cbranch_execz .LBB116_18
; %bb.17:                               ;   in Loop: Header=BB116_4 Depth=1
	v_add_nc_u64_e32 v[6:7], s[42:43], v[0:1]
	global_load_b64 v[8:9], v[6:7], off
.LBB116_18:                             ;   in Loop: Header=BB116_4 Depth=1
	s_wait_xcnt 0x0
	s_or_b32 exec_lo, exec_lo, s56
	v_mov_b32_e32 v5, 0
	s_wait_loadcnt 0x0
	ds_store_b64 v181, v[8:9] offset:4224
	s_and_saveexec_b32 s56, s7
	s_cbranch_execz .LBB116_20
; %bb.19:                               ;   in Loop: Header=BB116_4 Depth=1
	v_add_nc_u64_e32 v[4:5], s[44:45], v[0:1]
	global_load_b64 v[4:5], v[4:5], off
.LBB116_20:                             ;   in Loop: Header=BB116_4 Depth=1
	s_wait_xcnt 0x0
	s_or_b32 exec_lo, exec_lo, s56
	v_lshlrev_b32_e32 v58, 3, v56
	s_mov_b32 s56, 0
	s_wait_loadcnt 0x0
	ds_store_b64 v181, v[4:5] offset:6336
	v_add_nc_u64_e32 v[0:1], v[0:1], v[58:59]
	s_delay_alu instid0(VALU_DEP_1) | instskip(NEXT) | instid1(VALU_DEP_1)
	v_lshl_add_u64 v[0:1], s[54:55], 3, v[0:1]
	v_add_nc_u64_e32 v[0:1], 8, v[0:1]
	s_delay_alu instid0(VALU_DEP_1)
	v_dual_cndmask_b32 v1, v1, v3, s1 :: v_dual_cndmask_b32 v0, v0, v2, s1
.LBB116_21:                             ;   in Loop: Header=BB116_4 Depth=1
	s_and_b32 vcc_lo, exec_lo, s56
	s_cbranch_vccz .LBB116_23
; %bb.22:                               ;   in Loop: Header=BB116_4 Depth=1
	v_add_nc_u64_e32 v[0:1], s[26:27], v[2:3]
	s_delay_alu instid0(VALU_DEP_1) | instskip(NEXT) | instid1(VALU_DEP_1)
	v_add_nc_u64_e32 v[4:5], s[26:27], v[0:1]
	v_add_nc_u64_e32 v[6:7], s[26:27], v[4:5]
	s_clause 0x3
	global_load_b64 v[8:9], v[2:3], off
	global_load_b64 v[10:11], v[0:1], off
	;; [unrolled: 1-line block ×4, first 2 shown]
	s_wait_xcnt 0x2
	v_mov_b64_e32 v[0:1], v[2:3]
	s_wait_loadcnt 0x3
	ds_store_b64 v181, v[8:9]
	s_wait_loadcnt 0x2
	ds_store_b64 v181, v[10:11] offset:2112
	s_wait_loadcnt 0x1
	ds_store_b64 v181, v[4:5] offset:4224
	;; [unrolled: 2-line block ×3, first 2 shown]
.LBB116_23:                             ;   in Loop: Header=BB116_4 Depth=1
	s_wait_dscnt 0x0
	s_barrier_signal -1
	s_barrier_wait -1
	s_wait_xcnt 0x0
	s_and_saveexec_b32 s56, s8
	s_cbranch_execnz .LBB116_125
; %bb.24:                               ;   in Loop: Header=BB116_4 Depth=1
	s_or_b32 exec_lo, exec_lo, s56
	s_and_saveexec_b32 s56, s10
	s_cbranch_execnz .LBB116_126
.LBB116_25:                             ;   in Loop: Header=BB116_4 Depth=1
	s_or_b32 exec_lo, exec_lo, s56
	s_and_saveexec_b32 s56, s5
	s_cbranch_execnz .LBB116_127
.LBB116_26:                             ;   in Loop: Header=BB116_4 Depth=1
	s_or_b32 exec_lo, exec_lo, s56
	s_and_saveexec_b32 s56, s6
	s_cbranch_execz .LBB116_28
.LBB116_27:                             ;   in Loop: Header=BB116_4 Depth=1
	ds_load_b64 v[2:3], v183 offset:528
	s_wait_dscnt 0x0
	ds_store_b64 v174, v[2:3] offset:24
.LBB116_28:                             ;   in Loop: Header=BB116_4 Depth=1
	s_or_b32 exec_lo, exec_lo, s56
	s_wait_dscnt 0x0
	s_barrier_signal -1
	s_barrier_wait -1
	ds_load_b64 v[10:11], v182
	ds_load_b128 v[2:5], v178
	ds_load_2addr_b64 v[6:9], v183 offset1:33
	ds_load_b128 v[14:17], v178 offset:16
	ds_load_b64 v[18:19], v183 offset:528
	v_mov_b64_e32 v[104:105], 0
	s_wait_dscnt 0x0
	s_barrier_signal -1
	s_barrier_wait -1
	v_pk_mul_f32 v[20:21], v[2:3], v[10:11] op_sel:[1,1] op_sel_hi:[0,1]
	v_dual_mov_b32 v22, v5 :: v_dual_mov_b32 v23, v4
	v_pk_mul_f32 v[24:25], v[14:15], v[8:9] op_sel:[1,1] op_sel_hi:[0,1]
	v_dual_mov_b32 v28, v17 :: v_dual_mov_b32 v29, v16
	s_delay_alu instid0(VALU_DEP_4) | instskip(NEXT) | instid1(VALU_DEP_4)
	v_pk_fma_f32 v[26:27], v[2:3], v[10:11], v[20:21] op_sel_hi:[1,0,1]
	v_pk_mul_f32 v[22:23], v[22:23], v[6:7] op_sel:[0,1]
	v_pk_fma_f32 v[2:3], v[2:3], v[10:11], v[20:21] neg_lo:[0,0,1] neg_hi:[0,0,1]
	v_pk_fma_f32 v[20:21], v[14:15], v[8:9], v[24:25] op_sel_hi:[1,0,1]
	s_delay_alu instid0(VALU_DEP_3)
	v_pk_fma_f32 v[10:11], v[4:5], v[6:7], v[22:23] op_sel_hi:[1,0,1]
	v_mov_b32_e32 v3, v27
	v_pk_fma_f32 v[4:5], v[4:5], v[6:7], v[22:23] neg_lo:[0,0,1] neg_hi:[0,0,1]
	v_pk_mul_f32 v[26:27], v[28:29], v[18:19] op_sel:[0,1]
	v_pk_fma_f32 v[6:7], v[14:15], v[8:9], v[24:25] neg_lo:[0,0,1] neg_hi:[0,0,1]
	v_mov_b32_e32 v5, v11
	v_pk_add_f32 v[2:3], v[2:3], 0 op_sel_hi:[1,0]
	s_delay_alu instid0(VALU_DEP_4) | instskip(SKIP_1) | instid1(VALU_DEP_3)
	v_pk_fma_f32 v[8:9], v[16:17], v[18:19], v[26:27] op_sel_hi:[1,0,1]
	v_mov_b32_e32 v7, v21
	v_pk_add_f32 v[2:3], v[2:3], v[4:5]
	v_pk_fma_f32 v[4:5], v[16:17], v[18:19], v[26:27] neg_lo:[0,0,1] neg_hi:[0,0,1]
	s_delay_alu instid0(VALU_DEP_4) | instskip(NEXT) | instid1(VALU_DEP_3)
	v_mov_b32_e32 v5, v9
	v_pk_add_f32 v[2:3], v[2:3], v[6:7]
	s_delay_alu instid0(VALU_DEP_1)
	v_pk_add_f32 v[2:3], v[2:3], v[4:5]
	ds_store_b64 v179, v[2:3]
	s_wait_dscnt 0x0
	s_barrier_signal -1
	s_barrier_wait -1
	s_and_saveexec_b32 s56, s12
	s_cbranch_execz .LBB116_30
; %bb.29:                               ;   in Loop: Header=BB116_4 Depth=1
	ds_load_2addr_b64 v[2:5], v173 offset1:7
	ds_load_2addr_b64 v[6:9], v173 offset0:1 offset1:2
	ds_load_2addr_b64 v[14:17], v173 offset0:3 offset1:4
	;; [unrolled: 1-line block ×3, first 2 shown]
	s_wait_dscnt 0x2
	v_dual_add_f32 v2, v6, v2 :: v_dual_add_f32 v3, v7, v3
	s_delay_alu instid0(VALU_DEP_1) | instskip(SKIP_1) | instid1(VALU_DEP_1)
	v_dual_add_f32 v2, v8, v2 :: v_dual_add_f32 v3, v9, v3
	s_wait_dscnt 0x1
	v_dual_add_f32 v2, v2, v14 :: v_dual_add_f32 v3, v3, v15
	s_delay_alu instid0(VALU_DEP_1) | instskip(SKIP_1) | instid1(VALU_DEP_1)
	v_dual_add_f32 v2, v2, v16 :: v_dual_add_f32 v3, v3, v17
	s_wait_dscnt 0x0
	v_dual_add_f32 v2, v2, v18 :: v_dual_add_f32 v3, v3, v19
	s_delay_alu instid0(VALU_DEP_1) | instskip(NEXT) | instid1(VALU_DEP_1)
	v_dual_add_f32 v2, v2, v20 :: v_dual_add_f32 v3, v3, v21
	v_pk_add_f32 v[104:105], v[2:3], v[4:5]
.LBB116_30:                             ;   in Loop: Header=BB116_4 Depth=1
	s_or_b32 exec_lo, exec_lo, s56
	v_lshl_add_u64 v[4:5], s[46:47], 3, v[0:1]
	s_and_b32 vcc_lo, exec_lo, s60
	s_mov_b32 s56, -1
	s_barrier_signal -1
	s_delay_alu instid0(VALU_DEP_1)
	v_add_nc_u64_e32 v[2:3], 0x100, v[4:5]
	s_barrier_wait -1
                                        ; implicit-def: $vgpr0_vgpr1
	s_cbranch_vccz .LBB116_40
; %bb.31:                               ;   in Loop: Header=BB116_4 Depth=1
	v_lshl_add_u64 v[0:1], v[100:101], 3, v[4:5]
	v_dual_mov_b32 v8, 0 :: v_dual_mov_b32 v6, 0
	v_mov_b32_e32 v7, 0
	s_delay_alu instid0(VALU_DEP_3) | instskip(NEXT) | instid1(VALU_DEP_1)
	v_lshl_add_u64 v[0:1], s[24:25], 3, v[0:1]
	v_add_nc_u64_e32 v[0:1], -8, v[0:1]
	s_delay_alu instid0(VALU_DEP_1)
	v_dual_cndmask_b32 v1, v1, v3, s9 :: v_dual_cndmask_b32 v0, v0, v2, s9
	s_and_saveexec_b32 s56, s16
	s_cbranch_execz .LBB116_33
; %bb.32:                               ;   in Loop: Header=BB116_4 Depth=1
	global_load_b64 v[6:7], v[0:1], off
.LBB116_33:                             ;   in Loop: Header=BB116_4 Depth=1
	s_wait_xcnt 0x0
	s_or_b32 exec_lo, exec_lo, s56
	v_mov_b32_e32 v9, 0
	s_wait_loadcnt 0x0
	ds_store_b64 v181, v[6:7]
	s_and_saveexec_b32 s56, s11
	s_cbranch_execz .LBB116_35
; %bb.34:                               ;   in Loop: Header=BB116_4 Depth=1
	v_add_nc_u64_e32 v[6:7], s[26:27], v[0:1]
	global_load_b64 v[8:9], v[6:7], off
.LBB116_35:                             ;   in Loop: Header=BB116_4 Depth=1
	s_wait_xcnt 0x0
	s_or_b32 exec_lo, exec_lo, s56
	v_dual_mov_b32 v6, 0 :: v_dual_mov_b32 v10, 0
	v_mov_b32_e32 v11, 0
	s_wait_loadcnt 0x0
	ds_store_b64 v181, v[8:9] offset:2112
	s_and_saveexec_b32 s56, s13
	s_cbranch_execz .LBB116_37
; %bb.36:                               ;   in Loop: Header=BB116_4 Depth=1
	v_add_nc_u64_e32 v[8:9], s[42:43], v[0:1]
	global_load_b64 v[10:11], v[8:9], off
.LBB116_37:                             ;   in Loop: Header=BB116_4 Depth=1
	s_wait_xcnt 0x0
	s_or_b32 exec_lo, exec_lo, s56
	v_mov_b32_e32 v7, 0
	s_wait_loadcnt 0x0
	ds_store_b64 v181, v[10:11] offset:4224
	s_and_saveexec_b32 s56, s14
	s_cbranch_execz .LBB116_39
; %bb.38:                               ;   in Loop: Header=BB116_4 Depth=1
	v_add_nc_u64_e32 v[6:7], s[44:45], v[0:1]
	global_load_b64 v[6:7], v[6:7], off
.LBB116_39:                             ;   in Loop: Header=BB116_4 Depth=1
	s_wait_xcnt 0x0
	s_or_b32 exec_lo, exec_lo, s56
	v_lshlrev_b32_e32 v58, 3, v56
	s_mov_b32 s56, 0
	s_wait_loadcnt 0x0
	ds_store_b64 v181, v[6:7] offset:6336
	v_add_nc_u64_e32 v[0:1], v[0:1], v[58:59]
	s_delay_alu instid0(VALU_DEP_1) | instskip(NEXT) | instid1(VALU_DEP_1)
	v_lshl_add_u64 v[0:1], s[54:55], 3, v[0:1]
	v_add_nc_u64_e32 v[0:1], 0x108, v[0:1]
	s_delay_alu instid0(VALU_DEP_1)
	v_dual_cndmask_b32 v1, v1, v3, s9 :: v_dual_cndmask_b32 v0, v0, v2, s9
.LBB116_40:                             ;   in Loop: Header=BB116_4 Depth=1
	s_and_b32 vcc_lo, exec_lo, s56
	s_cbranch_vccz .LBB116_42
; %bb.41:                               ;   in Loop: Header=BB116_4 Depth=1
	v_add_nc_u64_e32 v[0:1], s[26:27], v[4:5]
	s_delay_alu instid0(VALU_DEP_1) | instskip(NEXT) | instid1(VALU_DEP_1)
	v_add_nc_u64_e32 v[6:7], s[26:27], v[0:1]
	v_add_nc_u64_e32 v[8:9], s[26:27], v[6:7]
	s_clause 0x3
	global_load_b64 v[4:5], v[4:5], off offset:256
	global_load_b64 v[10:11], v[0:1], off offset:256
	;; [unrolled: 1-line block ×4, first 2 shown]
	s_wait_xcnt 0x2
	v_mov_b64_e32 v[0:1], v[2:3]
	s_wait_loadcnt 0x3
	ds_store_b64 v181, v[4:5]
	s_wait_loadcnt 0x2
	ds_store_b64 v181, v[10:11] offset:2112
	s_wait_loadcnt 0x1
	ds_store_b64 v181, v[6:7] offset:4224
	s_wait_loadcnt 0x0
	ds_store_b64 v181, v[8:9] offset:6336
.LBB116_42:                             ;   in Loop: Header=BB116_4 Depth=1
	s_wait_dscnt 0x0
	s_barrier_signal -1
	s_barrier_wait -1
	s_wait_xcnt 0x0
	s_and_saveexec_b32 s56, s8
	s_cbranch_execnz .LBB116_128
; %bb.43:                               ;   in Loop: Header=BB116_4 Depth=1
	s_or_b32 exec_lo, exec_lo, s56
	s_and_saveexec_b32 s56, s10
	s_cbranch_execnz .LBB116_129
.LBB116_44:                             ;   in Loop: Header=BB116_4 Depth=1
	s_or_b32 exec_lo, exec_lo, s56
	s_and_saveexec_b32 s56, s5
	s_cbranch_execnz .LBB116_130
.LBB116_45:                             ;   in Loop: Header=BB116_4 Depth=1
	s_or_b32 exec_lo, exec_lo, s56
	s_and_saveexec_b32 s56, s6
	s_cbranch_execz .LBB116_47
.LBB116_46:                             ;   in Loop: Header=BB116_4 Depth=1
	ds_load_b64 v[2:3], v183 offset:528
	s_wait_dscnt 0x0
	ds_store_b64 v174, v[2:3] offset:24
.LBB116_47:                             ;   in Loop: Header=BB116_4 Depth=1
	s_or_b32 exec_lo, exec_lo, s56
	s_wait_dscnt 0x0
	s_barrier_signal -1
	s_barrier_wait -1
	ds_load_b64 v[10:11], v182
	ds_load_b128 v[2:5], v178 offset:256
	ds_load_2addr_b64 v[6:9], v183 offset1:33
	ds_load_b128 v[14:17], v178 offset:272
	ds_load_b64 v[18:19], v183 offset:528
	s_wait_dscnt 0x0
	s_barrier_signal -1
	s_barrier_wait -1
	v_pk_mul_f32 v[20:21], v[2:3], v[10:11] op_sel:[1,1] op_sel_hi:[0,1]
	v_dual_mov_b32 v22, v5 :: v_dual_mov_b32 v23, v4
	v_pk_mul_f32 v[24:25], v[14:15], v[8:9] op_sel:[1,1] op_sel_hi:[0,1]
	v_dual_mov_b32 v28, v17 :: v_dual_mov_b32 v29, v16
	s_delay_alu instid0(VALU_DEP_4) | instskip(NEXT) | instid1(VALU_DEP_4)
	v_pk_fma_f32 v[26:27], v[2:3], v[10:11], v[20:21] op_sel_hi:[1,0,1]
	v_pk_mul_f32 v[22:23], v[22:23], v[6:7] op_sel:[0,1]
	v_pk_fma_f32 v[2:3], v[2:3], v[10:11], v[20:21] neg_lo:[0,0,1] neg_hi:[0,0,1]
	v_pk_fma_f32 v[20:21], v[14:15], v[8:9], v[24:25] op_sel_hi:[1,0,1]
	s_delay_alu instid0(VALU_DEP_3)
	v_pk_fma_f32 v[10:11], v[4:5], v[6:7], v[22:23] op_sel_hi:[1,0,1]
	v_mov_b32_e32 v3, v27
	v_pk_fma_f32 v[4:5], v[4:5], v[6:7], v[22:23] neg_lo:[0,0,1] neg_hi:[0,0,1]
	v_pk_mul_f32 v[26:27], v[28:29], v[18:19] op_sel:[0,1]
	v_pk_fma_f32 v[6:7], v[14:15], v[8:9], v[24:25] neg_lo:[0,0,1] neg_hi:[0,0,1]
	v_mov_b32_e32 v5, v11
	v_pk_add_f32 v[2:3], v[2:3], 0 op_sel_hi:[1,0]
	s_delay_alu instid0(VALU_DEP_4) | instskip(SKIP_1) | instid1(VALU_DEP_3)
	v_pk_fma_f32 v[8:9], v[16:17], v[18:19], v[26:27] op_sel_hi:[1,0,1]
	v_mov_b32_e32 v7, v21
	v_pk_add_f32 v[2:3], v[2:3], v[4:5]
	v_pk_fma_f32 v[4:5], v[16:17], v[18:19], v[26:27] neg_lo:[0,0,1] neg_hi:[0,0,1]
	s_delay_alu instid0(VALU_DEP_4) | instskip(NEXT) | instid1(VALU_DEP_3)
	v_mov_b32_e32 v5, v9
	v_pk_add_f32 v[2:3], v[2:3], v[6:7]
	s_delay_alu instid0(VALU_DEP_1)
	v_pk_add_f32 v[2:3], v[2:3], v[4:5]
	ds_store_b64 v179, v[2:3]
	s_wait_dscnt 0x0
	s_barrier_signal -1
	s_barrier_wait -1
	s_and_saveexec_b32 s56, s17
	s_cbranch_execz .LBB116_49
; %bb.48:                               ;   in Loop: Header=BB116_4 Depth=1
	ds_load_2addr_b64 v[2:5], v173 offset1:7
	ds_load_2addr_b64 v[6:9], v173 offset0:1 offset1:2
	ds_load_2addr_b64 v[14:17], v173 offset0:3 offset1:4
	;; [unrolled: 1-line block ×3, first 2 shown]
	s_wait_dscnt 0x2
	v_dual_add_f32 v2, v6, v2 :: v_dual_add_f32 v3, v7, v3
	s_delay_alu instid0(VALU_DEP_1) | instskip(SKIP_1) | instid1(VALU_DEP_1)
	v_dual_add_f32 v2, v8, v2 :: v_dual_add_f32 v3, v9, v3
	s_wait_dscnt 0x1
	v_dual_add_f32 v2, v2, v14 :: v_dual_add_f32 v3, v3, v15
	s_delay_alu instid0(VALU_DEP_1) | instskip(SKIP_1) | instid1(VALU_DEP_1)
	v_dual_add_f32 v2, v2, v16 :: v_dual_add_f32 v3, v3, v17
	s_wait_dscnt 0x0
	v_dual_add_f32 v2, v2, v18 :: v_dual_add_f32 v3, v3, v19
	s_delay_alu instid0(VALU_DEP_1) | instskip(NEXT) | instid1(VALU_DEP_1)
	v_pk_add_f32 v[2:3], v[2:3], v[20:21]
	v_pk_add_f32 v[104:105], v[2:3], v[4:5]
.LBB116_49:                             ;   in Loop: Header=BB116_4 Depth=1
	s_or_b32 exec_lo, exec_lo, s56
	v_add_nc_u64_e32 v[2:3], s[50:51], v[0:1]
	s_and_b32 vcc_lo, exec_lo, s60
	s_mov_b32 s56, -1
	s_barrier_signal -1
	s_barrier_wait -1
                                        ; implicit-def: $vgpr14_vgpr15
	s_cbranch_vccz .LBB116_59
; %bb.50:                               ;   in Loop: Header=BB116_4 Depth=1
	v_lshl_add_u64 v[4:5], v[100:101], 3, v[0:1]
	v_dual_mov_b32 v8, 0 :: v_dual_mov_b32 v6, 0
	v_mov_b32_e32 v7, 0
	s_delay_alu instid0(VALU_DEP_3) | instskip(NEXT) | instid1(VALU_DEP_1)
	v_lshl_add_u64 v[4:5], s[24:25], 3, v[4:5]
	v_add_nc_u64_e32 v[4:5], s[52:53], v[4:5]
	s_delay_alu instid0(VALU_DEP_1)
	v_dual_cndmask_b32 v5, v5, v3, s1 :: v_dual_cndmask_b32 v4, v4, v2, s1
	s_and_saveexec_b32 s56, s16
	s_cbranch_execz .LBB116_52
; %bb.51:                               ;   in Loop: Header=BB116_4 Depth=1
	global_load_b64 v[6:7], v[4:5], off
.LBB116_52:                             ;   in Loop: Header=BB116_4 Depth=1
	s_wait_xcnt 0x0
	s_or_b32 exec_lo, exec_lo, s56
	v_mov_b32_e32 v9, 0
	s_wait_loadcnt 0x0
	ds_store_b64 v181, v[6:7]
	s_and_saveexec_b32 s56, s11
	s_cbranch_execz .LBB116_54
; %bb.53:                               ;   in Loop: Header=BB116_4 Depth=1
	v_add_nc_u64_e32 v[6:7], s[26:27], v[4:5]
	global_load_b64 v[8:9], v[6:7], off
.LBB116_54:                             ;   in Loop: Header=BB116_4 Depth=1
	s_wait_xcnt 0x0
	s_or_b32 exec_lo, exec_lo, s56
	v_dual_mov_b32 v6, 0 :: v_dual_mov_b32 v10, 0
	v_mov_b32_e32 v11, 0
	s_wait_loadcnt 0x0
	ds_store_b64 v181, v[8:9] offset:2112
	s_and_saveexec_b32 s56, s13
	s_cbranch_execz .LBB116_56
; %bb.55:                               ;   in Loop: Header=BB116_4 Depth=1
	v_add_nc_u64_e32 v[8:9], s[42:43], v[4:5]
	global_load_b64 v[10:11], v[8:9], off
.LBB116_56:                             ;   in Loop: Header=BB116_4 Depth=1
	s_wait_xcnt 0x0
	s_or_b32 exec_lo, exec_lo, s56
	v_mov_b32_e32 v7, 0
	s_wait_loadcnt 0x0
	ds_store_b64 v181, v[10:11] offset:4224
	s_and_saveexec_b32 s56, s14
	s_cbranch_execz .LBB116_58
; %bb.57:                               ;   in Loop: Header=BB116_4 Depth=1
	v_add_nc_u64_e32 v[6:7], s[44:45], v[4:5]
	global_load_b64 v[6:7], v[6:7], off
.LBB116_58:                             ;   in Loop: Header=BB116_4 Depth=1
	s_wait_xcnt 0x0
	s_or_b32 exec_lo, exec_lo, s56
	v_lshlrev_b32_e32 v58, 3, v56
	s_mov_b32 s56, 0
	s_wait_loadcnt 0x0
	ds_store_b64 v181, v[6:7] offset:6336
	v_add_nc_u64_e32 v[4:5], v[4:5], v[58:59]
	s_delay_alu instid0(VALU_DEP_1) | instskip(NEXT) | instid1(VALU_DEP_1)
	v_lshl_add_u64 v[4:5], s[54:55], 3, v[4:5]
	v_add_nc_u64_e32 v[4:5], 8, v[4:5]
	s_delay_alu instid0(VALU_DEP_1)
	v_dual_cndmask_b32 v15, v5, v3, s1 :: v_dual_cndmask_b32 v14, v4, v2, s1
.LBB116_59:                             ;   in Loop: Header=BB116_4 Depth=1
	s_and_b32 vcc_lo, exec_lo, s56
	s_cbranch_vccz .LBB116_61
; %bb.60:                               ;   in Loop: Header=BB116_4 Depth=1
	v_add_nc_u64_e32 v[4:5], s[26:27], v[0:1]
	v_mov_b64_e32 v[14:15], v[2:3]
	s_delay_alu instid0(VALU_DEP_2) | instskip(NEXT) | instid1(VALU_DEP_1)
	v_add_nc_u64_e32 v[6:7], s[26:27], v[4:5]
	v_add_nc_u64_e32 v[8:9], s[26:27], v[6:7]
	s_clause 0x3
	global_load_b64 v[0:1], v[0:1], off offset:-256
	global_load_b64 v[4:5], v[4:5], off offset:-256
	global_load_b64 v[6:7], v[6:7], off offset:-256
	global_load_b64 v[8:9], v[8:9], off offset:-256
	s_wait_loadcnt 0x3
	ds_store_b64 v181, v[0:1]
	s_wait_loadcnt 0x2
	ds_store_b64 v181, v[4:5] offset:2112
	s_wait_loadcnt 0x1
	ds_store_b64 v181, v[6:7] offset:4224
	s_wait_loadcnt 0x0
	ds_store_b64 v181, v[8:9] offset:6336
.LBB116_61:                             ;   in Loop: Header=BB116_4 Depth=1
	s_wait_xcnt 0x3
	v_add_nc_u32_e32 v0, v174, v180
	v_add_nc_u32_e32 v1, v178, v180
	s_wait_dscnt 0x0
	s_barrier_signal -1
	s_barrier_wait -1
	s_wait_xcnt 0x2
	ds_load_b64 v[4:5], v0
	s_wait_xcnt 0x1
	ds_load_b64 v[6:7], v1
	ds_load_2addr_b64 v[20:23], v188 offset0:8 offset1:16
	ds_load_2addr_b64 v[24:27], v189 offset0:8 offset1:16
	ds_load_b64 v[28:29], v188 offset:192
	ds_load_b64 v[30:31], v189 offset:192
	ds_load_2addr_b64 v[0:3], v183 offset1:33
	ds_load_b64 v[18:19], v182
	ds_load_b64 v[16:17], v183 offset:528
	s_wait_dscnt 0x7
	s_wait_xcnt 0x0
	v_pk_mul_f32 v[8:9], v[6:7], v[4:5] op_sel:[1,1] op_sel_hi:[0,1]
	s_wait_dscnt 0x5
	v_pk_mul_f32 v[10:11], v[24:25], v[20:21] op_sel:[1,1] op_sel_hi:[0,1]
	v_pk_mul_f32 v[34:35], v[26:27], v[22:23] op_sel:[1,1] op_sel_hi:[0,1]
	s_delay_alu instid0(VALU_DEP_3) | instskip(SKIP_1) | instid1(VALU_DEP_4)
	v_pk_fma_f32 v[32:33], v[6:7], v[4:5], v[8:9] op_sel_hi:[1,0,1]
	v_pk_fma_f32 v[4:5], v[6:7], v[4:5], v[8:9] neg_lo:[0,0,1] neg_hi:[0,0,1]
	v_pk_fma_f32 v[36:37], v[24:25], v[20:21], v[10:11] op_sel_hi:[1,0,1]
	v_pk_fma_f32 v[20:21], v[24:25], v[20:21], v[10:11] neg_lo:[0,0,1] neg_hi:[0,0,1]
	v_pk_fma_f32 v[24:25], v[26:27], v[22:23], v[34:35] op_sel_hi:[1,0,1]
	v_mov_b32_e32 v5, v33
	s_wait_dscnt 0x3
	v_pk_mul_f32 v[32:33], v[30:31], v[28:29] op_sel:[1,1] op_sel_hi:[0,1]
	v_mov_b32_e32 v21, v37
	v_pk_fma_f32 v[22:23], v[26:27], v[22:23], v[34:35] neg_lo:[0,0,1] neg_hi:[0,0,1]
	v_mov_b32_e32 v23, v25
	v_pk_add_f32 v[36:37], v[4:5], 0 op_sel_hi:[1,0]
	ds_load_b128 v[8:11], v178 offset:256
	ds_load_b128 v[4:7], v178 offset:272
	v_pk_fma_f32 v[24:25], v[30:31], v[28:29], v[32:33] op_sel_hi:[1,0,1]
	v_pk_fma_f32 v[26:27], v[30:31], v[28:29], v[32:33] neg_lo:[0,0,1] neg_hi:[0,0,1]
	s_wait_dscnt 0x0
	v_pk_add_f32 v[20:21], v[36:37], v[20:21]
	s_barrier_signal -1
	v_mov_b32_e32 v27, v25
	s_barrier_wait -1
	s_delay_alu instid0(VALU_DEP_2) | instskip(NEXT) | instid1(VALU_DEP_1)
	v_pk_add_f32 v[20:21], v[20:21], v[22:23]
	v_pk_add_f32 v[20:21], v[20:21], v[26:27]
	ds_store_b64 v179, v[20:21]
	s_wait_dscnt 0x0
	s_barrier_signal -1
	s_barrier_wait -1
	s_and_saveexec_b32 s56, s17
	s_cbranch_execz .LBB116_63
; %bb.62:                               ;   in Loop: Header=BB116_4 Depth=1
	ds_load_2addr_b64 v[20:23], v173 offset1:1
	ds_load_2addr_b64 v[24:27], v173 offset0:2 offset1:3
	ds_load_2addr_b64 v[28:31], v173 offset0:4 offset1:5
	s_wait_dscnt 0x2
	v_pk_add_f32 v[20:21], v[104:105], v[20:21]
	s_delay_alu instid0(VALU_DEP_1) | instskip(SKIP_1) | instid1(VALU_DEP_1)
	v_pk_add_f32 v[20:21], v[20:21], v[22:23]
	s_wait_dscnt 0x1
	v_pk_add_f32 v[24:25], v[20:21], v[24:25]
	ds_load_2addr_b64 v[20:23], v173 offset0:6 offset1:7
	v_pk_add_f32 v[24:25], v[24:25], v[26:27]
	s_wait_dscnt 0x1
	s_delay_alu instid0(VALU_DEP_1) | instskip(NEXT) | instid1(VALU_DEP_1)
	v_pk_add_f32 v[24:25], v[24:25], v[28:29]
	v_pk_add_f32 v[24:25], v[24:25], v[30:31]
	s_wait_dscnt 0x0
	s_delay_alu instid0(VALU_DEP_1) | instskip(NEXT) | instid1(VALU_DEP_1)
	v_pk_add_f32 v[20:21], v[24:25], v[20:21]
	v_pk_add_f32 v[104:105], v[20:21], v[22:23]
.LBB116_63:                             ;   in Loop: Header=BB116_4 Depth=1
	s_or_b32 exec_lo, exec_lo, s56
	v_pk_mul_f32 v[20:21], v[8:9], v[18:19] op_sel:[1,1] op_sel_hi:[0,1]
	v_dual_mov_b32 v22, v11 :: v_dual_mov_b32 v23, v10
	v_pk_mul_f32 v[24:25], v[4:5], v[2:3] op_sel:[1,1] op_sel_hi:[0,1]
	v_dual_mov_b32 v28, v7 :: v_dual_mov_b32 v29, v6
	s_delay_alu instid0(VALU_DEP_4) | instskip(NEXT) | instid1(VALU_DEP_4)
	v_pk_fma_f32 v[26:27], v[8:9], v[18:19], v[20:21] op_sel_hi:[1,0,1]
	v_pk_mul_f32 v[22:23], v[22:23], v[0:1] op_sel:[0,1]
	v_pk_fma_f32 v[8:9], v[8:9], v[18:19], v[20:21] neg_lo:[0,0,1] neg_hi:[0,0,1]
	v_pk_fma_f32 v[20:21], v[4:5], v[2:3], v[24:25] op_sel_hi:[1,0,1]
	v_pk_fma_f32 v[2:3], v[4:5], v[2:3], v[24:25] neg_lo:[0,0,1] neg_hi:[0,0,1]
	s_delay_alu instid0(VALU_DEP_4)
	v_pk_fma_f32 v[18:19], v[10:11], v[0:1], v[22:23] op_sel_hi:[1,0,1]
	v_mov_b32_e32 v9, v27
	v_pk_fma_f32 v[0:1], v[10:11], v[0:1], v[22:23] neg_lo:[0,0,1] neg_hi:[0,0,1]
	v_pk_mul_f32 v[26:27], v[28:29], v[16:17] op_sel:[0,1]
	s_barrier_signal -1
	v_mov_b32_e32 v1, v19
	v_pk_add_f32 v[8:9], v[8:9], 0 op_sel_hi:[1,0]
	s_barrier_wait -1
	v_pk_fma_f32 v[4:5], v[6:7], v[16:17], v[26:27] op_sel_hi:[1,0,1]
	v_mov_b32_e32 v3, v21
	v_pk_fma_f32 v[6:7], v[6:7], v[16:17], v[26:27] neg_lo:[0,0,1] neg_hi:[0,0,1]
	v_pk_add_f32 v[0:1], v[8:9], v[0:1]
	s_delay_alu instid0(VALU_DEP_4) | instskip(NEXT) | instid1(VALU_DEP_2)
	v_mov_b32_e32 v7, v5
	v_pk_add_f32 v[0:1], v[0:1], v[2:3]
	s_delay_alu instid0(VALU_DEP_1)
	v_pk_add_f32 v[0:1], v[0:1], v[6:7]
	ds_store_b64 v179, v[0:1]
	s_wait_dscnt 0x0
	s_barrier_signal -1
	s_barrier_wait -1
	s_and_saveexec_b32 s56, s12
	s_cbranch_execz .LBB116_65
; %bb.64:                               ;   in Loop: Header=BB116_4 Depth=1
	ds_load_2addr_b64 v[0:3], v173 offset1:1
	ds_load_2addr_b64 v[4:7], v173 offset0:2 offset1:3
	ds_load_2addr_b64 v[8:11], v173 offset0:4 offset1:5
	s_wait_dscnt 0x2
	v_pk_add_f32 v[0:1], v[104:105], v[0:1]
	s_delay_alu instid0(VALU_DEP_1) | instskip(SKIP_1) | instid1(VALU_DEP_1)
	v_pk_add_f32 v[0:1], v[0:1], v[2:3]
	s_wait_dscnt 0x1
	v_pk_add_f32 v[4:5], v[0:1], v[4:5]
	ds_load_2addr_b64 v[0:3], v173 offset0:6 offset1:7
	v_pk_add_f32 v[4:5], v[4:5], v[6:7]
	s_wait_dscnt 0x1
	s_delay_alu instid0(VALU_DEP_1) | instskip(NEXT) | instid1(VALU_DEP_1)
	v_pk_add_f32 v[4:5], v[4:5], v[8:9]
	v_pk_add_f32 v[4:5], v[4:5], v[10:11]
	s_wait_dscnt 0x0
	s_delay_alu instid0(VALU_DEP_1) | instskip(NEXT) | instid1(VALU_DEP_1)
	v_pk_add_f32 v[0:1], v[4:5], v[0:1]
	v_pk_add_f32 v[104:105], v[0:1], v[2:3]
.LBB116_65:                             ;   in Loop: Header=BB116_4 Depth=1
	s_or_b32 exec_lo, exec_lo, s56
	s_mul_u64 s[56:57], s[18:19], s[34:35]
	s_and_not1_b32 vcc_lo, exec_lo, s61
	s_lshl_b64 s[56:57], s[56:57], 3
	s_delay_alu instid0(SALU_CYCLE_1)
	s_add_nc_u64 s[56:57], s[40:41], s[56:57]
	s_barrier_signal -1
	s_barrier_wait -1
	s_cbranch_vccnz .LBB116_123
; %bb.66:                               ;   in Loop: Header=BB116_4 Depth=1
	v_add_nc_u64_e32 v[106:107], v[14:15], v[68:69]
	v_add_nc_u64_e32 v[108:109], v[14:15], v[70:71]
	;; [unrolled: 1-line block ×16, first 2 shown]
	v_lshl_add_u64 v[138:139], s[48:49], 3, v[12:13]
	s_mov_b32 s58, s65
	s_mov_b32 s66, s38
	s_branch .LBB116_68
.LBB116_67:                             ;   in Loop: Header=BB116_68 Depth=2
	s_wait_xcnt 0x0
	s_or_b32 exec_lo, exec_lo, s59
	v_dual_mul_f32 v22, v5, v143 :: v_dual_mul_f32 v5, v5, v142
	v_dual_mov_b32 v20, v161 :: v_dual_mov_b32 v21, v161
	v_mov_b32_e32 v161, v160
	s_delay_alu instid0(VALU_DEP_3) | instskip(NEXT) | instid1(VALU_DEP_4)
	v_dual_fma_f32 v22, v4, v142, -v22 :: v_dual_mul_f32 v23, v7, v141
	v_dual_fmac_f32 v5, v4, v143 :: v_dual_mul_f32 v4, v7, v140
	v_dual_mov_b32 v16, v159 :: v_dual_mov_b32 v17, v159
	s_delay_alu instid0(VALU_DEP_3) | instskip(SKIP_1) | instid1(VALU_DEP_4)
	v_dual_add_f32 v7, v104, v22 :: v_dual_fma_f32 v22, v6, v140, -v23
	v_mul_f32_e32 v23, v1, v145
	v_add_f32_e32 v5, v105, v5
	v_dual_fmac_f32 v4, v6, v141 :: v_dual_mul_f32 v1, v1, v144
	s_delay_alu instid0(VALU_DEP_3) | instskip(NEXT) | instid1(VALU_DEP_2)
	v_dual_add_f32 v6, v7, v22 :: v_dual_fma_f32 v7, v0, v144, -v23
	v_dual_mul_f32 v22, v3, v147 :: v_dual_add_f32 v4, v5, v4
	s_delay_alu instid0(VALU_DEP_3) | instskip(NEXT) | instid1(VALU_DEP_3)
	v_dual_fmac_f32 v1, v0, v145 :: v_dual_mul_f32 v0, v3, v146
	v_add_f32_e32 v3, v6, v7
	s_delay_alu instid0(VALU_DEP_3) | instskip(NEXT) | instid1(VALU_DEP_3)
	v_dual_fma_f32 v5, v2, v146, -v22 :: v_dual_mul_f32 v6, v13, v151
	v_dual_add_f32 v1, v4, v1 :: v_dual_fmac_f32 v0, v2, v147
	s_delay_alu instid0(VALU_DEP_2) | instskip(NEXT) | instid1(VALU_DEP_3)
	v_dual_mul_f32 v2, v13, v150 :: v_dual_add_f32 v3, v3, v5
	v_dual_fma_f32 v4, v12, v150, -v6 :: v_dual_mul_f32 v5, v15, v149
	s_delay_alu instid0(VALU_DEP_2) | instskip(SKIP_1) | instid1(VALU_DEP_3)
	v_dual_add_f32 v0, v1, v0 :: v_dual_fmac_f32 v2, v12, v151
	v_mul_f32_e32 v6, v15, v148
	v_add_f32_e32 v3, v3, v4
	s_delay_alu instid0(VALU_DEP_4) | instskip(NEXT) | instid1(VALU_DEP_3)
	v_dual_fma_f32 v4, v14, v148, -v5 :: v_dual_mul_f32 v5, v9, v153
	v_dual_add_f32 v7, v0, v2 :: v_dual_fmac_f32 v6, v14, v149
	v_dual_mul_f32 v1, v9, v152 :: v_dual_mov_b32 v159, v158
	s_delay_alu instid0(VALU_DEP_3) | instskip(NEXT) | instid1(VALU_DEP_2)
	v_dual_mov_b32 v18, v157 :: v_dual_fma_f32 v0, v8, v152, -v5
	v_dual_add_f32 v2, v3, v4 :: v_dual_fmac_f32 v1, v8, v153
	v_dual_mul_f32 v4, v11, v155 :: v_dual_mul_f32 v5, v11, v154
	v_dual_add_f32 v3, v7, v6 :: v_dual_mov_b32 v19, v157
	v_dual_mov_b32 v157, v156 :: v_dual_mov_b32 v6, v163
	s_delay_alu instid0(VALU_DEP_3) | instskip(SKIP_4) | instid1(VALU_DEP_4)
	v_fma_f32 v4, v10, v154, -v4
	v_pk_mul_f32 v[8:9], v[28:29], v[16:17]
	v_fmac_f32_e32 v5, v10, v155
	v_pk_add_f32 v[0:1], v[2:3], v[0:1]
	v_dual_mov_b32 v7, v163 :: v_dual_mov_b32 v163, v162
	v_pk_fma_f32 v[2:3], v[28:29], v[158:159], v[8:9] op_sel:[0,0,1] op_sel_hi:[1,1,0]
	v_pk_fma_f32 v[8:9], v[28:29], v[158:159], v[8:9] op_sel:[0,0,1] op_sel_hi:[1,1,0] neg_lo:[0,0,1] neg_hi:[0,0,1]
	s_delay_alu instid0(VALU_DEP_4) | instskip(SKIP_1) | instid1(VALU_DEP_4)
	v_pk_add_f32 v[0:1], v[0:1], v[4:5]
	v_pk_mul_f32 v[4:5], v[30:31], v[18:19]
	v_dual_mov_b32 v2, v167 :: v_dual_mov_b32 v9, v3
	v_dual_mov_b32 v3, v167 :: v_dual_mov_b32 v167, v166
	s_delay_alu instid0(VALU_DEP_3)
	v_pk_fma_f32 v[10:11], v[30:31], v[156:157], v[4:5] op_sel:[0,0,1] op_sel_hi:[1,1,0]
	v_pk_fma_f32 v[4:5], v[30:31], v[156:157], v[4:5] op_sel:[0,0,1] op_sel_hi:[1,1,0] neg_lo:[0,0,1] neg_hi:[0,0,1]
	v_mov_b32_e32 v10, v165
	v_pk_add_f32 v[0:1], v[0:1], v[8:9]
	v_pk_mul_f32 v[8:9], v[24:25], v[20:21]
	v_dual_mov_b32 v5, v11 :: v_dual_mov_b32 v11, v165
	v_mov_b32_e32 v165, v164
	v_pk_mul_f32 v[2:3], v[40:41], v[2:3]
	s_delay_alu instid0(VALU_DEP_4) | instskip(NEXT) | instid1(VALU_DEP_4)
	v_pk_fma_f32 v[12:13], v[24:25], v[160:161], v[8:9] op_sel:[0,0,1] op_sel_hi:[1,1,0]
	v_pk_add_f32 v[0:1], v[0:1], v[4:5]
	v_pk_mul_f32 v[4:5], v[26:27], v[6:7]
	v_pk_fma_f32 v[6:7], v[24:25], v[160:161], v[8:9] op_sel:[0,0,1] op_sel_hi:[1,1,0] neg_lo:[0,0,1] neg_hi:[0,0,1]
	s_delay_alu instid0(VALU_DEP_4) | instskip(SKIP_1) | instid1(VALU_DEP_4)
	v_dual_mov_b32 v12, v169 :: v_dual_mov_b32 v7, v13
	v_dual_mov_b32 v13, v169 :: v_dual_mov_b32 v169, v168
	v_pk_fma_f32 v[8:9], v[26:27], v[162:163], v[4:5] op_sel:[0,0,1] op_sel_hi:[1,1,0]
	v_pk_fma_f32 v[4:5], v[26:27], v[162:163], v[4:5] op_sel:[0,0,1] op_sel_hi:[1,1,0] neg_lo:[0,0,1] neg_hi:[0,0,1]
	v_mov_b32_e32 v8, v171
	v_pk_add_f32 v[0:1], v[0:1], v[6:7]
	v_pk_mul_f32 v[6:7], v[42:43], v[10:11]
	v_mov_b32_e32 v5, v9
	v_pk_fma_f32 v[10:11], v[40:41], v[166:167], v[2:3] op_sel:[0,0,1] op_sel_hi:[1,1,0]
	v_pk_fma_f32 v[2:3], v[40:41], v[166:167], v[2:3] op_sel:[0,0,1] op_sel_hi:[1,1,0] neg_lo:[0,0,1] neg_hi:[0,0,1]
	v_dual_mov_b32 v9, v171 :: v_dual_mov_b32 v171, v170
	s_delay_alu instid0(VALU_DEP_4)
	v_pk_add_f32 v[0:1], v[0:1], v[4:5]
	v_pk_fma_f32 v[4:5], v[42:43], v[164:165], v[6:7] op_sel:[0,0,1] op_sel_hi:[1,1,0]
	v_pk_mul_f32 v[12:13], v[44:45], v[12:13]
	v_mov_b32_e32 v3, v11
	v_pk_fma_f32 v[6:7], v[42:43], v[164:165], v[6:7] op_sel:[0,0,1] op_sel_hi:[1,1,0] neg_lo:[0,0,1] neg_hi:[0,0,1]
	v_pk_mul_f32 v[8:9], v[46:47], v[8:9]
	v_mov_b32_e32 v7, v5
	v_pk_fma_f32 v[4:5], v[44:45], v[168:169], v[12:13] op_sel:[0,0,1] op_sel_hi:[1,1,0]
	v_pk_add_f32 v[0:1], v[0:1], v[2:3]
	v_pk_fma_f32 v[2:3], v[44:45], v[168:169], v[12:13] op_sel:[0,0,1] op_sel_hi:[1,1,0] neg_lo:[0,0,1] neg_hi:[0,0,1]
	v_add_nc_u64_e32 v[106:107], s[20:21], v[106:107]
	v_add_nc_u64_e32 v[108:109], s[20:21], v[108:109]
	v_mov_b32_e32 v3, v5
	v_pk_fma_f32 v[4:5], v[46:47], v[170:171], v[8:9] op_sel:[0,0,1] op_sel_hi:[1,1,0]
	v_pk_add_f32 v[0:1], v[0:1], v[6:7]
	v_pk_fma_f32 v[6:7], v[46:47], v[170:171], v[8:9] op_sel:[0,0,1] op_sel_hi:[1,1,0] neg_lo:[0,0,1] neg_hi:[0,0,1]
	v_add_nc_u64_e32 v[110:111], s[20:21], v[110:111]
	v_add_nc_u64_e32 v[112:113], s[20:21], v[112:113]
	v_mov_b32_e32 v7, v5
	v_pk_add_f32 v[0:1], v[0:1], v[2:3]
	v_add_nc_u64_e32 v[114:115], s[20:21], v[114:115]
	v_add_nc_u64_e32 v[116:117], s[20:21], v[116:117]
	;; [unrolled: 1-line block ×12, first 2 shown]
	v_pk_add_f32 v[104:105], v[0:1], v[6:7]
	s_add_co_i32 s59, s66, 1
	s_add_co_i32 s66, s66, 2
	;; [unrolled: 1-line block ×3, first 2 shown]
	s_cmp_ge_u32 s66, s36
	s_mov_b32 s66, s59
	s_wait_storecnt 0x0
	s_barrier_signal -1
	s_barrier_wait -1
	s_cbranch_scc1 .LBB116_123
.LBB116_68:                             ;   Parent Loop BB116_4 Depth=1
                                        ; =>  This Inner Loop Header: Depth=2
	s_cmp_eq_u32 s62, s66
	s_cselect_b32 s67, s37, 0
	s_and_saveexec_b32 s68, s0
	s_cbranch_execz .LBB116_73
; %bb.69:                               ;   in Loop: Header=BB116_68 Depth=2
	v_cmp_le_i32_e32 vcc_lo, s67, v172
	s_cmp_lg_u32 s67, 0
	s_cselect_b32 s59, -1, 0
	s_delay_alu instid0(SALU_CYCLE_1) | instskip(NEXT) | instid1(SALU_CYCLE_1)
	s_and_b32 s59, s59, vcc_lo
	s_and_saveexec_b32 s69, s59
	s_delay_alu instid0(SALU_CYCLE_1)
	s_xor_b32 s59, exec_lo, s69
; %bb.70:                               ;   in Loop: Header=BB116_68 Depth=2
	ds_store_b64 v192, v[102:103]
; %bb.71:                               ;   in Loop: Header=BB116_68 Depth=2
	s_and_not1_saveexec_b32 s59, s59
	s_cbranch_execz .LBB116_73
; %bb.72:                               ;   in Loop: Header=BB116_68 Depth=2
	s_ashr_i32 s59, s58, 31
	s_delay_alu instid0(SALU_CYCLE_1) | instskip(NEXT) | instid1(SALU_CYCLE_1)
	s_mul_u64 s[70:71], s[28:29], s[58:59]
	v_lshl_add_u64 v[0:1], s[70:71], 3, v[138:139]
	global_load_b64 v[0:1], v[0:1], off
	s_wait_loadcnt 0x0
	ds_store_b64 v192, v[0:1]
.LBB116_73:                             ;   in Loop: Header=BB116_68 Depth=2
	s_wait_xcnt 0x0
	s_or_b32 exec_lo, exec_lo, s68
	s_cmp_eq_u32 s67, 0
	v_add_nc_u64_e32 v[0:1], v[106:107], v[60:61]
	s_cselect_b32 s59, -1, 0
	s_cmp_lg_u32 s67, 0
	s_wait_dscnt 0x0
	s_cselect_b32 s68, -1, 0
	s_barrier_signal -1
	s_and_b32 vcc_lo, exec_lo, s68
	s_barrier_wait -1
	s_cbranch_vccz .LBB116_81
; %bb.74:                               ;   in Loop: Header=BB116_68 Depth=2
	v_mov_b64_e32 v[140:141], 0
	v_mov_b64_e32 v[142:143], 0
	s_mov_b32 s69, exec_lo
	v_cmpx_gt_i32_e64 s67, v184
	s_cbranch_execz .LBB116_76
; %bb.75:                               ;   in Loop: Header=BB116_68 Depth=2
	global_load_b64 v[142:143], v[0:1], off
.LBB116_76:                             ;   in Loop: Header=BB116_68 Depth=2
	s_wait_xcnt 0x0
	s_or_b32 exec_lo, exec_lo, s69
	s_delay_alu instid0(SALU_CYCLE_1)
	s_mov_b32 s69, exec_lo
	v_cmpx_gt_i32_e64 s67, v194
	s_cbranch_execz .LBB116_78
; %bb.77:                               ;   in Loop: Header=BB116_68 Depth=2
	v_add_nc_u64_e32 v[2:3], v[110:111], v[60:61]
	global_load_b64 v[140:141], v[2:3], off
.LBB116_78:                             ;   in Loop: Header=BB116_68 Depth=2
	s_wait_xcnt 0x0
	s_or_b32 exec_lo, exec_lo, s69
	v_mov_b64_e32 v[144:145], 0
	s_mov_b32 s69, exec_lo
	v_cmpx_gt_i32_e64 s67, v195
	s_cbranch_execz .LBB116_80
; %bb.79:                               ;   in Loop: Header=BB116_68 Depth=2
	v_add_nc_u64_e32 v[2:3], v[108:109], v[60:61]
	global_load_b64 v[144:145], v[2:3], off
.LBB116_80:                             ;   in Loop: Header=BB116_68 Depth=2
	s_wait_xcnt 0x0
	s_or_b32 exec_lo, exec_lo, s69
	v_cmp_gt_i32_e64 s69, s67, v196
	s_branch .LBB116_83
.LBB116_81:                             ;   in Loop: Header=BB116_68 Depth=2
	s_mov_b32 s69, 0
                                        ; implicit-def: $vgpr144_vgpr145
                                        ; implicit-def: $vgpr140_vgpr141
                                        ; implicit-def: $vgpr142_vgpr143
	s_cbranch_execz .LBB116_83
; %bb.82:                               ;   in Loop: Header=BB116_68 Depth=2
	v_add_nc_u64_e32 v[2:3], v[110:111], v[60:61]
	v_add_nc_u64_e32 v[4:5], v[108:109], v[60:61]
	s_or_b32 s69, s69, exec_lo
	s_wait_loadcnt 0x0
	global_load_b64 v[142:143], v[0:1], off
	global_load_b64 v[140:141], v[2:3], off
	;; [unrolled: 1-line block ×3, first 2 shown]
.LBB116_83:                             ;   in Loop: Header=BB116_68 Depth=2
	v_mov_b64_e32 v[146:147], 0
	s_wait_xcnt 0x0
	s_delay_alu instid0(VALU_DEP_2)
	s_and_saveexec_b32 s70, s69
	s_cbranch_execz .LBB116_85
; %bb.84:                               ;   in Loop: Header=BB116_68 Depth=2
	v_add_nc_u64_e32 v[0:1], v[112:113], v[60:61]
	global_load_b64 v[146:147], v[0:1], off
.LBB116_85:                             ;   in Loop: Header=BB116_68 Depth=2
	s_wait_xcnt 0x0
	s_or_b32 exec_lo, exec_lo, s70
	ds_load_b64 v[0:1], v191
	v_cndmask_b32_e64 v40, 0, 1, s68
	s_and_not1_b32 vcc_lo, exec_lo, s68
	s_wait_loadcnt_dscnt 0x0
	v_pk_mul_f32 v[2:3], v[0:1], v[142:143] op_sel:[1,1] op_sel_hi:[0,1]
	v_pk_mul_f32 v[4:5], v[0:1], v[140:141] op_sel:[1,1] op_sel_hi:[0,1]
	;; [unrolled: 1-line block ×4, first 2 shown]
	s_delay_alu instid0(VALU_DEP_4)
	v_pk_fma_f32 v[10:11], v[0:1], v[142:143], v[2:3] neg_lo:[0,0,1] neg_hi:[0,0,1]
	v_pk_fma_f32 v[2:3], v[0:1], v[142:143], v[2:3] op_sel_hi:[1,0,1]
	v_pk_fma_f32 v[12:13], v[0:1], v[140:141], v[4:5] neg_lo:[0,0,1] neg_hi:[0,0,1]
	v_pk_fma_f32 v[4:5], v[0:1], v[140:141], v[4:5] op_sel_hi:[1,0,1]
	;; [unrolled: 2-line block ×3, first 2 shown]
	v_pk_fma_f32 v[16:17], v[0:1], v[146:147], v[8:9] op_sel_hi:[1,0,1]
	v_pk_fma_f32 v[8:9], v[0:1], v[146:147], v[8:9] neg_lo:[0,0,1] neg_hi:[0,0,1]
	v_dual_mov_b32 v11, v3 :: v_dual_mov_b32 v13, v5
	s_delay_alu instid0(VALU_DEP_3)
	v_dual_mov_b32 v15, v7 :: v_dual_mov_b32 v9, v17
	ds_load_b128 v[4:7], v193
	ds_load_b128 v[0:3], v193 offset:16
	ds_store_2addr_b64 v185, v[10:11], v[12:13] offset1:67
	ds_store_2addr_b64 v185, v[14:15], v[8:9] offset0:134 offset1:201
	s_wait_dscnt 0x0
	s_barrier_signal -1
	s_barrier_wait -1
	ds_load_2addr_b64 v[20:23], v175 offset1:1
	ds_load_2addr_b64 v[16:19], v175 offset0:2 offset1:3
	v_add_nc_u64_e32 v[8:9], v[114:115], v[60:61]
	s_wait_dscnt 0x0
	s_barrier_signal -1
	s_barrier_wait -1
	s_cbranch_vccnz .LBB116_93
; %bb.86:                               ;   in Loop: Header=BB116_68 Depth=2
	v_mov_b64_e32 v[148:149], 0
	v_mov_b64_e32 v[150:151], 0
	s_mov_b32 s68, exec_lo
	v_cmpx_gt_i32_e64 s67, v197
	s_cbranch_execz .LBB116_88
; %bb.87:                               ;   in Loop: Header=BB116_68 Depth=2
	global_load_b64 v[150:151], v[8:9], off
.LBB116_88:                             ;   in Loop: Header=BB116_68 Depth=2
	s_wait_xcnt 0x0
	s_or_b32 exec_lo, exec_lo, s68
	s_delay_alu instid0(SALU_CYCLE_1)
	s_mov_b32 s68, exec_lo
	v_cmpx_gt_i32_e64 s67, v198
	s_cbranch_execz .LBB116_90
; %bb.89:                               ;   in Loop: Header=BB116_68 Depth=2
	v_add_nc_u64_e32 v[10:11], v[116:117], v[60:61]
	global_load_b64 v[148:149], v[10:11], off
.LBB116_90:                             ;   in Loop: Header=BB116_68 Depth=2
	s_wait_xcnt 0x0
	s_or_b32 exec_lo, exec_lo, s68
	v_mov_b64_e32 v[152:153], 0
	s_mov_b32 s68, exec_lo
	v_cmpx_gt_i32_e64 s67, v199
	s_cbranch_execz .LBB116_92
; %bb.91:                               ;   in Loop: Header=BB116_68 Depth=2
	v_add_nc_u64_e32 v[10:11], v[118:119], v[60:61]
	global_load_b64 v[152:153], v[10:11], off
.LBB116_92:                             ;   in Loop: Header=BB116_68 Depth=2
	s_wait_xcnt 0x0
	s_or_b32 exec_lo, exec_lo, s68
	v_cmp_gt_i32_e64 s68, s67, v200
	s_branch .LBB116_95
.LBB116_93:                             ;   in Loop: Header=BB116_68 Depth=2
	s_mov_b32 s68, 0
                                        ; implicit-def: $vgpr152_vgpr153
                                        ; implicit-def: $vgpr148_vgpr149
                                        ; implicit-def: $vgpr150_vgpr151
	s_cbranch_execz .LBB116_95
; %bb.94:                               ;   in Loop: Header=BB116_68 Depth=2
	v_add_nc_u64_e32 v[10:11], v[116:117], v[60:61]
	v_add_nc_u64_e32 v[12:13], v[118:119], v[60:61]
	s_or_b32 s68, s68, exec_lo
	s_wait_loadcnt 0x0
	global_load_b64 v[150:151], v[8:9], off
	global_load_b64 v[148:149], v[10:11], off
	;; [unrolled: 1-line block ×3, first 2 shown]
.LBB116_95:                             ;   in Loop: Header=BB116_68 Depth=2
	v_mov_b64_e32 v[154:155], 0
	s_wait_xcnt 0x0
	s_delay_alu instid0(VALU_DEP_2)
	s_and_saveexec_b32 s69, s68
	s_cbranch_execz .LBB116_97
; %bb.96:                               ;   in Loop: Header=BB116_68 Depth=2
	v_add_nc_u64_e32 v[8:9], v[120:121], v[60:61]
	global_load_b64 v[154:155], v[8:9], off
.LBB116_97:                             ;   in Loop: Header=BB116_68 Depth=2
	s_wait_xcnt 0x0
	s_or_b32 exec_lo, exec_lo, s69
	ds_load_b64 v[8:9], v191
	v_cmp_ne_u32_e32 vcc_lo, 1, v40
	s_and_b32 vcc_lo, exec_lo, vcc_lo
	s_wait_loadcnt_dscnt 0x0
	v_pk_mul_f32 v[10:11], v[8:9], v[150:151] op_sel:[1,1] op_sel_hi:[0,1]
	v_pk_mul_f32 v[12:13], v[8:9], v[148:149] op_sel:[1,1] op_sel_hi:[0,1]
	;; [unrolled: 1-line block ×4, first 2 shown]
	s_delay_alu instid0(VALU_DEP_4)
	v_pk_fma_f32 v[26:27], v[8:9], v[150:151], v[10:11] neg_lo:[0,0,1] neg_hi:[0,0,1]
	v_pk_fma_f32 v[10:11], v[8:9], v[150:151], v[10:11] op_sel_hi:[1,0,1]
	v_pk_fma_f32 v[28:29], v[8:9], v[148:149], v[12:13] neg_lo:[0,0,1] neg_hi:[0,0,1]
	v_pk_fma_f32 v[12:13], v[8:9], v[148:149], v[12:13] op_sel_hi:[1,0,1]
	;; [unrolled: 2-line block ×3, first 2 shown]
	v_pk_fma_f32 v[32:33], v[8:9], v[154:155], v[24:25] op_sel_hi:[1,0,1]
	v_pk_fma_f32 v[24:25], v[8:9], v[154:155], v[24:25] neg_lo:[0,0,1] neg_hi:[0,0,1]
	v_dual_mov_b32 v27, v11 :: v_dual_mov_b32 v29, v13
	s_delay_alu instid0(VALU_DEP_3)
	v_dual_mov_b32 v31, v15 :: v_dual_mov_b32 v25, v33
	ds_load_b128 v[12:15], v193 offset:128
	ds_load_b128 v[8:11], v193 offset:144
	ds_store_2addr_b64 v185, v[26:27], v[28:29] offset1:67
	ds_store_2addr_b64 v185, v[30:31], v[24:25] offset0:134 offset1:201
	s_wait_dscnt 0x0
	s_barrier_signal -1
	s_barrier_wait -1
	ds_load_2addr_b64 v[36:39], v175 offset1:1
	ds_load_2addr_b64 v[32:35], v175 offset0:2 offset1:3
	v_add_nc_u64_e32 v[24:25], v[122:123], v[60:61]
	s_wait_dscnt 0x0
	s_barrier_signal -1
	s_barrier_wait -1
	s_cbranch_vccnz .LBB116_105
; %bb.98:                               ;   in Loop: Header=BB116_68 Depth=2
	v_mov_b64_e32 v[156:157], 0
	v_mov_b64_e32 v[158:159], 0
	s_mov_b32 s68, exec_lo
	v_cmpx_gt_i32_e64 s67, v201
	s_cbranch_execz .LBB116_100
; %bb.99:                               ;   in Loop: Header=BB116_68 Depth=2
	global_load_b64 v[158:159], v[24:25], off
.LBB116_100:                            ;   in Loop: Header=BB116_68 Depth=2
	s_wait_xcnt 0x0
	s_or_b32 exec_lo, exec_lo, s68
	s_delay_alu instid0(SALU_CYCLE_1)
	s_mov_b32 s68, exec_lo
	v_cmpx_gt_i32_e64 s67, v202
	s_cbranch_execz .LBB116_102
; %bb.101:                              ;   in Loop: Header=BB116_68 Depth=2
	v_add_nc_u64_e32 v[26:27], v[124:125], v[60:61]
	global_load_b64 v[156:157], v[26:27], off
.LBB116_102:                            ;   in Loop: Header=BB116_68 Depth=2
	s_wait_xcnt 0x0
	s_or_b32 exec_lo, exec_lo, s68
	v_mov_b64_e32 v[160:161], 0
	s_mov_b32 s68, exec_lo
	v_cmpx_gt_i32_e64 s67, v203
	s_cbranch_execz .LBB116_104
; %bb.103:                              ;   in Loop: Header=BB116_68 Depth=2
	v_add_nc_u64_e32 v[26:27], v[126:127], v[60:61]
	global_load_b64 v[160:161], v[26:27], off
.LBB116_104:                            ;   in Loop: Header=BB116_68 Depth=2
	s_wait_xcnt 0x0
	s_or_b32 exec_lo, exec_lo, s68
	v_cmp_gt_i32_e64 s68, s67, v204
	s_branch .LBB116_107
.LBB116_105:                            ;   in Loop: Header=BB116_68 Depth=2
	s_mov_b32 s68, 0
                                        ; implicit-def: $vgpr160_vgpr161
                                        ; implicit-def: $vgpr156_vgpr157
                                        ; implicit-def: $vgpr158_vgpr159
	s_cbranch_execz .LBB116_107
; %bb.106:                              ;   in Loop: Header=BB116_68 Depth=2
	v_add_nc_u64_e32 v[26:27], v[124:125], v[60:61]
	v_add_nc_u64_e32 v[28:29], v[126:127], v[60:61]
	s_or_b32 s68, s68, exec_lo
	s_wait_loadcnt 0x0
	global_load_b64 v[158:159], v[24:25], off
	global_load_b64 v[156:157], v[26:27], off
	;; [unrolled: 1-line block ×3, first 2 shown]
.LBB116_107:                            ;   in Loop: Header=BB116_68 Depth=2
	v_mov_b64_e32 v[162:163], 0
	s_wait_xcnt 0x0
	s_delay_alu instid0(VALU_DEP_2)
	s_and_saveexec_b32 s69, s68
	s_cbranch_execz .LBB116_109
; %bb.108:                              ;   in Loop: Header=BB116_68 Depth=2
	v_add_nc_u64_e32 v[24:25], v[128:129], v[60:61]
	global_load_b64 v[162:163], v[24:25], off
.LBB116_109:                            ;   in Loop: Header=BB116_68 Depth=2
	s_wait_xcnt 0x0
	s_or_b32 exec_lo, exec_lo, s69
	ds_load_b64 v[24:25], v191
	v_cmp_ne_u32_e32 vcc_lo, 1, v40
	v_add_nc_u64_e32 v[40:41], v[130:131], v[60:61]
	s_and_b32 vcc_lo, exec_lo, vcc_lo
	s_wait_loadcnt_dscnt 0x0
	v_pk_mul_f32 v[26:27], v[24:25], v[158:159] op_sel:[0,1]
	v_pk_mul_f32 v[28:29], v[24:25], v[156:157] op_sel:[0,1]
	;; [unrolled: 1-line block ×4, first 2 shown]
	s_delay_alu instid0(VALU_DEP_4)
	v_pk_fma_f32 v[44:45], v[24:25], v[158:159], v[26:27] op_sel:[0,0,1] op_sel_hi:[1,1,0] neg_lo:[0,0,1] neg_hi:[0,0,1]
	v_pk_fma_f32 v[26:27], v[24:25], v[158:159], v[26:27] op_sel:[0,0,1] op_sel_hi:[1,0,0]
	v_pk_fma_f32 v[46:47], v[24:25], v[156:157], v[28:29] op_sel:[0,0,1] op_sel_hi:[1,1,0] neg_lo:[0,0,1] neg_hi:[0,0,1]
	v_pk_fma_f32 v[28:29], v[24:25], v[156:157], v[28:29] op_sel:[0,0,1] op_sel_hi:[1,0,0]
	;; [unrolled: 2-line block ×3, first 2 shown]
	v_pk_fma_f32 v[50:51], v[24:25], v[162:163], v[42:43] op_sel:[0,0,1] op_sel_hi:[1,0,0]
	v_pk_fma_f32 v[42:43], v[24:25], v[162:163], v[42:43] op_sel:[0,0,1] op_sel_hi:[1,1,0] neg_lo:[0,0,1] neg_hi:[0,0,1]
	v_dual_mov_b32 v45, v27 :: v_dual_mov_b32 v47, v29
	s_delay_alu instid0(VALU_DEP_3)
	v_dual_mov_b32 v49, v31 :: v_dual_mov_b32 v43, v51
	ds_load_b128 v[28:31], v193 offset:256
	ds_load_b128 v[24:27], v193 offset:272
	ds_store_2addr_b64 v185, v[44:45], v[46:47] offset1:67
	ds_store_2addr_b64 v185, v[48:49], v[42:43] offset0:134 offset1:201
	s_wait_dscnt 0x0
	s_barrier_signal -1
	s_barrier_wait -1
	ds_load_2addr_b64 v[52:55], v175 offset1:1
	ds_load_2addr_b64 v[48:51], v175 offset0:2 offset1:3
	s_wait_dscnt 0x0
	s_barrier_signal -1
	s_barrier_wait -1
	s_cbranch_vccnz .LBB116_117
; %bb.110:                              ;   in Loop: Header=BB116_68 Depth=2
	v_mov_b64_e32 v[164:165], 0
	v_mov_b64_e32 v[166:167], 0
	s_mov_b32 s68, exec_lo
	v_cmpx_gt_i32_e64 s67, v205
	s_cbranch_execz .LBB116_112
; %bb.111:                              ;   in Loop: Header=BB116_68 Depth=2
	global_load_b64 v[166:167], v[40:41], off
.LBB116_112:                            ;   in Loop: Header=BB116_68 Depth=2
	s_wait_xcnt 0x0
	s_or_b32 exec_lo, exec_lo, s68
	s_delay_alu instid0(SALU_CYCLE_1)
	s_mov_b32 s68, exec_lo
	v_cmpx_gt_i32_e64 s67, v206
	s_cbranch_execz .LBB116_114
; %bb.113:                              ;   in Loop: Header=BB116_68 Depth=2
	v_add_nc_u64_e32 v[42:43], v[132:133], v[60:61]
	global_load_b64 v[164:165], v[42:43], off
.LBB116_114:                            ;   in Loop: Header=BB116_68 Depth=2
	s_wait_xcnt 0x0
	s_or_b32 exec_lo, exec_lo, s68
	v_mov_b64_e32 v[168:169], 0
	s_mov_b32 s68, exec_lo
	v_cmpx_gt_i32_e64 s67, v207
	s_cbranch_execz .LBB116_116
; %bb.115:                              ;   in Loop: Header=BB116_68 Depth=2
	v_add_nc_u64_e32 v[42:43], v[134:135], v[60:61]
	global_load_b64 v[168:169], v[42:43], off
.LBB116_116:                            ;   in Loop: Header=BB116_68 Depth=2
	s_wait_xcnt 0x0
	s_or_b32 exec_lo, exec_lo, s68
	v_cmp_gt_i32_e64 s68, s67, v208
	s_branch .LBB116_119
.LBB116_117:                            ;   in Loop: Header=BB116_68 Depth=2
	s_mov_b32 s68, 0
                                        ; implicit-def: $vgpr168_vgpr169
                                        ; implicit-def: $vgpr164_vgpr165
                                        ; implicit-def: $vgpr166_vgpr167
	s_cbranch_execz .LBB116_119
; %bb.118:                              ;   in Loop: Header=BB116_68 Depth=2
	v_add_nc_u64_e32 v[42:43], v[132:133], v[60:61]
	v_add_nc_u64_e32 v[44:45], v[134:135], v[60:61]
	s_or_b32 s68, s68, exec_lo
	s_wait_loadcnt 0x0
	global_load_b64 v[166:167], v[40:41], off
	global_load_b64 v[164:165], v[42:43], off
	;; [unrolled: 1-line block ×3, first 2 shown]
.LBB116_119:                            ;   in Loop: Header=BB116_68 Depth=2
	v_mov_b64_e32 v[170:171], 0
	s_wait_xcnt 0x0
	s_delay_alu instid0(VALU_DEP_2)
	s_and_saveexec_b32 s69, s68
	s_cbranch_execz .LBB116_121
; %bb.120:                              ;   in Loop: Header=BB116_68 Depth=2
	v_add_nc_u64_e32 v[40:41], v[136:137], v[60:61]
	global_load_b64 v[170:171], v[40:41], off
.LBB116_121:                            ;   in Loop: Header=BB116_68 Depth=2
	s_wait_xcnt 0x0
	s_or_b32 exec_lo, exec_lo, s69
	ds_load_b64 v[44:45], v191
	ds_load_b128 v[40:43], v193 offset:384
	v_pk_add_f32 v[36:37], v[36:37], 0 op_sel_hi:[1,0]
	v_pk_add_f32 v[20:21], v[20:21], 0 op_sel_hi:[1,0]
	;; [unrolled: 1-line block ×3, first 2 shown]
	v_cmp_gt_i32_e32 vcc_lo, s67, v172
	s_delay_alu instid0(VALU_DEP_4) | instskip(NEXT) | instid1(VALU_DEP_4)
	v_pk_add_f32 v[36:37], v[36:37], v[38:39]
	v_pk_add_f32 v[20:21], v[20:21], v[22:23]
	s_delay_alu instid0(VALU_DEP_4) | instskip(SKIP_1) | instid1(VALU_DEP_3)
	v_pk_add_f32 v[52:53], v[52:53], v[54:55]
	s_or_b32 s59, s59, vcc_lo
	v_pk_add_f32 v[32:33], v[36:37], v[32:33]
	s_delay_alu instid0(VALU_DEP_3) | instskip(NEXT) | instid1(VALU_DEP_3)
	v_pk_add_f32 v[16:17], v[20:21], v[16:17]
	v_pk_add_f32 v[38:39], v[52:53], v[48:49]
	s_and_b32 s67, s15, s59
	s_delay_alu instid0(VALU_DEP_3) | instskip(NEXT) | instid1(VALU_DEP_3)
	v_pk_add_f32 v[32:33], v[32:33], v[34:35]
	v_pk_add_f32 v[16:17], v[16:17], v[18:19]
	s_wait_loadcnt_dscnt 0x1
	v_pk_mul_f32 v[46:47], v[44:45], v[166:167] op_sel:[0,1]
	v_pk_mul_f32 v[210:211], v[44:45], v[164:165] op_sel:[0,1]
	;; [unrolled: 1-line block ×4, first 2 shown]
	s_delay_alu instid0(VALU_DEP_4)
	v_pk_fma_f32 v[216:217], v[44:45], v[166:167], v[46:47] op_sel:[0,0,1] op_sel_hi:[1,1,0] neg_lo:[0,0,1] neg_hi:[0,0,1]
	v_pk_fma_f32 v[46:47], v[44:45], v[166:167], v[46:47] op_sel:[0,0,1] op_sel_hi:[1,0,0]
	v_pk_fma_f32 v[218:219], v[44:45], v[164:165], v[210:211] op_sel:[0,0,1] op_sel_hi:[1,1,0] neg_lo:[0,0,1] neg_hi:[0,0,1]
	v_pk_fma_f32 v[210:211], v[44:45], v[164:165], v[210:211] op_sel:[0,0,1] op_sel_hi:[1,0,0]
	;; [unrolled: 2-line block ×3, first 2 shown]
	v_pk_fma_f32 v[222:223], v[44:45], v[170:171], v[214:215] op_sel:[0,0,1] op_sel_hi:[1,0,0]
	v_pk_fma_f32 v[214:215], v[44:45], v[170:171], v[214:215] op_sel:[0,0,1] op_sel_hi:[1,1,0] neg_lo:[0,0,1] neg_hi:[0,0,1]
	v_dual_mov_b32 v217, v47 :: v_dual_mov_b32 v219, v211
	s_delay_alu instid0(VALU_DEP_3)
	v_dual_mov_b32 v221, v213 :: v_dual_mov_b32 v215, v223
	ds_load_b128 v[44:47], v193 offset:400
	ds_store_2addr_b64 v185, v[216:217], v[218:219] offset1:67
	ds_store_2addr_b64 v185, v[220:221], v[214:215] offset0:134 offset1:201
	s_wait_dscnt 0x0
	s_barrier_signal -1
	s_barrier_wait -1
	ds_load_2addr_b64 v[210:213], v175 offset1:1
	ds_load_2addr_b64 v[214:217], v175 offset0:2 offset1:3
	s_wait_dscnt 0x0
	s_barrier_signal -1
	s_barrier_wait -1
	v_pk_add_f32 v[210:211], v[210:211], 0 op_sel_hi:[1,0]
	s_delay_alu instid0(VALU_DEP_1) | instskip(NEXT) | instid1(VALU_DEP_1)
	v_pk_add_f32 v[22:23], v[210:211], v[212:213]
	v_pk_add_f32 v[20:21], v[22:23], v[214:215]
	;; [unrolled: 1-line block ×3, first 2 shown]
	s_delay_alu instid0(VALU_DEP_2)
	v_pk_add_f32 v[18:19], v[20:21], v[216:217]
	ds_store_2addr_b64 v190, v[16:17], v[32:33] offset1:16
	ds_store_2addr_b64 v190, v[22:23], v[18:19] offset0:32 offset1:48
	s_wait_dscnt 0x0
	s_barrier_signal -1
	s_barrier_wait -1
	s_and_saveexec_b32 s59, s67
	s_cbranch_execz .LBB116_67
; %bb.122:                              ;   in Loop: Header=BB116_68 Depth=2
	ds_load_b64 v[36:37], v176
	ds_load_2addr_b64 v[16:19], v176 offset0:1 offset1:2
	ds_load_2addr_b64 v[20:23], v176 offset0:3 offset1:4
	;; [unrolled: 1-line block ×3, first 2 shown]
	s_wait_dscnt 0x2
	v_dual_add_f32 v16, v16, v36 :: v_dual_add_f32 v17, v17, v37
	s_delay_alu instid0(VALU_DEP_1) | instskip(SKIP_3) | instid1(VALU_DEP_1)
	v_dual_add_f32 v36, v18, v16 :: v_dual_add_f32 v37, v19, v17
	ds_load_2addr_b64 v[16:19], v176 offset0:7 offset1:8
	s_wait_dscnt 0x2
	v_dual_add_f32 v20, v36, v20 :: v_dual_add_f32 v21, v37, v21
	v_dual_add_f32 v36, v20, v22 :: v_dual_add_f32 v37, v21, v23
	ds_load_2addr_b64 v[20:23], v176 offset0:9 offset1:10
	s_wait_dscnt 0x2
	v_pk_add_f32 v[32:33], v[36:37], v[32:33]
	s_delay_alu instid0(VALU_DEP_1) | instskip(SKIP_3) | instid1(VALU_DEP_1)
	v_pk_add_f32 v[36:37], v[32:33], v[34:35]
	ds_load_2addr_b64 v[32:35], v176 offset0:11 offset1:12
	s_wait_dscnt 0x2
	v_pk_add_f32 v[16:17], v[36:37], v[16:17]
	v_pk_add_f32 v[16:17], v[16:17], v[18:19]
	s_wait_dscnt 0x1
	s_delay_alu instid0(VALU_DEP_1)
	v_pk_add_f32 v[20:21], v[16:17], v[20:21]
	ds_load_2addr_b64 v[16:19], v176 offset0:13 offset1:14
	v_pk_add_f32 v[20:21], v[20:21], v[22:23]
	ds_load_b64 v[22:23], v177
	s_wait_dscnt 0x2
	v_pk_add_f32 v[20:21], v[20:21], v[32:33]
	s_delay_alu instid0(VALU_DEP_1) | instskip(SKIP_1) | instid1(VALU_DEP_1)
	v_pk_add_f32 v[20:21], v[20:21], v[34:35]
	s_wait_dscnt 0x1
	v_pk_add_f32 v[16:17], v[20:21], v[16:17]
	s_delay_alu instid0(VALU_DEP_1) | instskip(SKIP_2) | instid1(VALU_DEP_2)
	v_pk_add_f32 v[16:17], v[16:17], v[18:19]
	v_add_nc_u32_e32 v18, s58, v172
	s_wait_dscnt 0x0
	v_pk_add_f32 v[16:17], v[16:17], v[22:23]
	global_store_b64 v18, v[16:17], s[56:57] scale_offset
	s_branch .LBB116_67
.LBB116_123:                            ;   in Loop: Header=BB116_4 Depth=1
	ds_store_b64 v186, v[104:105]
	s_wait_dscnt 0x0
	s_barrier_signal -1
	s_barrier_wait -1
	s_and_saveexec_b32 s58, s63
	s_cbranch_execz .LBB116_2
; %bb.124:                              ;   in Loop: Header=BB116_4 Depth=1
	ds_load_2addr_b64 v[0:3], v60 offset1:67
	ds_load_2addr_b64 v[4:7], v60 offset0:134 offset1:201
	s_wait_dscnt 0x1
	v_pk_add_f32 v[0:1], v[2:3], v[0:1]
	v_lshl_add_u64 v[2:3], v[62:63], 3, s[56:57]
	s_wait_dscnt 0x0
	s_delay_alu instid0(VALU_DEP_2) | instskip(NEXT) | instid1(VALU_DEP_1)
	v_pk_add_f32 v[0:1], v[4:5], v[0:1]
	v_pk_add_f32 v[0:1], v[0:1], v[6:7]
	global_store_b64 v[2:3], v[0:1], off
	s_branch .LBB116_2
.LBB116_125:                            ;   in Loop: Header=BB116_4 Depth=1
	ds_load_b64 v[2:3], v182
	s_wait_dscnt 0x0
	ds_store_b64 v174, v[2:3]
	s_or_b32 exec_lo, exec_lo, s56
	s_and_saveexec_b32 s56, s10
	s_cbranch_execz .LBB116_25
.LBB116_126:                            ;   in Loop: Header=BB116_4 Depth=1
	ds_load_b64 v[2:3], v183
	s_wait_dscnt 0x0
	ds_store_b64 v174, v[2:3] offset:8
	s_or_b32 exec_lo, exec_lo, s56
	s_and_saveexec_b32 s56, s5
	s_cbranch_execz .LBB116_26
.LBB116_127:                            ;   in Loop: Header=BB116_4 Depth=1
	ds_load_b64 v[2:3], v183 offset:264
	s_wait_dscnt 0x0
	ds_store_b64 v174, v[2:3] offset:16
	s_or_b32 exec_lo, exec_lo, s56
	s_and_saveexec_b32 s56, s6
	s_cbranch_execnz .LBB116_27
	s_branch .LBB116_28
.LBB116_128:                            ;   in Loop: Header=BB116_4 Depth=1
	ds_load_b64 v[2:3], v182
	s_wait_dscnt 0x0
	ds_store_b64 v174, v[2:3]
	s_or_b32 exec_lo, exec_lo, s56
	s_and_saveexec_b32 s56, s10
	s_cbranch_execz .LBB116_44
.LBB116_129:                            ;   in Loop: Header=BB116_4 Depth=1
	ds_load_b64 v[2:3], v183
	s_wait_dscnt 0x0
	ds_store_b64 v174, v[2:3] offset:8
	s_or_b32 exec_lo, exec_lo, s56
	s_and_saveexec_b32 s56, s5
	s_cbranch_execz .LBB116_45
.LBB116_130:                            ;   in Loop: Header=BB116_4 Depth=1
	ds_load_b64 v[2:3], v183 offset:264
	s_wait_dscnt 0x0
	ds_store_b64 v174, v[2:3] offset:16
	s_or_b32 exec_lo, exec_lo, s56
	s_and_saveexec_b32 s56, s6
	s_cbranch_execnz .LBB116_46
	s_branch .LBB116_47
.LBB116_131:
	s_sendmsg sendmsg(MSG_DEALLOC_VGPRS)
	s_endpgm
	.section	.rodata,"a",@progbits
	.p2align	6, 0x0
	.amdhsa_kernel _ZL26rocblas_hemvn_kernel_upperILb0ELi64ELi4ELi33ELi32ELi16El19rocblas_complex_numIfEPKS1_PS1_EviT6_lT7_lT5_lS6_lS7_lS5_lT8_i
		.amdhsa_group_segment_fixed_size 9600
		.amdhsa_private_segment_fixed_size 0
		.amdhsa_kernarg_size 376
		.amdhsa_user_sgpr_count 2
		.amdhsa_user_sgpr_dispatch_ptr 0
		.amdhsa_user_sgpr_queue_ptr 0
		.amdhsa_user_sgpr_kernarg_segment_ptr 1
		.amdhsa_user_sgpr_dispatch_id 0
		.amdhsa_user_sgpr_kernarg_preload_length 0
		.amdhsa_user_sgpr_kernarg_preload_offset 0
		.amdhsa_user_sgpr_private_segment_size 0
		.amdhsa_wavefront_size32 1
		.amdhsa_uses_dynamic_stack 0
		.amdhsa_enable_private_segment 0
		.amdhsa_system_sgpr_workgroup_id_x 1
		.amdhsa_system_sgpr_workgroup_id_y 0
		.amdhsa_system_sgpr_workgroup_id_z 1
		.amdhsa_system_sgpr_workgroup_info 0
		.amdhsa_system_vgpr_workitem_id 1
		.amdhsa_next_free_vgpr 224
		.amdhsa_next_free_sgpr 72
		.amdhsa_named_barrier_count 0
		.amdhsa_reserve_vcc 1
		.amdhsa_float_round_mode_32 0
		.amdhsa_float_round_mode_16_64 0
		.amdhsa_float_denorm_mode_32 3
		.amdhsa_float_denorm_mode_16_64 3
		.amdhsa_fp16_overflow 0
		.amdhsa_memory_ordered 1
		.amdhsa_forward_progress 1
		.amdhsa_inst_pref_size 66
		.amdhsa_round_robin_scheduling 0
		.amdhsa_exception_fp_ieee_invalid_op 0
		.amdhsa_exception_fp_denorm_src 0
		.amdhsa_exception_fp_ieee_div_zero 0
		.amdhsa_exception_fp_ieee_overflow 0
		.amdhsa_exception_fp_ieee_underflow 0
		.amdhsa_exception_fp_ieee_inexact 0
		.amdhsa_exception_int_div_zero 0
	.end_amdhsa_kernel
	.section	.text._ZL26rocblas_hemvn_kernel_upperILb0ELi64ELi4ELi33ELi32ELi16El19rocblas_complex_numIfEPKS1_PS1_EviT6_lT7_lT5_lS6_lS7_lS5_lT8_i,"axG",@progbits,_ZL26rocblas_hemvn_kernel_upperILb0ELi64ELi4ELi33ELi32ELi16El19rocblas_complex_numIfEPKS1_PS1_EviT6_lT7_lT5_lS6_lS7_lS5_lT8_i,comdat
.Lfunc_end116:
	.size	_ZL26rocblas_hemvn_kernel_upperILb0ELi64ELi4ELi33ELi32ELi16El19rocblas_complex_numIfEPKS1_PS1_EviT6_lT7_lT5_lS6_lS7_lS5_lT8_i, .Lfunc_end116-_ZL26rocblas_hemvn_kernel_upperILb0ELi64ELi4ELi33ELi32ELi16El19rocblas_complex_numIfEPKS1_PS1_EviT6_lT7_lT5_lS6_lS7_lS5_lT8_i
                                        ; -- End function
	.set _ZL26rocblas_hemvn_kernel_upperILb0ELi64ELi4ELi33ELi32ELi16El19rocblas_complex_numIfEPKS1_PS1_EviT6_lT7_lT5_lS6_lS7_lS5_lT8_i.num_vgpr, 224
	.set _ZL26rocblas_hemvn_kernel_upperILb0ELi64ELi4ELi33ELi32ELi16El19rocblas_complex_numIfEPKS1_PS1_EviT6_lT7_lT5_lS6_lS7_lS5_lT8_i.num_agpr, 0
	.set _ZL26rocblas_hemvn_kernel_upperILb0ELi64ELi4ELi33ELi32ELi16El19rocblas_complex_numIfEPKS1_PS1_EviT6_lT7_lT5_lS6_lS7_lS5_lT8_i.numbered_sgpr, 72
	.set _ZL26rocblas_hemvn_kernel_upperILb0ELi64ELi4ELi33ELi32ELi16El19rocblas_complex_numIfEPKS1_PS1_EviT6_lT7_lT5_lS6_lS7_lS5_lT8_i.num_named_barrier, 0
	.set _ZL26rocblas_hemvn_kernel_upperILb0ELi64ELi4ELi33ELi32ELi16El19rocblas_complex_numIfEPKS1_PS1_EviT6_lT7_lT5_lS6_lS7_lS5_lT8_i.private_seg_size, 0
	.set _ZL26rocblas_hemvn_kernel_upperILb0ELi64ELi4ELi33ELi32ELi16El19rocblas_complex_numIfEPKS1_PS1_EviT6_lT7_lT5_lS6_lS7_lS5_lT8_i.uses_vcc, 1
	.set _ZL26rocblas_hemvn_kernel_upperILb0ELi64ELi4ELi33ELi32ELi16El19rocblas_complex_numIfEPKS1_PS1_EviT6_lT7_lT5_lS6_lS7_lS5_lT8_i.uses_flat_scratch, 0
	.set _ZL26rocblas_hemvn_kernel_upperILb0ELi64ELi4ELi33ELi32ELi16El19rocblas_complex_numIfEPKS1_PS1_EviT6_lT7_lT5_lS6_lS7_lS5_lT8_i.has_dyn_sized_stack, 0
	.set _ZL26rocblas_hemvn_kernel_upperILb0ELi64ELi4ELi33ELi32ELi16El19rocblas_complex_numIfEPKS1_PS1_EviT6_lT7_lT5_lS6_lS7_lS5_lT8_i.has_recursion, 0
	.set _ZL26rocblas_hemvn_kernel_upperILb0ELi64ELi4ELi33ELi32ELi16El19rocblas_complex_numIfEPKS1_PS1_EviT6_lT7_lT5_lS6_lS7_lS5_lT8_i.has_indirect_call, 0
	.section	.AMDGPU.csdata,"",@progbits
; Kernel info:
; codeLenInByte = 8388
; TotalNumSgprs: 74
; NumVgprs: 224
; ScratchSize: 0
; MemoryBound: 1
; FloatMode: 240
; IeeeMode: 1
; LDSByteSize: 9600 bytes/workgroup (compile time only)
; SGPRBlocks: 0
; VGPRBlocks: 13
; NumSGPRsForWavesPerEU: 74
; NumVGPRsForWavesPerEU: 224
; NamedBarCnt: 0
; Occupancy: 4
; WaveLimiterHint : 1
; COMPUTE_PGM_RSRC2:SCRATCH_EN: 0
; COMPUTE_PGM_RSRC2:USER_SGPR: 2
; COMPUTE_PGM_RSRC2:TRAP_HANDLER: 0
; COMPUTE_PGM_RSRC2:TGID_X_EN: 1
; COMPUTE_PGM_RSRC2:TGID_Y_EN: 0
; COMPUTE_PGM_RSRC2:TGID_Z_EN: 1
; COMPUTE_PGM_RSRC2:TIDIG_COMP_CNT: 1
	.section	.text._ZL26rocblas_hemvn_kernel_upperILb0ELi64ELi4ELi33ELi32ELi16Ei19rocblas_complex_numIfEPKS1_PS1_EviT6_lT7_lT5_lS6_lS7_lS5_lT8_i,"axG",@progbits,_ZL26rocblas_hemvn_kernel_upperILb0ELi64ELi4ELi33ELi32ELi16Ei19rocblas_complex_numIfEPKS1_PS1_EviT6_lT7_lT5_lS6_lS7_lS5_lT8_i,comdat
	.globl	_ZL26rocblas_hemvn_kernel_upperILb0ELi64ELi4ELi33ELi32ELi16Ei19rocblas_complex_numIfEPKS1_PS1_EviT6_lT7_lT5_lS6_lS7_lS5_lT8_i ; -- Begin function _ZL26rocblas_hemvn_kernel_upperILb0ELi64ELi4ELi33ELi32ELi16Ei19rocblas_complex_numIfEPKS1_PS1_EviT6_lT7_lT5_lS6_lS7_lS5_lT8_i
	.p2align	8
	.type	_ZL26rocblas_hemvn_kernel_upperILb0ELi64ELi4ELi33ELi32ELi16Ei19rocblas_complex_numIfEPKS1_PS1_EviT6_lT7_lT5_lS6_lS7_lS5_lT8_i,@function
_ZL26rocblas_hemvn_kernel_upperILb0ELi64ELi4ELi33ELi32ELi16Ei19rocblas_complex_numIfEPKS1_PS1_EviT6_lT7_lT5_lS6_lS7_lS5_lT8_i: ; @_ZL26rocblas_hemvn_kernel_upperILb0ELi64ELi4ELi33ELi32ELi16Ei19rocblas_complex_numIfEPKS1_PS1_EviT6_lT7_lT5_lS6_lS7_lS5_lT8_i
; %bb.0:
	s_clause 0x1
	s_load_b64 s[2:3], s[0:1], 0x84
	s_load_b32 s33, s[0:1], 0x70
	s_bfe_u32 s4, ttmp6, 0x40014
	s_lshr_b32 s5, ttmp7, 16
	s_add_co_i32 s4, s4, 1
	s_bfe_u32 s6, ttmp6, 0x40008
	s_mul_i32 s4, s5, s4
	s_getreg_b32 s10, hwreg(HW_REG_IB_STS2, 6, 4)
	s_add_co_i32 s6, s6, s4
	s_mov_b32 s29, 0
	s_wait_kmcnt 0x0
	s_lshr_b32 s4, s2, 16
	s_and_b32 s2, s2, 0xffff
	s_and_b32 s3, s3, 0xffff
	s_mul_i32 s2, s4, s2
	s_cmp_eq_u32 s10, 0
	s_mul_i32 s2, s2, s3
	s_cselect_b32 s28, s5, s6
	s_cmp_lg_u32 s2, 0x100
	s_cselect_b32 s2, -1, 0
	s_cmp_ge_u32 s28, s33
	s_cselect_b32 s3, -1, 0
	s_delay_alu instid0(SALU_CYCLE_1) | instskip(NEXT) | instid1(SALU_CYCLE_1)
	s_or_b32 s2, s2, s3
	s_and_b32 vcc_lo, exec_lo, s2
	s_cbranch_vccnz .LBB117_131
; %bb.1:
	s_clause 0x7
	s_load_b32 s2, s[0:1], 0x0
	s_load_b32 s52, s[0:1], 0x28
	s_load_b64 s[12:13], s[0:1], 0x4
	s_load_b96 s[16:18], s[0:1], 0x40
	s_load_b128 s[4:7], s[0:1], 0x18
	s_load_b128 s[20:23], s[0:1], 0x30
	;; [unrolled: 1-line block ×3, first 2 shown]
	s_load_b64 s[8:9], s[0:1], 0x68
	s_add_nc_u64 s[14:15], s[0:1], 0x78
	s_wait_xcnt 0x0
	s_bfe_u32 s0, ttmp6, 0x4000c
	s_and_b32 s1, ttmp6, 15
	s_add_co_i32 s0, s0, 1
	v_and_b32_e32 v188, 0x3ff, v0
	s_mul_i32 s0, ttmp9, s0
	v_bfe_u32 v1, v0, 10, 10
	s_add_co_i32 s1, s1, s0
	s_load_b32 s30, s[14:15], 0x0
	s_mov_b32 s31, s29
	v_mov_b64_e32 v[110:111], 0
	v_lshl_add_u32 v6, v1, 6, v188
	v_and_b32_e32 v56, 31, v0
	s_wait_kmcnt 0x0
	s_ashr_i32 s3, s2, 31
	s_ashr_i32 s53, s52, 31
	s_cmp_eq_u32 s10, 0
	v_lshrrev_b32_e32 v7, 5, v6
	s_cselect_b32 s34, ttmp9, s1
	s_or_b32 s0, s12, s13
	s_lshl_b64 s[10:11], s[16:17], 3
	s_bitset0_b32 s0, 31
	s_lshl_b64 s[6:7], s[6:7], 3
	s_cmp_lg_u32 s0, 0
	v_mad_u32 v2, s52, v7, v56
	s_cselect_b32 s54, -1, 0
	s_cmp_neq_f32 s26, 1.0
	s_add_nc_u64 s[10:11], s[22:23], s[10:11]
	s_add_nc_u64 s[4:5], s[4:5], s[6:7]
	v_dual_mov_b32 v63, 0 :: v_dual_lshlrev_b32 v190, 3, v56
	s_cselect_b32 s19, -1, 0
	s_cmp_neq_f32 s27, 0
	v_dual_lshlrev_b32 v196, 2, v1 :: v_dual_lshlrev_b32 v189, 3, v188
	s_delay_alu instid0(VALU_DEP_2)
	v_mov_b32_e32 v57, v63
	s_cselect_b32 s48, -1, 0
	s_lshl_b32 s46, s34, 6
	s_lshr_b32 s1, s3, 26
	v_add_nc_u32_e32 v58, s46, v188
	s_add_co_i32 s1, s2, s1
	s_add_co_i32 s12, s30, -1
	s_and_not1_b32 s1, s1, 63
	s_mul_u64 s[26:27], s[30:31], s[2:3]
	v_mul_lo_u32 v4, s18, v58
	s_sub_co_i32 s60, s2, s1
	s_cmp_eq_u32 s34, s12
	v_ashrrev_i32_e32 v3, 31, v2
	s_cselect_b32 s22, s60, 0
	v_lshl_or_b32 v192, v56, 8, v190
	s_cmp_lg_u32 s22, 0
	v_and_b32_e32 v10, 0x7fe0, v6
	s_cselect_b32 s61, -1, 0
	s_cmp_eq_u32 s22, 0
	s_delay_alu instid0(VALU_DEP_4)
	v_dual_lshlrev_b32 v9, 2, v7 :: v_dual_ashrrev_i32 v5, 31, v4
	v_lshlrev_b64_e32 v[2:3], 3, v[2:3]
	s_cselect_b32 s1, -1, 0
	s_ashr_i32 s47, s46, 31
	s_ashr_i32 s35, s34, 31
	s_lshl_b64 s[6:7], s[46:47], 3
	v_lshl_add_u64 v[60:61], v[4:5], 3, s[10:11]
	s_add_nc_u64 s[4:5], s[4:5], s[6:7]
	s_mul_u64 s[6:7], s[2:3], s[34:35]
	v_add_nc_u64_e32 v[4:5], s[4:5], v[2:3]
	s_mul_i32 s4, s52, s46
	v_add_nc_u32_e32 v8, 24, v7
	s_ashr_i32 s5, s4, 31
	s_lshl_b64 s[2:3], s[6:7], 3
	s_sub_co_i32 s15, s22, 32
	s_add_nc_u64 s[36:37], s[8:9], s[2:3]
	v_lshl_add_u64 v[64:65], s[4:5], 3, v[4:5]
	v_dual_add_nc_u32 v4, 8, v7 :: v_dual_add_nc_u32 v5, 16, v7
	v_cmp_gt_i32_e64 s5, s22, v8
	v_cmp_gt_i32_e64 s12, s15, v7
	v_add_nc_u32_e32 v193, v192, v10
	s_delay_alu instid0(VALU_DEP_4)
	v_cmp_gt_i32_e64 s3, s22, v4
	v_cmp_gt_i32_e64 s13, s15, v4
	;; [unrolled: 1-line block ×4, first 2 shown]
	v_and_b32_e32 v8, 15, v0
	v_mad_u32 v4, s52, v196, v188
	v_cmp_gt_u32_e64 s6, v9, v56
	v_dual_lshlrev_b32 v15, 3, v7 :: v_dual_bitop2_b32 v11, 1, v9 bitop3:0x54
	v_cmp_ge_u32_e64 s7, v9, v56
	v_or_b32_e32 v13, 2, v9
	v_or_b32_e32 v9, 3, v9
	v_cmp_gt_i32_e32 vcc_lo, s22, v188
	v_cmp_gt_i32_e64 s2, s22, v7
	v_mul_u32_u24_e32 v191, 0x108, v7
	v_cmp_gt_i32_e64 s4, s22, v5
	v_mul_u32_u24_e32 v12, 0x420, v7
	v_cmp_eq_u32_e64 s16, 1, v7
	v_mul_i32_i24_e32 v197, 0xffffffe8, v7
	v_dual_lshrrev_b32 v7, 4, v6 :: v_dual_ashrrev_i32 v5, 31, v4
	v_cmp_gt_u32_e64 s9, v9, v56
	v_dual_ashrrev_i32 v59, 31, v58 :: v_dual_bitop2_b32 v9, 32, v56 bitop3:0x54
	v_and_b32_e32 v0, 48, v0
	s_lshl_b32 s44, s52, 5
	s_or_b32 s49, s1, vcc_lo
	s_lshl_b32 s38, s52, 3
	s_lshl_b32 s40, s52, 4
	s_mul_i32 s42, s52, 24
	s_ashr_i32 s45, s44, 31
	s_mul_i32 s46, s18, s46
	v_cmp_gt_i32_e64 s11, s22, v9
	s_add_co_i32 s55, s34, 1
	v_dual_lshlrev_b32 v9, 5, v7 :: v_dual_lshlrev_b32 v0, 3, v0
	v_add_nc_u32_e32 v205, v192, v15
	s_xor_b32 s62, s49, -1
	s_ashr_i32 s23, s22, 31
	s_ashr_i32 s39, s38, 31
	;; [unrolled: 1-line block ×5, first 2 shown]
	v_sub_nc_u64_e32 v[66:67], 0, v[2:3]
	v_add_nc_u64_e32 v[2:3], s[44:45], v[4:5]
	s_cmp_lt_u32 s55, s30
	v_cmp_eq_u32_e64 s0, 0, v1
	s_cselect_b32 s31, -1, 0
	s_lshl_b32 s50, s52, 1
	v_lshl_add_u32 v198, v1, 5, 0x2180
	v_mad_u32_u24 v199, 0x860, v1, v189
	v_mad_u32_u24 v201, 0x218, v8, v0
	;; [unrolled: 1-line block ×3, first 2 shown]
	v_lshlrev_b64_e32 v[0:1], 3, v[4:5]
	s_mul_i32 s56, s52, 3
	s_ashr_i32 s51, s50, 31
	s_lshl_b32 s63, s18, 6
	s_ashr_i32 s57, s56, 31
	s_or_b32 s65, s19, s48
	s_mul_i32 s55, s18, s55
	s_lshl_b64 s[18:19], s[44:45], 3
	s_lshl_b64 s[72:73], s[50:51], 3
	v_lshlrev_b64_e32 v[2:3], 3, v[2:3]
	s_lshl_b64 s[58:59], s[52:53], 3
	s_add_nc_u64 s[50:51], s[18:19], s[72:73]
	s_lshl_b64 s[56:57], s[56:57], 3
	s_add_nc_u64 s[70:71], s[58:59], s[18:19]
	v_add_nc_u64_e32 v[74:75], s[50:51], v[0:1]
	s_add_nc_u64 s[50:51], s[18:19], s[56:57]
	s_lshl_b64 s[74:75], s[40:41], 3
	v_add_nc_u64_e32 v[72:73], s[70:71], v[0:1]
	v_add_nc_u64_e32 v[76:77], s[50:51], v[0:1]
	s_add_nc_u64 s[50:51], s[18:19], s[74:75]
	s_add_nc_u64 s[70:71], s[70:71], s[74:75]
	v_mad_nc_i64_i32 v[98:99], s40, 24, v[2:3]
	s_lshl_b64 s[66:67], s[52:53], 4
	v_add_nc_u64_e32 v[80:81], s[70:71], v[0:1]
	s_add_nc_u64 s[70:71], s[50:51], s[72:73]
	s_add_nc_u64 s[68:69], s[66:67], s[18:19]
	v_add_nc_u64_e32 v[82:83], s[70:71], v[0:1]
	s_lshl_b64 s[70:71], s[40:41], 4
	v_add_nc_u64_e32 v[68:69], s[18:19], v[0:1]
	v_add_nc_u64_e32 v[78:79], s[50:51], v[0:1]
	s_add_nc_u64 s[74:75], s[68:69], s[74:75]
	s_add_nc_u64 s[50:51], s[50:51], s[56:57]
	s_add_nc_u64 s[18:19], s[70:71], s[18:19]
	v_add_nc_u64_e32 v[70:71], s[68:69], v[0:1]
	v_add_nc_u64_e32 v[84:85], s[74:75], v[0:1]
	;; [unrolled: 1-line block ×4, first 2 shown]
	s_add_nc_u64 s[50:51], s[18:19], s[58:59]
	s_add_nc_u64 s[74:75], s[18:19], s[72:73]
	;; [unrolled: 1-line block ×4, first 2 shown]
	s_mul_u64 s[70:71], s[40:41], 24
	v_mul_u32_u24_e32 v11, 0x108, v11
	v_mul_u32_u24_e32 v14, 33, v56
	v_add_nc_u32_e32 v194, 0x2380, v10
	v_or_b32_e32 v10, 0x78, v189
	v_mad_u32_u24 v200, 0x218, v8, v9
	v_mul_i32_i24_e32 v7, 0xffffffe8, v7
	v_add_nc_u64_e32 v[96:97], s[18:19], v[0:1]
	s_add_nc_u64 s[18:19], s[70:71], s[66:67]
	v_add_nc_u64_e32 v[90:91], s[50:51], v[0:1]
	v_add_nc_u64_e32 v[92:93], s[74:75], v[0:1]
	;; [unrolled: 1-line block ×4, first 2 shown]
	v_sub_nc_u64_e32 v[102:103], 0, v[56:57]
	v_add_nc_u64_e32 v[104:105], s[58:59], v[98:99]
	v_add_nc_u64_e32 v[106:107], s[72:73], v[98:99]
	;; [unrolled: 1-line block ×3, first 2 shown]
	v_cmp_gt_i32_e64 s1, s22, v56
	v_cmp_gt_u32_e64 s8, v13, v56
	v_lshl_add_u32 v195, v14, 3, v15
	v_cmp_gt_u32_e64 s10, 32, v6
	v_cmp_gt_u32_e64 s17, 64, v6
	v_mad_u32_u24 v202, 0x218, v8, v10
	v_cndmask_b32_e64 v204, 0, 1, s54
	v_add_nc_u32_e32 v206, 0x2380, v15
	v_dual_add_nc_u32 v207, v200, v7 :: v_dual_add_nc_u32 v208, v190, v12
	v_dual_add_nc_u32 v209, v190, v11 :: v_dual_bitop2_b32 v212, 1, v196 bitop3:0x54
	v_add_nc_u32_e32 v210, 0x2380, v189
	v_add_nc_u32_e32 v211, 0x2180, v189
	v_dual_add_nc_u32 v215, 16, v196 :: v_dual_bitop2_b32 v213, 2, v196 bitop3:0x54
	v_dual_add_nc_u32 v216, 17, v196 :: v_dual_bitop2_b32 v214, 3, v196 bitop3:0x54
	v_dual_add_nc_u32 v217, 18, v196 :: v_dual_add_nc_u32 v218, 19, v196
	v_dual_add_nc_u32 v219, 32, v196 :: v_dual_add_nc_u32 v220, 33, v196
	;; [unrolled: 1-line block ×5, first 2 shown]
	v_add_nc_u32_e32 v227, 64, v58
	s_sub_nc_u64 s[46:47], 0, s[46:47]
	s_add_co_i32 s35, s30, -2
	s_and_b32 s64, s0, s49
	s_sub_nc_u64 s[48:49], 0, s[22:23]
	s_mov_b64 s[18:19], 0xffffffffffffff00
	s_mov_b64 s[50:51], 0xfffffffffffffef8
	s_or_b32 s65, s65, s54
	s_lshl_b64 s[52:53], s[52:53], 6
	s_lshl_b32 s66, s55, 6
	s_lshl_b64 s[54:55], s[40:41], 5
	s_branch .LBB117_4
.LBB117_2:                              ;   in Loop: Header=BB117_4 Depth=1
	s_wait_xcnt 0x0
	s_or_b32 exec_lo, exec_lo, s58
.LBB117_3:                              ;   in Loop: Header=BB117_4 Depth=1
	s_add_co_i32 s28, s28, 0x10000
	s_delay_alu instid0(SALU_CYCLE_1)
	s_cmp_lt_u32 s28, s33
	s_cbranch_scc0 .LBB117_131
.LBB117_4:                              ; =>This Loop Header: Depth=1
                                        ;     Child Loop BB117_68 Depth 2
	s_and_not1_b32 vcc_lo, exec_lo, s65
	s_cbranch_vccnz .LBB117_3
; %bb.5:                                ;   in Loop: Header=BB117_4 Depth=1
	v_cmp_ne_u32_e32 vcc_lo, 1, v204
	s_cbranch_vccnz .LBB117_3
; %bb.6:                                ;   in Loop: Header=BB117_4 Depth=1
	s_mul_u64 s[56:57], s[24:25], s[28:29]
	s_delay_alu instid0(SALU_CYCLE_1)
	v_lshl_add_u64 v[12:13], s[56:57], 3, v[60:61]
	s_and_saveexec_b32 s56, s0
	s_cbranch_execz .LBB117_11
; %bb.7:                                ;   in Loop: Header=BB117_4 Depth=1
	s_and_saveexec_b32 s57, s62
	s_delay_alu instid0(SALU_CYCLE_1)
	s_xor_b32 s57, exec_lo, s57
; %bb.8:                                ;   in Loop: Header=BB117_4 Depth=1
	ds_store_b64 v210, v[110:111]
; %bb.9:                                ;   in Loop: Header=BB117_4 Depth=1
	s_and_not1_saveexec_b32 s57, s57
	s_cbranch_execz .LBB117_11
; %bb.10:                               ;   in Loop: Header=BB117_4 Depth=1
	global_load_b64 v[0:1], v[12:13], off
	s_wait_loadcnt 0x0
	ds_store_b64 v210, v[0:1]
.LBB117_11:                             ;   in Loop: Header=BB117_4 Depth=1
	s_wait_xcnt 0x0
	s_or_b32 exec_lo, exec_lo, s56
	s_mul_u64 s[56:57], s[20:21], s[28:29]
	s_and_b32 vcc_lo, exec_lo, s61
	v_lshl_add_u64 v[2:3], s[56:57], 3, v[64:65]
	s_mov_b32 s56, -1
                                        ; implicit-def: $vgpr0_vgpr1
	s_cbranch_vccz .LBB117_21
; %bb.12:                               ;   in Loop: Header=BB117_4 Depth=1
	s_delay_alu instid0(VALU_DEP_1) | instskip(SKIP_2) | instid1(VALU_DEP_3)
	v_lshl_add_u64 v[0:1], v[102:103], 3, v[2:3]
	v_dual_mov_b32 v6, 0 :: v_dual_mov_b32 v4, 0
	v_mov_b32_e32 v5, 0
	v_lshl_add_u64 v[0:1], s[22:23], 3, v[0:1]
	s_delay_alu instid0(VALU_DEP_1) | instskip(NEXT) | instid1(VALU_DEP_1)
	v_add_nc_u64_e32 v[0:1], -8, v[0:1]
	v_dual_cndmask_b32 v1, v1, v3, s1 :: v_dual_cndmask_b32 v0, v0, v2, s1
	s_and_saveexec_b32 s56, s2
	s_cbranch_execz .LBB117_14
; %bb.13:                               ;   in Loop: Header=BB117_4 Depth=1
	global_load_b64 v[4:5], v[0:1], off
.LBB117_14:                             ;   in Loop: Header=BB117_4 Depth=1
	s_wait_xcnt 0x0
	s_or_b32 exec_lo, exec_lo, s56
	v_dual_mov_b32 v7, 0 :: v_dual_add_nc_u32 v10, v190, v191
	s_wait_loadcnt 0x0
	ds_store_b64 v10, v[4:5]
	s_and_saveexec_b32 s56, s3
	s_cbranch_execz .LBB117_16
; %bb.15:                               ;   in Loop: Header=BB117_4 Depth=1
	v_lshl_add_u64 v[4:5], s[38:39], 3, v[0:1]
	global_load_b64 v[6:7], v[4:5], off
.LBB117_16:                             ;   in Loop: Header=BB117_4 Depth=1
	s_wait_xcnt 0x0
	s_or_b32 exec_lo, exec_lo, s56
	v_dual_mov_b32 v4, 0 :: v_dual_mov_b32 v8, 0
	v_mov_b32_e32 v9, 0
	s_wait_loadcnt 0x0
	ds_store_b64 v10, v[6:7] offset:2112
	s_and_saveexec_b32 s56, s4
	s_cbranch_execz .LBB117_18
; %bb.17:                               ;   in Loop: Header=BB117_4 Depth=1
	v_lshl_add_u64 v[6:7], s[40:41], 3, v[0:1]
	global_load_b64 v[8:9], v[6:7], off
.LBB117_18:                             ;   in Loop: Header=BB117_4 Depth=1
	s_wait_xcnt 0x0
	s_or_b32 exec_lo, exec_lo, s56
	v_mov_b32_e32 v5, 0
	s_wait_loadcnt 0x0
	ds_store_b64 v10, v[8:9] offset:4224
	s_and_saveexec_b32 s56, s5
	s_cbranch_execz .LBB117_20
; %bb.19:                               ;   in Loop: Header=BB117_4 Depth=1
	v_lshl_add_u64 v[4:5], s[42:43], 3, v[0:1]
	global_load_b64 v[4:5], v[4:5], off
.LBB117_20:                             ;   in Loop: Header=BB117_4 Depth=1
	s_wait_xcnt 0x0
	s_or_b32 exec_lo, exec_lo, s56
	v_lshlrev_b32_e32 v62, 3, v56
	s_mov_b32 s56, 0
	s_wait_loadcnt 0x0
	ds_store_b64 v10, v[4:5] offset:6336
	v_add_nc_u64_e32 v[0:1], v[0:1], v[62:63]
	s_delay_alu instid0(VALU_DEP_1) | instskip(NEXT) | instid1(VALU_DEP_1)
	v_lshl_add_u64 v[0:1], s[48:49], 3, v[0:1]
	v_add_nc_u64_e32 v[0:1], 8, v[0:1]
	s_delay_alu instid0(VALU_DEP_1)
	v_dual_cndmask_b32 v1, v1, v3, s1 :: v_dual_cndmask_b32 v0, v0, v2, s1
.LBB117_21:                             ;   in Loop: Header=BB117_4 Depth=1
	v_add_nc_u32_e32 v16, v190, v191
	s_and_b32 vcc_lo, exec_lo, s56
	s_cbranch_vccz .LBB117_23
; %bb.22:                               ;   in Loop: Header=BB117_4 Depth=1
	v_lshl_add_u64 v[0:1], s[38:39], 3, v[2:3]
	s_delay_alu instid0(VALU_DEP_1) | instskip(NEXT) | instid1(VALU_DEP_1)
	v_add_nc_u64_e32 v[4:5], s[52:53], v[0:1]
	v_add_nc_u64_e32 v[6:7], s[52:53], v[4:5]
	s_clause 0x3
	global_load_b64 v[8:9], v[2:3], off
	global_load_b64 v[10:11], v[0:1], off
	;; [unrolled: 1-line block ×4, first 2 shown]
	s_wait_xcnt 0x2
	v_mov_b64_e32 v[0:1], v[2:3]
	s_wait_loadcnt 0x3
	ds_store_b64 v16, v[8:9]
	s_wait_loadcnt 0x2
	ds_store_b64 v16, v[10:11] offset:2112
	s_wait_loadcnt 0x1
	ds_store_b64 v16, v[4:5] offset:4224
	;; [unrolled: 2-line block ×3, first 2 shown]
.LBB117_23:                             ;   in Loop: Header=BB117_4 Depth=1
	s_wait_dscnt 0x0
	s_barrier_signal -1
	s_barrier_wait -1
	s_wait_xcnt 0x0
	s_and_saveexec_b32 s56, s6
	s_cbranch_execnz .LBB117_125
; %bb.24:                               ;   in Loop: Header=BB117_4 Depth=1
	s_or_b32 exec_lo, exec_lo, s56
	s_and_saveexec_b32 s56, s7
	s_cbranch_execnz .LBB117_126
.LBB117_25:                             ;   in Loop: Header=BB117_4 Depth=1
	s_or_b32 exec_lo, exec_lo, s56
	s_and_saveexec_b32 s56, s8
	s_cbranch_execnz .LBB117_127
.LBB117_26:                             ;   in Loop: Header=BB117_4 Depth=1
	s_or_b32 exec_lo, exec_lo, s56
	s_and_saveexec_b32 s56, s9
	s_cbranch_execz .LBB117_28
.LBB117_27:                             ;   in Loop: Header=BB117_4 Depth=1
	ds_load_b64 v[2:3], v209 offset:528
	s_wait_dscnt 0x0
	ds_store_b64 v193, v[2:3] offset:24
.LBB117_28:                             ;   in Loop: Header=BB117_4 Depth=1
	s_or_b32 exec_lo, exec_lo, s56
	s_wait_dscnt 0x0
	s_barrier_signal -1
	s_barrier_wait -1
	ds_load_b64 v[10:11], v208
	ds_load_b128 v[2:5], v194
	ds_load_2addr_b64 v[6:9], v209 offset1:33
	ds_load_b128 v[18:21], v194 offset:16
	ds_load_b64 v[14:15], v209 offset:528
	v_mov_b64_e32 v[112:113], 0
	s_wait_dscnt 0x0
	s_barrier_signal -1
	s_barrier_wait -1
	v_pk_mul_f32 v[22:23], v[2:3], v[10:11] op_sel:[1,1] op_sel_hi:[0,1]
	v_dual_mov_b32 v24, v5 :: v_dual_mov_b32 v25, v4
	v_pk_mul_f32 v[26:27], v[18:19], v[8:9] op_sel:[1,1] op_sel_hi:[0,1]
	v_dual_mov_b32 v30, v21 :: v_dual_mov_b32 v31, v20
	s_delay_alu instid0(VALU_DEP_4) | instskip(NEXT) | instid1(VALU_DEP_4)
	v_pk_fma_f32 v[28:29], v[2:3], v[10:11], v[22:23] op_sel_hi:[1,0,1]
	v_pk_mul_f32 v[24:25], v[24:25], v[6:7] op_sel:[0,1]
	v_pk_fma_f32 v[2:3], v[2:3], v[10:11], v[22:23] neg_lo:[0,0,1] neg_hi:[0,0,1]
	v_pk_fma_f32 v[22:23], v[18:19], v[8:9], v[26:27] op_sel_hi:[1,0,1]
	s_delay_alu instid0(VALU_DEP_3)
	v_pk_fma_f32 v[10:11], v[4:5], v[6:7], v[24:25] op_sel_hi:[1,0,1]
	v_mov_b32_e32 v3, v29
	v_pk_fma_f32 v[4:5], v[4:5], v[6:7], v[24:25] neg_lo:[0,0,1] neg_hi:[0,0,1]
	v_pk_mul_f32 v[28:29], v[30:31], v[14:15] op_sel:[0,1]
	v_pk_fma_f32 v[6:7], v[18:19], v[8:9], v[26:27] neg_lo:[0,0,1] neg_hi:[0,0,1]
	v_mov_b32_e32 v5, v11
	v_pk_add_f32 v[2:3], v[2:3], 0 op_sel_hi:[1,0]
	s_delay_alu instid0(VALU_DEP_4) | instskip(SKIP_1) | instid1(VALU_DEP_3)
	v_pk_fma_f32 v[8:9], v[20:21], v[14:15], v[28:29] op_sel_hi:[1,0,1]
	v_mov_b32_e32 v7, v23
	v_pk_add_f32 v[2:3], v[2:3], v[4:5]
	v_pk_fma_f32 v[4:5], v[20:21], v[14:15], v[28:29] neg_lo:[0,0,1] neg_hi:[0,0,1]
	s_delay_alu instid0(VALU_DEP_4) | instskip(NEXT) | instid1(VALU_DEP_3)
	v_mov_b32_e32 v5, v9
	v_pk_add_f32 v[2:3], v[2:3], v[6:7]
	s_delay_alu instid0(VALU_DEP_1)
	v_pk_add_f32 v[2:3], v[2:3], v[4:5]
	ds_store_b64 v195, v[2:3]
	s_wait_dscnt 0x0
	s_barrier_signal -1
	s_barrier_wait -1
	s_and_saveexec_b32 s56, s10
	s_cbranch_execz .LBB117_30
; %bb.29:                               ;   in Loop: Header=BB117_4 Depth=1
	ds_load_2addr_b64 v[2:5], v192 offset1:7
	ds_load_2addr_b64 v[6:9], v192 offset0:1 offset1:2
	ds_load_2addr_b64 v[18:21], v192 offset0:3 offset1:4
	;; [unrolled: 1-line block ×3, first 2 shown]
	s_wait_dscnt 0x2
	v_dual_add_f32 v2, v6, v2 :: v_dual_add_f32 v3, v7, v3
	s_delay_alu instid0(VALU_DEP_1) | instskip(SKIP_1) | instid1(VALU_DEP_1)
	v_dual_add_f32 v2, v8, v2 :: v_dual_add_f32 v3, v9, v3
	s_wait_dscnt 0x1
	v_dual_add_f32 v2, v2, v18 :: v_dual_add_f32 v3, v3, v19
	s_delay_alu instid0(VALU_DEP_1) | instskip(SKIP_1) | instid1(VALU_DEP_1)
	v_dual_add_f32 v2, v2, v20 :: v_dual_add_f32 v3, v3, v21
	s_wait_dscnt 0x0
	v_dual_add_f32 v2, v2, v22 :: v_dual_add_f32 v3, v3, v23
	s_delay_alu instid0(VALU_DEP_1) | instskip(NEXT) | instid1(VALU_DEP_1)
	v_dual_add_f32 v2, v2, v24 :: v_dual_add_f32 v3, v3, v25
	v_pk_add_f32 v[112:113], v[2:3], v[4:5]
.LBB117_30:                             ;   in Loop: Header=BB117_4 Depth=1
	s_or_b32 exec_lo, exec_lo, s56
	v_lshl_add_u64 v[4:5], s[44:45], 3, v[0:1]
	s_and_b32 vcc_lo, exec_lo, s61
	s_mov_b32 s56, -1
	s_barrier_signal -1
	s_delay_alu instid0(VALU_DEP_1)
	v_add_nc_u64_e32 v[2:3], 0x100, v[4:5]
	s_barrier_wait -1
                                        ; implicit-def: $vgpr0_vgpr1
	s_cbranch_vccz .LBB117_40
; %bb.31:                               ;   in Loop: Header=BB117_4 Depth=1
	v_lshl_add_u64 v[0:1], v[102:103], 3, v[4:5]
	v_dual_mov_b32 v8, 0 :: v_dual_mov_b32 v6, 0
	v_mov_b32_e32 v7, 0
	s_delay_alu instid0(VALU_DEP_3) | instskip(NEXT) | instid1(VALU_DEP_1)
	v_lshl_add_u64 v[0:1], s[22:23], 3, v[0:1]
	v_add_nc_u64_e32 v[0:1], -8, v[0:1]
	s_delay_alu instid0(VALU_DEP_1)
	v_dual_cndmask_b32 v1, v1, v3, s11 :: v_dual_cndmask_b32 v0, v0, v2, s11
	s_and_saveexec_b32 s56, s12
	s_cbranch_execz .LBB117_33
; %bb.32:                               ;   in Loop: Header=BB117_4 Depth=1
	global_load_b64 v[6:7], v[0:1], off
.LBB117_33:                             ;   in Loop: Header=BB117_4 Depth=1
	s_wait_xcnt 0x0
	s_or_b32 exec_lo, exec_lo, s56
	v_mov_b32_e32 v9, 0
	s_wait_loadcnt 0x0
	ds_store_b64 v16, v[6:7]
	s_and_saveexec_b32 s56, s13
	s_cbranch_execz .LBB117_35
; %bb.34:                               ;   in Loop: Header=BB117_4 Depth=1
	v_lshl_add_u64 v[6:7], s[38:39], 3, v[0:1]
	global_load_b64 v[8:9], v[6:7], off
.LBB117_35:                             ;   in Loop: Header=BB117_4 Depth=1
	s_wait_xcnt 0x0
	s_or_b32 exec_lo, exec_lo, s56
	v_dual_mov_b32 v6, 0 :: v_dual_mov_b32 v10, 0
	v_mov_b32_e32 v11, 0
	s_wait_loadcnt 0x0
	ds_store_b64 v16, v[8:9] offset:2112
	s_and_saveexec_b32 s56, s14
	s_cbranch_execz .LBB117_37
; %bb.36:                               ;   in Loop: Header=BB117_4 Depth=1
	v_lshl_add_u64 v[8:9], s[40:41], 3, v[0:1]
	global_load_b64 v[10:11], v[8:9], off
.LBB117_37:                             ;   in Loop: Header=BB117_4 Depth=1
	s_wait_xcnt 0x0
	s_or_b32 exec_lo, exec_lo, s56
	v_mov_b32_e32 v7, 0
	s_wait_loadcnt 0x0
	ds_store_b64 v16, v[10:11] offset:4224
	s_and_saveexec_b32 s56, s15
	s_cbranch_execz .LBB117_39
; %bb.38:                               ;   in Loop: Header=BB117_4 Depth=1
	v_lshl_add_u64 v[6:7], s[42:43], 3, v[0:1]
	global_load_b64 v[6:7], v[6:7], off
.LBB117_39:                             ;   in Loop: Header=BB117_4 Depth=1
	s_wait_xcnt 0x0
	s_or_b32 exec_lo, exec_lo, s56
	v_lshlrev_b32_e32 v62, 3, v56
	s_mov_b32 s56, 0
	s_wait_loadcnt 0x0
	ds_store_b64 v16, v[6:7] offset:6336
	v_add_nc_u64_e32 v[0:1], v[0:1], v[62:63]
	s_delay_alu instid0(VALU_DEP_1) | instskip(NEXT) | instid1(VALU_DEP_1)
	v_lshl_add_u64 v[0:1], s[48:49], 3, v[0:1]
	v_add_nc_u64_e32 v[0:1], 0x108, v[0:1]
	s_delay_alu instid0(VALU_DEP_1)
	v_dual_cndmask_b32 v1, v1, v3, s11 :: v_dual_cndmask_b32 v0, v0, v2, s11
.LBB117_40:                             ;   in Loop: Header=BB117_4 Depth=1
	s_and_b32 vcc_lo, exec_lo, s56
	s_cbranch_vccz .LBB117_42
; %bb.41:                               ;   in Loop: Header=BB117_4 Depth=1
	v_lshl_add_u64 v[0:1], s[38:39], 3, v[4:5]
	s_delay_alu instid0(VALU_DEP_1) | instskip(NEXT) | instid1(VALU_DEP_1)
	v_add_nc_u64_e32 v[6:7], s[52:53], v[0:1]
	v_add_nc_u64_e32 v[8:9], s[52:53], v[6:7]
	s_clause 0x3
	global_load_b64 v[4:5], v[4:5], off offset:256
	global_load_b64 v[10:11], v[0:1], off offset:256
	;; [unrolled: 1-line block ×4, first 2 shown]
	s_wait_xcnt 0x2
	v_mov_b64_e32 v[0:1], v[2:3]
	s_wait_loadcnt 0x3
	ds_store_b64 v16, v[4:5]
	s_wait_loadcnt 0x2
	ds_store_b64 v16, v[10:11] offset:2112
	s_wait_loadcnt 0x1
	ds_store_b64 v16, v[6:7] offset:4224
	s_wait_loadcnt 0x0
	ds_store_b64 v16, v[8:9] offset:6336
.LBB117_42:                             ;   in Loop: Header=BB117_4 Depth=1
	s_wait_dscnt 0x0
	s_barrier_signal -1
	s_barrier_wait -1
	s_wait_xcnt 0x0
	s_and_saveexec_b32 s56, s6
	s_cbranch_execnz .LBB117_128
; %bb.43:                               ;   in Loop: Header=BB117_4 Depth=1
	s_or_b32 exec_lo, exec_lo, s56
	s_and_saveexec_b32 s56, s7
	s_cbranch_execnz .LBB117_129
.LBB117_44:                             ;   in Loop: Header=BB117_4 Depth=1
	s_or_b32 exec_lo, exec_lo, s56
	s_and_saveexec_b32 s56, s8
	s_cbranch_execnz .LBB117_130
.LBB117_45:                             ;   in Loop: Header=BB117_4 Depth=1
	s_or_b32 exec_lo, exec_lo, s56
	s_and_saveexec_b32 s56, s9
	s_cbranch_execz .LBB117_47
.LBB117_46:                             ;   in Loop: Header=BB117_4 Depth=1
	ds_load_b64 v[2:3], v209 offset:528
	s_wait_dscnt 0x0
	ds_store_b64 v193, v[2:3] offset:24
.LBB117_47:                             ;   in Loop: Header=BB117_4 Depth=1
	s_or_b32 exec_lo, exec_lo, s56
	s_wait_dscnt 0x0
	s_barrier_signal -1
	s_barrier_wait -1
	ds_load_b64 v[10:11], v208
	ds_load_b128 v[2:5], v194 offset:256
	ds_load_2addr_b64 v[6:9], v209 offset1:33
	ds_load_b128 v[18:21], v194 offset:272
	ds_load_b64 v[14:15], v209 offset:528
	s_wait_dscnt 0x0
	s_barrier_signal -1
	s_barrier_wait -1
	v_pk_mul_f32 v[22:23], v[2:3], v[10:11] op_sel:[1,1] op_sel_hi:[0,1]
	v_dual_mov_b32 v24, v5 :: v_dual_mov_b32 v25, v4
	v_pk_mul_f32 v[26:27], v[18:19], v[8:9] op_sel:[1,1] op_sel_hi:[0,1]
	v_dual_mov_b32 v30, v21 :: v_dual_mov_b32 v31, v20
	s_delay_alu instid0(VALU_DEP_4) | instskip(NEXT) | instid1(VALU_DEP_4)
	v_pk_fma_f32 v[28:29], v[2:3], v[10:11], v[22:23] op_sel_hi:[1,0,1]
	v_pk_mul_f32 v[24:25], v[24:25], v[6:7] op_sel:[0,1]
	v_pk_fma_f32 v[2:3], v[2:3], v[10:11], v[22:23] neg_lo:[0,0,1] neg_hi:[0,0,1]
	v_pk_fma_f32 v[22:23], v[18:19], v[8:9], v[26:27] op_sel_hi:[1,0,1]
	s_delay_alu instid0(VALU_DEP_3)
	v_pk_fma_f32 v[10:11], v[4:5], v[6:7], v[24:25] op_sel_hi:[1,0,1]
	v_mov_b32_e32 v3, v29
	v_pk_fma_f32 v[4:5], v[4:5], v[6:7], v[24:25] neg_lo:[0,0,1] neg_hi:[0,0,1]
	v_pk_mul_f32 v[28:29], v[30:31], v[14:15] op_sel:[0,1]
	v_pk_fma_f32 v[6:7], v[18:19], v[8:9], v[26:27] neg_lo:[0,0,1] neg_hi:[0,0,1]
	v_mov_b32_e32 v5, v11
	v_pk_add_f32 v[2:3], v[2:3], 0 op_sel_hi:[1,0]
	s_delay_alu instid0(VALU_DEP_4) | instskip(SKIP_1) | instid1(VALU_DEP_3)
	v_pk_fma_f32 v[8:9], v[20:21], v[14:15], v[28:29] op_sel_hi:[1,0,1]
	v_mov_b32_e32 v7, v23
	v_pk_add_f32 v[2:3], v[2:3], v[4:5]
	v_pk_fma_f32 v[4:5], v[20:21], v[14:15], v[28:29] neg_lo:[0,0,1] neg_hi:[0,0,1]
	s_delay_alu instid0(VALU_DEP_4) | instskip(NEXT) | instid1(VALU_DEP_3)
	v_mov_b32_e32 v5, v9
	v_pk_add_f32 v[2:3], v[2:3], v[6:7]
	s_delay_alu instid0(VALU_DEP_1)
	v_pk_add_f32 v[2:3], v[2:3], v[4:5]
	ds_store_b64 v195, v[2:3]
	s_wait_dscnt 0x0
	s_barrier_signal -1
	s_barrier_wait -1
	s_and_saveexec_b32 s56, s16
	s_cbranch_execz .LBB117_49
; %bb.48:                               ;   in Loop: Header=BB117_4 Depth=1
	ds_load_2addr_b64 v[2:5], v192 offset1:7
	ds_load_2addr_b64 v[6:9], v192 offset0:1 offset1:2
	ds_load_2addr_b64 v[18:21], v192 offset0:3 offset1:4
	;; [unrolled: 1-line block ×3, first 2 shown]
	s_wait_dscnt 0x2
	v_dual_add_f32 v2, v6, v2 :: v_dual_add_f32 v3, v7, v3
	s_delay_alu instid0(VALU_DEP_1) | instskip(SKIP_1) | instid1(VALU_DEP_1)
	v_dual_add_f32 v2, v8, v2 :: v_dual_add_f32 v3, v9, v3
	s_wait_dscnt 0x1
	v_dual_add_f32 v2, v2, v18 :: v_dual_add_f32 v3, v3, v19
	s_delay_alu instid0(VALU_DEP_1) | instskip(SKIP_1) | instid1(VALU_DEP_1)
	v_dual_add_f32 v2, v2, v20 :: v_dual_add_f32 v3, v3, v21
	s_wait_dscnt 0x0
	v_dual_add_f32 v2, v2, v22 :: v_dual_add_f32 v3, v3, v23
	s_delay_alu instid0(VALU_DEP_1) | instskip(NEXT) | instid1(VALU_DEP_1)
	v_pk_add_f32 v[2:3], v[2:3], v[24:25]
	v_pk_add_f32 v[112:113], v[2:3], v[4:5]
.LBB117_49:                             ;   in Loop: Header=BB117_4 Depth=1
	s_or_b32 exec_lo, exec_lo, s56
	v_add_nc_u64_e32 v[2:3], s[18:19], v[0:1]
	s_and_b32 vcc_lo, exec_lo, s61
	s_mov_b32 s56, -1
	s_barrier_signal -1
	s_barrier_wait -1
                                        ; implicit-def: $vgpr14_vgpr15
	s_cbranch_vccz .LBB117_59
; %bb.50:                               ;   in Loop: Header=BB117_4 Depth=1
	v_lshl_add_u64 v[4:5], v[102:103], 3, v[0:1]
	v_dual_mov_b32 v8, 0 :: v_dual_mov_b32 v6, 0
	v_mov_b32_e32 v7, 0
	s_delay_alu instid0(VALU_DEP_3) | instskip(NEXT) | instid1(VALU_DEP_1)
	v_lshl_add_u64 v[4:5], s[22:23], 3, v[4:5]
	v_add_nc_u64_e32 v[4:5], s[50:51], v[4:5]
	s_delay_alu instid0(VALU_DEP_1)
	v_dual_cndmask_b32 v5, v5, v3, s1 :: v_dual_cndmask_b32 v4, v4, v2, s1
	s_and_saveexec_b32 s56, s12
	s_cbranch_execz .LBB117_52
; %bb.51:                               ;   in Loop: Header=BB117_4 Depth=1
	global_load_b64 v[6:7], v[4:5], off
.LBB117_52:                             ;   in Loop: Header=BB117_4 Depth=1
	s_wait_xcnt 0x0
	s_or_b32 exec_lo, exec_lo, s56
	v_mov_b32_e32 v9, 0
	s_wait_loadcnt 0x0
	ds_store_b64 v16, v[6:7]
	s_and_saveexec_b32 s56, s13
	s_cbranch_execz .LBB117_54
; %bb.53:                               ;   in Loop: Header=BB117_4 Depth=1
	v_lshl_add_u64 v[6:7], s[38:39], 3, v[4:5]
	global_load_b64 v[8:9], v[6:7], off
.LBB117_54:                             ;   in Loop: Header=BB117_4 Depth=1
	s_wait_xcnt 0x0
	s_or_b32 exec_lo, exec_lo, s56
	v_dual_mov_b32 v6, 0 :: v_dual_mov_b32 v10, 0
	v_mov_b32_e32 v11, 0
	s_wait_loadcnt 0x0
	ds_store_b64 v16, v[8:9] offset:2112
	s_and_saveexec_b32 s56, s14
	s_cbranch_execz .LBB117_56
; %bb.55:                               ;   in Loop: Header=BB117_4 Depth=1
	v_lshl_add_u64 v[8:9], s[40:41], 3, v[4:5]
	global_load_b64 v[10:11], v[8:9], off
.LBB117_56:                             ;   in Loop: Header=BB117_4 Depth=1
	s_wait_xcnt 0x0
	s_or_b32 exec_lo, exec_lo, s56
	v_mov_b32_e32 v7, 0
	s_wait_loadcnt 0x0
	ds_store_b64 v16, v[10:11] offset:4224
	s_and_saveexec_b32 s56, s15
	s_cbranch_execz .LBB117_58
; %bb.57:                               ;   in Loop: Header=BB117_4 Depth=1
	v_lshl_add_u64 v[6:7], s[42:43], 3, v[4:5]
	global_load_b64 v[6:7], v[6:7], off
.LBB117_58:                             ;   in Loop: Header=BB117_4 Depth=1
	s_wait_xcnt 0x0
	s_or_b32 exec_lo, exec_lo, s56
	v_lshlrev_b32_e32 v62, 3, v56
	s_mov_b32 s56, 0
	s_wait_loadcnt 0x0
	ds_store_b64 v16, v[6:7] offset:6336
	v_add_nc_u64_e32 v[4:5], v[4:5], v[62:63]
	s_delay_alu instid0(VALU_DEP_1) | instskip(NEXT) | instid1(VALU_DEP_1)
	v_lshl_add_u64 v[4:5], s[48:49], 3, v[4:5]
	v_add_nc_u64_e32 v[4:5], 8, v[4:5]
	s_delay_alu instid0(VALU_DEP_1)
	v_dual_cndmask_b32 v15, v5, v3, s1 :: v_dual_cndmask_b32 v14, v4, v2, s1
.LBB117_59:                             ;   in Loop: Header=BB117_4 Depth=1
	s_and_b32 vcc_lo, exec_lo, s56
	s_cbranch_vccz .LBB117_61
; %bb.60:                               ;   in Loop: Header=BB117_4 Depth=1
	v_lshl_add_u64 v[4:5], s[38:39], 3, v[0:1]
	v_mov_b64_e32 v[14:15], v[2:3]
	s_delay_alu instid0(VALU_DEP_2) | instskip(NEXT) | instid1(VALU_DEP_1)
	v_add_nc_u64_e32 v[6:7], s[52:53], v[4:5]
	v_add_nc_u64_e32 v[8:9], s[52:53], v[6:7]
	s_clause 0x3
	global_load_b64 v[0:1], v[0:1], off offset:-256
	global_load_b64 v[4:5], v[4:5], off offset:-256
	;; [unrolled: 1-line block ×4, first 2 shown]
	s_wait_loadcnt 0x3
	ds_store_b64 v16, v[0:1]
	s_wait_loadcnt 0x2
	ds_store_b64 v16, v[4:5] offset:2112
	s_wait_loadcnt 0x1
	ds_store_b64 v16, v[6:7] offset:4224
	s_wait_loadcnt 0x0
	ds_store_b64 v16, v[8:9] offset:6336
.LBB117_61:                             ;   in Loop: Header=BB117_4 Depth=1
	s_wait_xcnt 0x3
	v_dual_add_nc_u32 v0, v193, v197 :: v_dual_add_nc_u32 v1, v194, v197
	s_wait_dscnt 0x0
	s_barrier_signal -1
	s_barrier_wait -1
	s_wait_xcnt 0x2
	ds_load_b64 v[4:5], v0
	s_wait_xcnt 0x1
	ds_load_b64 v[6:7], v1
	ds_load_2addr_b64 v[20:23], v205 offset0:8 offset1:16
	ds_load_2addr_b64 v[24:27], v206 offset0:8 offset1:16
	ds_load_b64 v[28:29], v205 offset:192
	ds_load_b64 v[30:31], v206 offset:192
	ds_load_2addr_b64 v[0:3], v209 offset1:33
	ds_load_b64 v[18:19], v208
	ds_load_b64 v[16:17], v209 offset:528
	s_wait_dscnt 0x7
	s_wait_xcnt 0x0
	v_pk_mul_f32 v[8:9], v[6:7], v[4:5] op_sel:[1,1] op_sel_hi:[0,1]
	s_wait_dscnt 0x5
	v_pk_mul_f32 v[10:11], v[24:25], v[20:21] op_sel:[1,1] op_sel_hi:[0,1]
	v_pk_mul_f32 v[34:35], v[26:27], v[22:23] op_sel:[1,1] op_sel_hi:[0,1]
	s_delay_alu instid0(VALU_DEP_3) | instskip(SKIP_1) | instid1(VALU_DEP_4)
	v_pk_fma_f32 v[32:33], v[6:7], v[4:5], v[8:9] op_sel_hi:[1,0,1]
	v_pk_fma_f32 v[4:5], v[6:7], v[4:5], v[8:9] neg_lo:[0,0,1] neg_hi:[0,0,1]
	v_pk_fma_f32 v[36:37], v[24:25], v[20:21], v[10:11] op_sel_hi:[1,0,1]
	v_pk_fma_f32 v[20:21], v[24:25], v[20:21], v[10:11] neg_lo:[0,0,1] neg_hi:[0,0,1]
	v_pk_fma_f32 v[24:25], v[26:27], v[22:23], v[34:35] op_sel_hi:[1,0,1]
	v_mov_b32_e32 v5, v33
	s_wait_dscnt 0x3
	v_pk_mul_f32 v[32:33], v[30:31], v[28:29] op_sel:[1,1] op_sel_hi:[0,1]
	v_mov_b32_e32 v21, v37
	v_pk_fma_f32 v[22:23], v[26:27], v[22:23], v[34:35] neg_lo:[0,0,1] neg_hi:[0,0,1]
	v_mov_b32_e32 v23, v25
	v_pk_add_f32 v[36:37], v[4:5], 0 op_sel_hi:[1,0]
	ds_load_b128 v[8:11], v194 offset:256
	ds_load_b128 v[4:7], v194 offset:272
	v_pk_fma_f32 v[24:25], v[30:31], v[28:29], v[32:33] op_sel_hi:[1,0,1]
	v_pk_fma_f32 v[26:27], v[30:31], v[28:29], v[32:33] neg_lo:[0,0,1] neg_hi:[0,0,1]
	s_wait_dscnt 0x0
	v_pk_add_f32 v[20:21], v[36:37], v[20:21]
	s_barrier_signal -1
	v_mov_b32_e32 v27, v25
	s_barrier_wait -1
	s_delay_alu instid0(VALU_DEP_2) | instskip(NEXT) | instid1(VALU_DEP_1)
	v_pk_add_f32 v[20:21], v[20:21], v[22:23]
	v_pk_add_f32 v[20:21], v[20:21], v[26:27]
	ds_store_b64 v195, v[20:21]
	s_wait_dscnt 0x0
	s_barrier_signal -1
	s_barrier_wait -1
	s_and_saveexec_b32 s56, s16
	s_cbranch_execz .LBB117_63
; %bb.62:                               ;   in Loop: Header=BB117_4 Depth=1
	ds_load_2addr_b64 v[20:23], v192 offset1:1
	ds_load_2addr_b64 v[24:27], v192 offset0:2 offset1:3
	ds_load_2addr_b64 v[28:31], v192 offset0:4 offset1:5
	s_wait_dscnt 0x2
	v_pk_add_f32 v[20:21], v[112:113], v[20:21]
	s_delay_alu instid0(VALU_DEP_1) | instskip(SKIP_1) | instid1(VALU_DEP_1)
	v_pk_add_f32 v[20:21], v[20:21], v[22:23]
	s_wait_dscnt 0x1
	v_pk_add_f32 v[24:25], v[20:21], v[24:25]
	ds_load_2addr_b64 v[20:23], v192 offset0:6 offset1:7
	v_pk_add_f32 v[24:25], v[24:25], v[26:27]
	s_wait_dscnt 0x1
	s_delay_alu instid0(VALU_DEP_1) | instskip(NEXT) | instid1(VALU_DEP_1)
	v_pk_add_f32 v[24:25], v[24:25], v[28:29]
	v_pk_add_f32 v[24:25], v[24:25], v[30:31]
	s_wait_dscnt 0x0
	s_delay_alu instid0(VALU_DEP_1) | instskip(NEXT) | instid1(VALU_DEP_1)
	v_pk_add_f32 v[20:21], v[24:25], v[20:21]
	v_pk_add_f32 v[112:113], v[20:21], v[22:23]
.LBB117_63:                             ;   in Loop: Header=BB117_4 Depth=1
	s_or_b32 exec_lo, exec_lo, s56
	v_pk_mul_f32 v[20:21], v[8:9], v[18:19] op_sel:[1,1] op_sel_hi:[0,1]
	v_dual_mov_b32 v22, v11 :: v_dual_mov_b32 v23, v10
	v_pk_mul_f32 v[24:25], v[4:5], v[2:3] op_sel:[1,1] op_sel_hi:[0,1]
	v_dual_mov_b32 v28, v7 :: v_dual_mov_b32 v29, v6
	s_delay_alu instid0(VALU_DEP_4) | instskip(NEXT) | instid1(VALU_DEP_4)
	v_pk_fma_f32 v[26:27], v[8:9], v[18:19], v[20:21] op_sel_hi:[1,0,1]
	v_pk_mul_f32 v[22:23], v[22:23], v[0:1] op_sel:[0,1]
	v_pk_fma_f32 v[8:9], v[8:9], v[18:19], v[20:21] neg_lo:[0,0,1] neg_hi:[0,0,1]
	v_pk_fma_f32 v[20:21], v[4:5], v[2:3], v[24:25] op_sel_hi:[1,0,1]
	v_pk_fma_f32 v[2:3], v[4:5], v[2:3], v[24:25] neg_lo:[0,0,1] neg_hi:[0,0,1]
	s_delay_alu instid0(VALU_DEP_4)
	v_pk_fma_f32 v[18:19], v[10:11], v[0:1], v[22:23] op_sel_hi:[1,0,1]
	v_mov_b32_e32 v9, v27
	v_pk_fma_f32 v[0:1], v[10:11], v[0:1], v[22:23] neg_lo:[0,0,1] neg_hi:[0,0,1]
	v_pk_mul_f32 v[26:27], v[28:29], v[16:17] op_sel:[0,1]
	s_barrier_signal -1
	v_mov_b32_e32 v1, v19
	v_pk_add_f32 v[8:9], v[8:9], 0 op_sel_hi:[1,0]
	s_barrier_wait -1
	v_pk_fma_f32 v[4:5], v[6:7], v[16:17], v[26:27] op_sel_hi:[1,0,1]
	v_mov_b32_e32 v3, v21
	v_pk_fma_f32 v[6:7], v[6:7], v[16:17], v[26:27] neg_lo:[0,0,1] neg_hi:[0,0,1]
	v_pk_add_f32 v[0:1], v[8:9], v[0:1]
	s_delay_alu instid0(VALU_DEP_4) | instskip(NEXT) | instid1(VALU_DEP_2)
	v_mov_b32_e32 v7, v5
	v_pk_add_f32 v[0:1], v[0:1], v[2:3]
	s_delay_alu instid0(VALU_DEP_1)
	v_pk_add_f32 v[0:1], v[0:1], v[6:7]
	ds_store_b64 v195, v[0:1]
	s_wait_dscnt 0x0
	s_barrier_signal -1
	s_barrier_wait -1
	s_and_saveexec_b32 s56, s10
	s_cbranch_execz .LBB117_65
; %bb.64:                               ;   in Loop: Header=BB117_4 Depth=1
	ds_load_2addr_b64 v[0:3], v192 offset1:1
	ds_load_2addr_b64 v[4:7], v192 offset0:2 offset1:3
	ds_load_2addr_b64 v[8:11], v192 offset0:4 offset1:5
	s_wait_dscnt 0x2
	v_pk_add_f32 v[0:1], v[112:113], v[0:1]
	s_delay_alu instid0(VALU_DEP_1) | instskip(SKIP_1) | instid1(VALU_DEP_1)
	v_pk_add_f32 v[0:1], v[0:1], v[2:3]
	s_wait_dscnt 0x1
	v_pk_add_f32 v[4:5], v[0:1], v[4:5]
	ds_load_2addr_b64 v[0:3], v192 offset0:6 offset1:7
	v_pk_add_f32 v[4:5], v[4:5], v[6:7]
	s_wait_dscnt 0x1
	s_delay_alu instid0(VALU_DEP_1) | instskip(NEXT) | instid1(VALU_DEP_1)
	v_pk_add_f32 v[4:5], v[4:5], v[8:9]
	v_pk_add_f32 v[4:5], v[4:5], v[10:11]
	s_wait_dscnt 0x0
	s_delay_alu instid0(VALU_DEP_1) | instskip(NEXT) | instid1(VALU_DEP_1)
	v_pk_add_f32 v[0:1], v[4:5], v[0:1]
	v_pk_add_f32 v[112:113], v[0:1], v[2:3]
.LBB117_65:                             ;   in Loop: Header=BB117_4 Depth=1
	s_or_b32 exec_lo, exec_lo, s56
	s_mul_u64 s[56:57], s[26:27], s[28:29]
	s_and_not1_b32 vcc_lo, exec_lo, s31
	s_lshl_b64 s[56:57], s[56:57], 3
	s_delay_alu instid0(SALU_CYCLE_1)
	s_add_nc_u64 s[56:57], s[36:37], s[56:57]
	s_barrier_signal -1
	s_barrier_wait -1
	s_cbranch_vccnz .LBB117_123
; %bb.66:                               ;   in Loop: Header=BB117_4 Depth=1
	v_add_nc_u64_e32 v[114:115], v[14:15], v[68:69]
	v_add_nc_u64_e32 v[116:117], v[14:15], v[70:71]
	;; [unrolled: 1-line block ×20, first 2 shown]
	v_lshl_add_u64 v[154:155], s[46:47], 3, v[12:13]
	v_mov_b32_e32 v57, v227
	s_mov_b32 s58, s66
	s_mov_b32 s67, s34
	s_branch .LBB117_68
.LBB117_67:                             ;   in Loop: Header=BB117_68 Depth=2
	s_wait_xcnt 0x0
	s_or_b32 exec_lo, exec_lo, s59
	v_dual_mul_f32 v22, v5, v159 :: v_dual_mul_f32 v5, v5, v158
	v_dual_mov_b32 v20, v177 :: v_dual_mov_b32 v21, v177
	v_mov_b32_e32 v177, v176
	s_delay_alu instid0(VALU_DEP_3) | instskip(NEXT) | instid1(VALU_DEP_4)
	v_dual_fma_f32 v22, v4, v158, -v22 :: v_dual_mul_f32 v23, v7, v157
	v_dual_fmac_f32 v5, v4, v159 :: v_dual_mul_f32 v4, v7, v156
	v_dual_mov_b32 v16, v175 :: v_dual_mov_b32 v17, v175
	s_delay_alu instid0(VALU_DEP_3) | instskip(SKIP_1) | instid1(VALU_DEP_4)
	v_dual_add_f32 v7, v112, v22 :: v_dual_fma_f32 v22, v6, v156, -v23
	v_mul_f32_e32 v23, v1, v161
	v_add_f32_e32 v5, v113, v5
	v_dual_fmac_f32 v4, v6, v157 :: v_dual_mul_f32 v1, v1, v160
	s_delay_alu instid0(VALU_DEP_3) | instskip(NEXT) | instid1(VALU_DEP_2)
	v_dual_add_f32 v6, v7, v22 :: v_dual_fma_f32 v7, v0, v160, -v23
	v_dual_mul_f32 v22, v3, v163 :: v_dual_add_f32 v4, v5, v4
	s_delay_alu instid0(VALU_DEP_3) | instskip(NEXT) | instid1(VALU_DEP_3)
	v_dual_fmac_f32 v1, v0, v161 :: v_dual_mul_f32 v0, v3, v162
	v_add_f32_e32 v3, v6, v7
	s_delay_alu instid0(VALU_DEP_3) | instskip(NEXT) | instid1(VALU_DEP_3)
	v_dual_fma_f32 v5, v2, v162, -v22 :: v_dual_mul_f32 v6, v13, v167
	v_dual_add_f32 v1, v4, v1 :: v_dual_fmac_f32 v0, v2, v163
	s_delay_alu instid0(VALU_DEP_2) | instskip(NEXT) | instid1(VALU_DEP_3)
	v_dual_mul_f32 v2, v13, v166 :: v_dual_add_f32 v3, v3, v5
	v_dual_fma_f32 v4, v12, v166, -v6 :: v_dual_mul_f32 v5, v15, v165
	s_delay_alu instid0(VALU_DEP_2) | instskip(SKIP_1) | instid1(VALU_DEP_3)
	v_dual_add_f32 v0, v1, v0 :: v_dual_fmac_f32 v2, v12, v167
	v_mul_f32_e32 v6, v15, v164
	v_add_f32_e32 v3, v3, v4
	s_delay_alu instid0(VALU_DEP_4) | instskip(NEXT) | instid1(VALU_DEP_3)
	v_dual_fma_f32 v4, v14, v164, -v5 :: v_dual_mul_f32 v5, v9, v169
	v_dual_add_f32 v7, v0, v2 :: v_dual_fmac_f32 v6, v14, v165
	v_dual_mul_f32 v1, v9, v168 :: v_dual_mov_b32 v175, v174
	s_delay_alu instid0(VALU_DEP_3) | instskip(NEXT) | instid1(VALU_DEP_2)
	v_dual_mov_b32 v18, v173 :: v_dual_fma_f32 v0, v8, v168, -v5
	v_dual_add_f32 v2, v3, v4 :: v_dual_fmac_f32 v1, v8, v169
	v_dual_mul_f32 v4, v11, v171 :: v_dual_mul_f32 v5, v11, v170
	v_dual_add_f32 v3, v7, v6 :: v_dual_mov_b32 v19, v173
	v_dual_mov_b32 v173, v172 :: v_dual_mov_b32 v6, v179
	s_delay_alu instid0(VALU_DEP_3) | instskip(SKIP_4) | instid1(VALU_DEP_4)
	v_fma_f32 v4, v10, v170, -v4
	v_pk_mul_f32 v[8:9], v[28:29], v[16:17]
	v_fmac_f32_e32 v5, v10, v171
	v_pk_add_f32 v[0:1], v[2:3], v[0:1]
	v_dual_mov_b32 v7, v179 :: v_dual_mov_b32 v179, v178
	v_pk_fma_f32 v[2:3], v[28:29], v[174:175], v[8:9] op_sel:[0,0,1] op_sel_hi:[1,1,0]
	v_pk_fma_f32 v[8:9], v[28:29], v[174:175], v[8:9] op_sel:[0,0,1] op_sel_hi:[1,1,0] neg_lo:[0,0,1] neg_hi:[0,0,1]
	s_delay_alu instid0(VALU_DEP_4) | instskip(SKIP_1) | instid1(VALU_DEP_4)
	v_pk_add_f32 v[0:1], v[0:1], v[4:5]
	v_pk_mul_f32 v[4:5], v[30:31], v[18:19]
	v_dual_mov_b32 v2, v183 :: v_dual_mov_b32 v9, v3
	v_dual_mov_b32 v3, v183 :: v_dual_mov_b32 v183, v182
	s_delay_alu instid0(VALU_DEP_3)
	v_pk_fma_f32 v[10:11], v[30:31], v[172:173], v[4:5] op_sel:[0,0,1] op_sel_hi:[1,1,0]
	v_pk_fma_f32 v[4:5], v[30:31], v[172:173], v[4:5] op_sel:[0,0,1] op_sel_hi:[1,1,0] neg_lo:[0,0,1] neg_hi:[0,0,1]
	v_mov_b32_e32 v10, v181
	v_pk_add_f32 v[0:1], v[0:1], v[8:9]
	v_pk_mul_f32 v[8:9], v[24:25], v[20:21]
	v_dual_mov_b32 v5, v11 :: v_dual_mov_b32 v11, v181
	v_mov_b32_e32 v181, v180
	v_pk_mul_f32 v[2:3], v[40:41], v[2:3]
	s_delay_alu instid0(VALU_DEP_4) | instskip(NEXT) | instid1(VALU_DEP_4)
	v_pk_fma_f32 v[12:13], v[24:25], v[176:177], v[8:9] op_sel:[0,0,1] op_sel_hi:[1,1,0]
	v_pk_add_f32 v[0:1], v[0:1], v[4:5]
	v_pk_mul_f32 v[4:5], v[26:27], v[6:7]
	v_pk_fma_f32 v[6:7], v[24:25], v[176:177], v[8:9] op_sel:[0,0,1] op_sel_hi:[1,1,0] neg_lo:[0,0,1] neg_hi:[0,0,1]
	s_delay_alu instid0(VALU_DEP_4) | instskip(SKIP_1) | instid1(VALU_DEP_4)
	v_dual_mov_b32 v12, v185 :: v_dual_mov_b32 v7, v13
	v_dual_mov_b32 v13, v185 :: v_dual_mov_b32 v185, v184
	v_pk_fma_f32 v[8:9], v[26:27], v[178:179], v[4:5] op_sel:[0,0,1] op_sel_hi:[1,1,0]
	v_pk_fma_f32 v[4:5], v[26:27], v[178:179], v[4:5] op_sel:[0,0,1] op_sel_hi:[1,1,0] neg_lo:[0,0,1] neg_hi:[0,0,1]
	v_mov_b32_e32 v8, v187
	v_pk_add_f32 v[0:1], v[0:1], v[6:7]
	v_pk_mul_f32 v[6:7], v[42:43], v[10:11]
	v_mov_b32_e32 v5, v9
	v_pk_fma_f32 v[10:11], v[40:41], v[182:183], v[2:3] op_sel:[0,0,1] op_sel_hi:[1,1,0]
	v_pk_fma_f32 v[2:3], v[40:41], v[182:183], v[2:3] op_sel:[0,0,1] op_sel_hi:[1,1,0] neg_lo:[0,0,1] neg_hi:[0,0,1]
	v_dual_mov_b32 v9, v187 :: v_dual_mov_b32 v187, v186
	s_delay_alu instid0(VALU_DEP_4)
	v_pk_add_f32 v[0:1], v[0:1], v[4:5]
	v_pk_fma_f32 v[4:5], v[42:43], v[180:181], v[6:7] op_sel:[0,0,1] op_sel_hi:[1,1,0]
	v_pk_mul_f32 v[12:13], v[44:45], v[12:13]
	v_mov_b32_e32 v3, v11
	v_pk_fma_f32 v[6:7], v[42:43], v[180:181], v[6:7] op_sel:[0,0,1] op_sel_hi:[1,1,0] neg_lo:[0,0,1] neg_hi:[0,0,1]
	v_pk_mul_f32 v[8:9], v[46:47], v[8:9]
	v_mov_b32_e32 v7, v5
	v_pk_fma_f32 v[4:5], v[44:45], v[184:185], v[12:13] op_sel:[0,0,1] op_sel_hi:[1,1,0]
	v_pk_add_f32 v[0:1], v[0:1], v[2:3]
	v_pk_fma_f32 v[2:3], v[44:45], v[184:185], v[12:13] op_sel:[0,0,1] op_sel_hi:[1,1,0] neg_lo:[0,0,1] neg_hi:[0,0,1]
	v_add_nc_u64_e32 v[114:115], s[54:55], v[114:115]
	v_add_nc_u64_e32 v[116:117], s[54:55], v[116:117]
	v_mov_b32_e32 v3, v5
	v_pk_fma_f32 v[4:5], v[46:47], v[186:187], v[8:9] op_sel:[0,0,1] op_sel_hi:[1,1,0]
	v_pk_add_f32 v[0:1], v[0:1], v[6:7]
	v_pk_fma_f32 v[6:7], v[46:47], v[186:187], v[8:9] op_sel:[0,0,1] op_sel_hi:[1,1,0] neg_lo:[0,0,1] neg_hi:[0,0,1]
	v_add_nc_u64_e32 v[118:119], s[54:55], v[118:119]
	v_add_nc_u64_e32 v[120:121], s[54:55], v[120:121]
	v_mov_b32_e32 v7, v5
	v_pk_add_f32 v[0:1], v[0:1], v[2:3]
	v_add_nc_u64_e32 v[122:123], s[54:55], v[122:123]
	v_add_nc_u64_e32 v[124:125], s[54:55], v[124:125]
	;; [unrolled: 1-line block ×16, first 2 shown]
	v_pk_add_f32 v[112:113], v[0:1], v[6:7]
	v_add_nc_u32_e32 v57, 64, v57
	s_add_co_i32 s59, s67, 1
	s_add_co_i32 s67, s67, 2
	;; [unrolled: 1-line block ×3, first 2 shown]
	s_cmp_ge_u32 s67, s30
	s_mov_b32 s67, s59
	s_wait_storecnt 0x0
	s_barrier_signal -1
	s_barrier_wait -1
	s_cbranch_scc1 .LBB117_123
.LBB117_68:                             ;   Parent Loop BB117_4 Depth=1
                                        ; =>  This Inner Loop Header: Depth=2
	s_cmp_eq_u32 s35, s67
	s_cselect_b32 s68, s60, 0
	s_and_saveexec_b32 s69, s0
	s_cbranch_execz .LBB117_73
; %bb.69:                               ;   in Loop: Header=BB117_68 Depth=2
	v_cmp_le_i32_e32 vcc_lo, s68, v188
	s_cmp_lg_u32 s68, 0
	s_cselect_b32 s59, -1, 0
	s_delay_alu instid0(SALU_CYCLE_1) | instskip(NEXT) | instid1(SALU_CYCLE_1)
	s_and_b32 s59, s59, vcc_lo
	s_and_saveexec_b32 s70, s59
	s_delay_alu instid0(SALU_CYCLE_1)
	s_xor_b32 s59, exec_lo, s70
; %bb.70:                               ;   in Loop: Header=BB117_68 Depth=2
	ds_store_b64 v211, v[110:111]
; %bb.71:                               ;   in Loop: Header=BB117_68 Depth=2
	s_and_not1_saveexec_b32 s59, s59
	s_cbranch_execz .LBB117_73
; %bb.72:                               ;   in Loop: Header=BB117_68 Depth=2
	s_ashr_i32 s59, s58, 31
	s_delay_alu instid0(SALU_CYCLE_1)
	v_lshl_add_u64 v[0:1], s[58:59], 3, v[154:155]
	global_load_b64 v[0:1], v[0:1], off
	s_wait_loadcnt 0x0
	ds_store_b64 v211, v[0:1]
.LBB117_73:                             ;   in Loop: Header=BB117_68 Depth=2
	s_wait_xcnt 0x0
	s_or_b32 exec_lo, exec_lo, s69
	s_cmp_eq_u32 s68, 0
	v_add_nc_u64_e32 v[0:1], v[114:115], v[66:67]
	s_cselect_b32 s59, -1, 0
	s_cmp_lg_u32 s68, 0
	s_wait_dscnt 0x0
	s_cselect_b32 s69, -1, 0
	s_barrier_signal -1
	s_and_b32 vcc_lo, exec_lo, s69
	s_barrier_wait -1
	s_cbranch_vccz .LBB117_81
; %bb.74:                               ;   in Loop: Header=BB117_68 Depth=2
	v_mov_b64_e32 v[156:157], 0
	v_mov_b64_e32 v[158:159], 0
	s_mov_b32 s70, exec_lo
	v_cmpx_gt_i32_e64 s68, v196
	s_cbranch_execz .LBB117_76
; %bb.75:                               ;   in Loop: Header=BB117_68 Depth=2
	global_load_b64 v[158:159], v[0:1], off
.LBB117_76:                             ;   in Loop: Header=BB117_68 Depth=2
	s_wait_xcnt 0x0
	s_or_b32 exec_lo, exec_lo, s70
	s_delay_alu instid0(SALU_CYCLE_1)
	s_mov_b32 s70, exec_lo
	v_cmpx_gt_i32_e64 s68, v212
	s_cbranch_execz .LBB117_78
; %bb.77:                               ;   in Loop: Header=BB117_68 Depth=2
	v_add_nc_u64_e32 v[2:3], v[118:119], v[66:67]
	global_load_b64 v[156:157], v[2:3], off
.LBB117_78:                             ;   in Loop: Header=BB117_68 Depth=2
	s_wait_xcnt 0x0
	s_or_b32 exec_lo, exec_lo, s70
	v_mov_b64_e32 v[160:161], 0
	s_mov_b32 s70, exec_lo
	v_cmpx_gt_i32_e64 s68, v213
	s_cbranch_execz .LBB117_80
; %bb.79:                               ;   in Loop: Header=BB117_68 Depth=2
	v_add_nc_u64_e32 v[2:3], v[120:121], v[66:67]
	global_load_b64 v[160:161], v[2:3], off
.LBB117_80:                             ;   in Loop: Header=BB117_68 Depth=2
	s_wait_xcnt 0x0
	s_or_b32 exec_lo, exec_lo, s70
	v_cmp_gt_i32_e64 s70, s68, v214
	s_branch .LBB117_83
.LBB117_81:                             ;   in Loop: Header=BB117_68 Depth=2
	s_mov_b32 s70, 0
                                        ; implicit-def: $vgpr160_vgpr161
                                        ; implicit-def: $vgpr156_vgpr157
                                        ; implicit-def: $vgpr158_vgpr159
	s_cbranch_execz .LBB117_83
; %bb.82:                               ;   in Loop: Header=BB117_68 Depth=2
	v_add_nc_u64_e32 v[2:3], v[118:119], v[66:67]
	v_add_nc_u64_e32 v[4:5], v[116:117], v[66:67]
	s_or_b32 s70, s70, exec_lo
	s_wait_loadcnt 0x0
	global_load_b64 v[158:159], v[0:1], off
	global_load_b64 v[156:157], v[2:3], off
	;; [unrolled: 1-line block ×3, first 2 shown]
.LBB117_83:                             ;   in Loop: Header=BB117_68 Depth=2
	v_mov_b64_e32 v[162:163], 0
	s_wait_xcnt 0x0
	s_delay_alu instid0(VALU_DEP_2)
	s_and_saveexec_b32 s71, s70
	s_cbranch_execz .LBB117_85
; %bb.84:                               ;   in Loop: Header=BB117_68 Depth=2
	v_add_nc_u64_e32 v[0:1], v[122:123], v[66:67]
	global_load_b64 v[162:163], v[0:1], off
.LBB117_85:                             ;   in Loop: Header=BB117_68 Depth=2
	s_wait_xcnt 0x0
	s_or_b32 exec_lo, exec_lo, s71
	ds_load_b64 v[0:1], v210
	v_cndmask_b32_e64 v40, 0, 1, s69
	s_and_not1_b32 vcc_lo, exec_lo, s69
	s_wait_loadcnt_dscnt 0x0
	v_pk_mul_f32 v[2:3], v[0:1], v[158:159] op_sel:[1,1] op_sel_hi:[0,1]
	v_pk_mul_f32 v[4:5], v[0:1], v[156:157] op_sel:[1,1] op_sel_hi:[0,1]
	;; [unrolled: 1-line block ×4, first 2 shown]
	s_delay_alu instid0(VALU_DEP_4)
	v_pk_fma_f32 v[10:11], v[0:1], v[158:159], v[2:3] neg_lo:[0,0,1] neg_hi:[0,0,1]
	v_pk_fma_f32 v[2:3], v[0:1], v[158:159], v[2:3] op_sel_hi:[1,0,1]
	v_pk_fma_f32 v[12:13], v[0:1], v[156:157], v[4:5] neg_lo:[0,0,1] neg_hi:[0,0,1]
	v_pk_fma_f32 v[4:5], v[0:1], v[156:157], v[4:5] op_sel_hi:[1,0,1]
	;; [unrolled: 2-line block ×3, first 2 shown]
	v_pk_fma_f32 v[16:17], v[0:1], v[162:163], v[8:9] op_sel_hi:[1,0,1]
	v_pk_fma_f32 v[8:9], v[0:1], v[162:163], v[8:9] neg_lo:[0,0,1] neg_hi:[0,0,1]
	v_dual_mov_b32 v11, v3 :: v_dual_mov_b32 v13, v5
	s_delay_alu instid0(VALU_DEP_3)
	v_dual_mov_b32 v15, v7 :: v_dual_mov_b32 v9, v17
	ds_load_b128 v[4:7], v198
	ds_load_b128 v[0:3], v198 offset:16
	ds_store_2addr_b64 v199, v[10:11], v[12:13] offset1:67
	ds_store_2addr_b64 v199, v[14:15], v[8:9] offset0:134 offset1:201
	s_wait_dscnt 0x0
	s_barrier_signal -1
	s_barrier_wait -1
	ds_load_2addr_b64 v[20:23], v200 offset1:1
	ds_load_2addr_b64 v[16:19], v200 offset0:2 offset1:3
	v_add_nc_u64_e32 v[8:9], v[124:125], v[66:67]
	s_wait_dscnt 0x0
	s_barrier_signal -1
	s_barrier_wait -1
	s_cbranch_vccnz .LBB117_93
; %bb.86:                               ;   in Loop: Header=BB117_68 Depth=2
	v_mov_b64_e32 v[164:165], 0
	v_mov_b64_e32 v[166:167], 0
	s_mov_b32 s69, exec_lo
	v_cmpx_gt_i32_e64 s68, v215
	s_cbranch_execz .LBB117_88
; %bb.87:                               ;   in Loop: Header=BB117_68 Depth=2
	global_load_b64 v[166:167], v[8:9], off
.LBB117_88:                             ;   in Loop: Header=BB117_68 Depth=2
	s_wait_xcnt 0x0
	s_or_b32 exec_lo, exec_lo, s69
	s_delay_alu instid0(SALU_CYCLE_1)
	s_mov_b32 s69, exec_lo
	v_cmpx_gt_i32_e64 s68, v216
	s_cbranch_execz .LBB117_90
; %bb.89:                               ;   in Loop: Header=BB117_68 Depth=2
	v_add_nc_u64_e32 v[10:11], v[126:127], v[66:67]
	global_load_b64 v[164:165], v[10:11], off
.LBB117_90:                             ;   in Loop: Header=BB117_68 Depth=2
	s_wait_xcnt 0x0
	s_or_b32 exec_lo, exec_lo, s69
	v_mov_b64_e32 v[168:169], 0
	s_mov_b32 s69, exec_lo
	v_cmpx_gt_i32_e64 s68, v217
	s_cbranch_execz .LBB117_92
; %bb.91:                               ;   in Loop: Header=BB117_68 Depth=2
	v_add_nc_u64_e32 v[10:11], v[128:129], v[66:67]
	global_load_b64 v[168:169], v[10:11], off
.LBB117_92:                             ;   in Loop: Header=BB117_68 Depth=2
	s_wait_xcnt 0x0
	s_or_b32 exec_lo, exec_lo, s69
	v_cmp_gt_i32_e64 s69, s68, v218
	s_branch .LBB117_95
.LBB117_93:                             ;   in Loop: Header=BB117_68 Depth=2
	s_mov_b32 s69, 0
                                        ; implicit-def: $vgpr168_vgpr169
                                        ; implicit-def: $vgpr164_vgpr165
                                        ; implicit-def: $vgpr166_vgpr167
	s_cbranch_execz .LBB117_95
; %bb.94:                               ;   in Loop: Header=BB117_68 Depth=2
	v_add_nc_u64_e32 v[10:11], v[126:127], v[66:67]
	v_add_nc_u64_e32 v[12:13], v[130:131], v[66:67]
	s_or_b32 s69, s69, exec_lo
	s_wait_loadcnt 0x0
	global_load_b64 v[166:167], v[8:9], off
	global_load_b64 v[164:165], v[10:11], off
	;; [unrolled: 1-line block ×3, first 2 shown]
.LBB117_95:                             ;   in Loop: Header=BB117_68 Depth=2
	v_mov_b64_e32 v[170:171], 0
	s_wait_xcnt 0x0
	s_delay_alu instid0(VALU_DEP_2)
	s_and_saveexec_b32 s70, s69
	s_cbranch_execz .LBB117_97
; %bb.96:                               ;   in Loop: Header=BB117_68 Depth=2
	v_add_nc_u64_e32 v[8:9], v[132:133], v[66:67]
	global_load_b64 v[170:171], v[8:9], off
.LBB117_97:                             ;   in Loop: Header=BB117_68 Depth=2
	s_wait_xcnt 0x0
	s_or_b32 exec_lo, exec_lo, s70
	ds_load_b64 v[8:9], v210
	v_cmp_ne_u32_e32 vcc_lo, 1, v40
	s_and_b32 vcc_lo, exec_lo, vcc_lo
	s_wait_loadcnt_dscnt 0x0
	v_pk_mul_f32 v[10:11], v[8:9], v[166:167] op_sel:[1,1] op_sel_hi:[0,1]
	v_pk_mul_f32 v[12:13], v[8:9], v[164:165] op_sel:[1,1] op_sel_hi:[0,1]
	;; [unrolled: 1-line block ×4, first 2 shown]
	s_delay_alu instid0(VALU_DEP_4)
	v_pk_fma_f32 v[26:27], v[8:9], v[166:167], v[10:11] neg_lo:[0,0,1] neg_hi:[0,0,1]
	v_pk_fma_f32 v[10:11], v[8:9], v[166:167], v[10:11] op_sel_hi:[1,0,1]
	v_pk_fma_f32 v[28:29], v[8:9], v[164:165], v[12:13] neg_lo:[0,0,1] neg_hi:[0,0,1]
	v_pk_fma_f32 v[12:13], v[8:9], v[164:165], v[12:13] op_sel_hi:[1,0,1]
	;; [unrolled: 2-line block ×3, first 2 shown]
	v_pk_fma_f32 v[32:33], v[8:9], v[170:171], v[24:25] op_sel_hi:[1,0,1]
	v_pk_fma_f32 v[24:25], v[8:9], v[170:171], v[24:25] neg_lo:[0,0,1] neg_hi:[0,0,1]
	v_dual_mov_b32 v27, v11 :: v_dual_mov_b32 v29, v13
	s_delay_alu instid0(VALU_DEP_3)
	v_dual_mov_b32 v31, v15 :: v_dual_mov_b32 v25, v33
	ds_load_b128 v[12:15], v198 offset:128
	ds_load_b128 v[8:11], v198 offset:144
	ds_store_2addr_b64 v199, v[26:27], v[28:29] offset1:67
	ds_store_2addr_b64 v199, v[30:31], v[24:25] offset0:134 offset1:201
	s_wait_dscnt 0x0
	s_barrier_signal -1
	s_barrier_wait -1
	ds_load_2addr_b64 v[36:39], v200 offset1:1
	ds_load_2addr_b64 v[32:35], v200 offset0:2 offset1:3
	v_add_nc_u64_e32 v[24:25], v[134:135], v[66:67]
	s_wait_dscnt 0x0
	s_barrier_signal -1
	s_barrier_wait -1
	s_cbranch_vccnz .LBB117_105
; %bb.98:                               ;   in Loop: Header=BB117_68 Depth=2
	v_mov_b64_e32 v[172:173], 0
	v_mov_b64_e32 v[174:175], 0
	s_mov_b32 s69, exec_lo
	v_cmpx_gt_i32_e64 s68, v219
	s_cbranch_execz .LBB117_100
; %bb.99:                               ;   in Loop: Header=BB117_68 Depth=2
	global_load_b64 v[174:175], v[24:25], off
.LBB117_100:                            ;   in Loop: Header=BB117_68 Depth=2
	s_wait_xcnt 0x0
	s_or_b32 exec_lo, exec_lo, s69
	s_delay_alu instid0(SALU_CYCLE_1)
	s_mov_b32 s69, exec_lo
	v_cmpx_gt_i32_e64 s68, v220
	s_cbranch_execz .LBB117_102
; %bb.101:                              ;   in Loop: Header=BB117_68 Depth=2
	v_add_nc_u64_e32 v[26:27], v[136:137], v[66:67]
	global_load_b64 v[172:173], v[26:27], off
.LBB117_102:                            ;   in Loop: Header=BB117_68 Depth=2
	s_wait_xcnt 0x0
	s_or_b32 exec_lo, exec_lo, s69
	v_mov_b64_e32 v[176:177], 0
	s_mov_b32 s69, exec_lo
	v_cmpx_gt_i32_e64 s68, v221
	s_cbranch_execz .LBB117_104
; %bb.103:                              ;   in Loop: Header=BB117_68 Depth=2
	v_add_nc_u64_e32 v[26:27], v[138:139], v[66:67]
	global_load_b64 v[176:177], v[26:27], off
.LBB117_104:                            ;   in Loop: Header=BB117_68 Depth=2
	s_wait_xcnt 0x0
	s_or_b32 exec_lo, exec_lo, s69
	v_cmp_gt_i32_e64 s69, s68, v222
	s_branch .LBB117_107
.LBB117_105:                            ;   in Loop: Header=BB117_68 Depth=2
	s_mov_b32 s69, 0
                                        ; implicit-def: $vgpr176_vgpr177
                                        ; implicit-def: $vgpr172_vgpr173
                                        ; implicit-def: $vgpr174_vgpr175
	s_cbranch_execz .LBB117_107
; %bb.106:                              ;   in Loop: Header=BB117_68 Depth=2
	v_add_nc_u64_e32 v[26:27], v[136:137], v[66:67]
	v_add_nc_u64_e32 v[28:29], v[140:141], v[66:67]
	s_or_b32 s69, s69, exec_lo
	s_wait_loadcnt 0x0
	global_load_b64 v[174:175], v[24:25], off
	global_load_b64 v[172:173], v[26:27], off
	;; [unrolled: 1-line block ×3, first 2 shown]
.LBB117_107:                            ;   in Loop: Header=BB117_68 Depth=2
	v_mov_b64_e32 v[178:179], 0
	s_wait_xcnt 0x0
	s_delay_alu instid0(VALU_DEP_2)
	s_and_saveexec_b32 s70, s69
	s_cbranch_execz .LBB117_109
; %bb.108:                              ;   in Loop: Header=BB117_68 Depth=2
	v_add_nc_u64_e32 v[24:25], v[142:143], v[66:67]
	global_load_b64 v[178:179], v[24:25], off
.LBB117_109:                            ;   in Loop: Header=BB117_68 Depth=2
	s_wait_xcnt 0x0
	s_or_b32 exec_lo, exec_lo, s70
	ds_load_b64 v[24:25], v210
	ds_load_b128 v[28:31], v198 offset:256
	v_cmp_ne_u32_e32 vcc_lo, 1, v40
	v_add_nc_u64_e32 v[40:41], v[144:145], v[66:67]
	s_and_b32 vcc_lo, exec_lo, vcc_lo
	s_wait_loadcnt_dscnt 0x1
	v_pk_mul_f32 v[26:27], v[24:25], v[174:175] op_sel:[0,1]
	v_pk_mul_f32 v[42:43], v[24:25], v[172:173] op_sel:[0,1]
	;; [unrolled: 1-line block ×4, first 2 shown]
	s_delay_alu instid0(VALU_DEP_4)
	v_pk_fma_f32 v[48:49], v[24:25], v[174:175], v[26:27] op_sel:[0,0,1] op_sel_hi:[1,1,0] neg_lo:[0,0,1] neg_hi:[0,0,1]
	v_pk_fma_f32 v[26:27], v[24:25], v[174:175], v[26:27] op_sel:[0,0,1] op_sel_hi:[1,0,0]
	v_pk_fma_f32 v[50:51], v[24:25], v[172:173], v[42:43] op_sel:[0,0,1] op_sel_hi:[1,1,0] neg_lo:[0,0,1] neg_hi:[0,0,1]
	v_pk_fma_f32 v[42:43], v[24:25], v[172:173], v[42:43] op_sel:[0,0,1] op_sel_hi:[1,0,0]
	;; [unrolled: 2-line block ×3, first 2 shown]
	v_pk_fma_f32 v[54:55], v[24:25], v[178:179], v[46:47] op_sel:[0,0,1] op_sel_hi:[1,0,0]
	v_pk_fma_f32 v[46:47], v[24:25], v[178:179], v[46:47] op_sel:[0,0,1] op_sel_hi:[1,1,0] neg_lo:[0,0,1] neg_hi:[0,0,1]
	v_dual_mov_b32 v49, v27 :: v_dual_mov_b32 v51, v43
	s_delay_alu instid0(VALU_DEP_3)
	v_dual_mov_b32 v53, v45 :: v_dual_mov_b32 v47, v55
	ds_load_b128 v[24:27], v198 offset:272
	ds_store_2addr_b64 v199, v[48:49], v[50:51] offset1:67
	ds_store_2addr_b64 v199, v[52:53], v[46:47] offset0:134 offset1:201
	s_wait_dscnt 0x0
	s_barrier_signal -1
	s_barrier_wait -1
	ds_load_2addr_b64 v[52:55], v200 offset1:1
	ds_load_2addr_b64 v[48:51], v200 offset0:2 offset1:3
	s_wait_dscnt 0x0
	s_barrier_signal -1
	s_barrier_wait -1
	s_cbranch_vccnz .LBB117_117
; %bb.110:                              ;   in Loop: Header=BB117_68 Depth=2
	v_mov_b64_e32 v[180:181], 0
	v_mov_b64_e32 v[182:183], 0
	s_mov_b32 s69, exec_lo
	v_cmpx_gt_i32_e64 s68, v223
	s_cbranch_execz .LBB117_112
; %bb.111:                              ;   in Loop: Header=BB117_68 Depth=2
	global_load_b64 v[182:183], v[40:41], off
.LBB117_112:                            ;   in Loop: Header=BB117_68 Depth=2
	s_wait_xcnt 0x0
	s_or_b32 exec_lo, exec_lo, s69
	s_delay_alu instid0(SALU_CYCLE_1)
	s_mov_b32 s69, exec_lo
	v_cmpx_gt_i32_e64 s68, v224
	s_cbranch_execz .LBB117_114
; %bb.113:                              ;   in Loop: Header=BB117_68 Depth=2
	v_add_nc_u64_e32 v[42:43], v[146:147], v[66:67]
	global_load_b64 v[180:181], v[42:43], off
.LBB117_114:                            ;   in Loop: Header=BB117_68 Depth=2
	s_wait_xcnt 0x0
	s_or_b32 exec_lo, exec_lo, s69
	v_mov_b64_e32 v[184:185], 0
	s_mov_b32 s69, exec_lo
	v_cmpx_gt_i32_e64 s68, v225
	s_cbranch_execz .LBB117_116
; %bb.115:                              ;   in Loop: Header=BB117_68 Depth=2
	v_add_nc_u64_e32 v[42:43], v[148:149], v[66:67]
	global_load_b64 v[184:185], v[42:43], off
.LBB117_116:                            ;   in Loop: Header=BB117_68 Depth=2
	s_wait_xcnt 0x0
	s_or_b32 exec_lo, exec_lo, s69
	v_cmp_gt_i32_e64 s69, s68, v226
	s_branch .LBB117_119
.LBB117_117:                            ;   in Loop: Header=BB117_68 Depth=2
	s_mov_b32 s69, 0
                                        ; implicit-def: $vgpr184_vgpr185
                                        ; implicit-def: $vgpr180_vgpr181
                                        ; implicit-def: $vgpr182_vgpr183
	s_cbranch_execz .LBB117_119
; %bb.118:                              ;   in Loop: Header=BB117_68 Depth=2
	v_add_nc_u64_e32 v[42:43], v[146:147], v[66:67]
	v_add_nc_u64_e32 v[44:45], v[150:151], v[66:67]
	s_or_b32 s69, s69, exec_lo
	s_wait_loadcnt 0x0
	global_load_b64 v[182:183], v[40:41], off
	global_load_b64 v[180:181], v[42:43], off
	;; [unrolled: 1-line block ×3, first 2 shown]
.LBB117_119:                            ;   in Loop: Header=BB117_68 Depth=2
	v_mov_b64_e32 v[186:187], 0
	s_wait_xcnt 0x0
	s_delay_alu instid0(VALU_DEP_2)
	s_and_saveexec_b32 s70, s69
	s_cbranch_execz .LBB117_121
; %bb.120:                              ;   in Loop: Header=BB117_68 Depth=2
	v_add_nc_u64_e32 v[40:41], v[152:153], v[66:67]
	global_load_b64 v[186:187], v[40:41], off
.LBB117_121:                            ;   in Loop: Header=BB117_68 Depth=2
	s_wait_xcnt 0x0
	s_or_b32 exec_lo, exec_lo, s70
	ds_load_b64 v[44:45], v210
	ds_load_b128 v[40:43], v198 offset:384
	v_pk_add_f32 v[36:37], v[36:37], 0 op_sel_hi:[1,0]
	v_pk_add_f32 v[20:21], v[20:21], 0 op_sel_hi:[1,0]
	;; [unrolled: 1-line block ×3, first 2 shown]
	v_cmp_gt_i32_e32 vcc_lo, s68, v188
	s_delay_alu instid0(VALU_DEP_4) | instskip(NEXT) | instid1(VALU_DEP_4)
	v_pk_add_f32 v[36:37], v[36:37], v[38:39]
	v_pk_add_f32 v[20:21], v[20:21], v[22:23]
	s_delay_alu instid0(VALU_DEP_4) | instskip(SKIP_1) | instid1(VALU_DEP_3)
	v_pk_add_f32 v[52:53], v[52:53], v[54:55]
	s_or_b32 s59, s59, vcc_lo
	v_pk_add_f32 v[32:33], v[36:37], v[32:33]
	s_delay_alu instid0(VALU_DEP_3) | instskip(NEXT) | instid1(VALU_DEP_3)
	v_pk_add_f32 v[16:17], v[20:21], v[16:17]
	v_pk_add_f32 v[38:39], v[52:53], v[48:49]
	s_and_b32 s68, s17, s59
	s_delay_alu instid0(VALU_DEP_3) | instskip(NEXT) | instid1(VALU_DEP_3)
	v_pk_add_f32 v[32:33], v[32:33], v[34:35]
	v_pk_add_f32 v[16:17], v[16:17], v[18:19]
	s_wait_loadcnt_dscnt 0x1
	v_pk_mul_f32 v[46:47], v[44:45], v[182:183] op_sel:[0,1]
	v_pk_mul_f32 v[228:229], v[44:45], v[180:181] op_sel:[0,1]
	;; [unrolled: 1-line block ×4, first 2 shown]
	s_delay_alu instid0(VALU_DEP_4)
	v_pk_fma_f32 v[234:235], v[44:45], v[182:183], v[46:47] op_sel:[0,0,1] op_sel_hi:[1,1,0] neg_lo:[0,0,1] neg_hi:[0,0,1]
	v_pk_fma_f32 v[46:47], v[44:45], v[182:183], v[46:47] op_sel:[0,0,1] op_sel_hi:[1,0,0]
	v_pk_fma_f32 v[236:237], v[44:45], v[180:181], v[228:229] op_sel:[0,0,1] op_sel_hi:[1,1,0] neg_lo:[0,0,1] neg_hi:[0,0,1]
	v_pk_fma_f32 v[228:229], v[44:45], v[180:181], v[228:229] op_sel:[0,0,1] op_sel_hi:[1,0,0]
	;; [unrolled: 2-line block ×3, first 2 shown]
	v_pk_fma_f32 v[240:241], v[44:45], v[186:187], v[232:233] op_sel:[0,0,1] op_sel_hi:[1,0,0]
	v_pk_fma_f32 v[232:233], v[44:45], v[186:187], v[232:233] op_sel:[0,0,1] op_sel_hi:[1,1,0] neg_lo:[0,0,1] neg_hi:[0,0,1]
	v_dual_mov_b32 v235, v47 :: v_dual_mov_b32 v237, v229
	s_delay_alu instid0(VALU_DEP_3)
	v_dual_mov_b32 v239, v231 :: v_dual_mov_b32 v233, v241
	ds_load_b128 v[44:47], v198 offset:400
	ds_store_2addr_b64 v199, v[234:235], v[236:237] offset1:67
	ds_store_2addr_b64 v199, v[238:239], v[232:233] offset0:134 offset1:201
	s_wait_dscnt 0x0
	s_barrier_signal -1
	s_barrier_wait -1
	ds_load_2addr_b64 v[228:231], v200 offset1:1
	ds_load_2addr_b64 v[232:235], v200 offset0:2 offset1:3
	s_wait_dscnt 0x0
	s_barrier_signal -1
	s_barrier_wait -1
	v_pk_add_f32 v[228:229], v[228:229], 0 op_sel_hi:[1,0]
	s_delay_alu instid0(VALU_DEP_1) | instskip(NEXT) | instid1(VALU_DEP_1)
	v_pk_add_f32 v[22:23], v[228:229], v[230:231]
	v_pk_add_f32 v[20:21], v[22:23], v[232:233]
	;; [unrolled: 1-line block ×3, first 2 shown]
	s_delay_alu instid0(VALU_DEP_2)
	v_pk_add_f32 v[18:19], v[20:21], v[234:235]
	ds_store_2addr_b64 v207, v[16:17], v[32:33] offset1:16
	ds_store_2addr_b64 v207, v[22:23], v[18:19] offset0:32 offset1:48
	s_wait_dscnt 0x0
	s_barrier_signal -1
	s_barrier_wait -1
	s_and_saveexec_b32 s59, s68
	s_cbranch_execz .LBB117_67
; %bb.122:                              ;   in Loop: Header=BB117_68 Depth=2
	ds_load_b64 v[36:37], v201
	ds_load_2addr_b64 v[16:19], v201 offset0:1 offset1:2
	ds_load_2addr_b64 v[20:23], v201 offset0:3 offset1:4
	ds_load_2addr_b64 v[32:35], v201 offset0:5 offset1:6
	s_wait_dscnt 0x2
	v_dual_add_f32 v16, v16, v36 :: v_dual_add_f32 v17, v17, v37
	s_delay_alu instid0(VALU_DEP_1) | instskip(SKIP_3) | instid1(VALU_DEP_1)
	v_dual_add_f32 v36, v18, v16 :: v_dual_add_f32 v37, v19, v17
	ds_load_2addr_b64 v[16:19], v201 offset0:7 offset1:8
	s_wait_dscnt 0x2
	v_dual_add_f32 v20, v36, v20 :: v_dual_add_f32 v21, v37, v21
	v_dual_add_f32 v36, v20, v22 :: v_dual_add_f32 v37, v21, v23
	ds_load_2addr_b64 v[20:23], v201 offset0:9 offset1:10
	s_wait_dscnt 0x2
	v_pk_add_f32 v[32:33], v[36:37], v[32:33]
	s_delay_alu instid0(VALU_DEP_1) | instskip(SKIP_3) | instid1(VALU_DEP_1)
	v_pk_add_f32 v[36:37], v[32:33], v[34:35]
	ds_load_2addr_b64 v[32:35], v201 offset0:11 offset1:12
	s_wait_dscnt 0x2
	v_pk_add_f32 v[16:17], v[36:37], v[16:17]
	v_pk_add_f32 v[16:17], v[16:17], v[18:19]
	s_wait_dscnt 0x1
	s_delay_alu instid0(VALU_DEP_1)
	v_pk_add_f32 v[20:21], v[16:17], v[20:21]
	ds_load_2addr_b64 v[16:19], v201 offset0:13 offset1:14
	v_pk_add_f32 v[20:21], v[20:21], v[22:23]
	ds_load_b64 v[22:23], v202
	s_wait_dscnt 0x2
	v_pk_add_f32 v[20:21], v[20:21], v[32:33]
	s_delay_alu instid0(VALU_DEP_1) | instskip(SKIP_1) | instid1(VALU_DEP_1)
	v_pk_add_f32 v[20:21], v[20:21], v[34:35]
	s_wait_dscnt 0x1
	v_pk_add_f32 v[16:17], v[20:21], v[16:17]
	s_delay_alu instid0(VALU_DEP_1) | instskip(SKIP_1) | instid1(VALU_DEP_1)
	v_pk_add_f32 v[16:17], v[16:17], v[18:19]
	s_wait_dscnt 0x0
	v_pk_add_f32 v[16:17], v[16:17], v[22:23]
	global_store_b64 v57, v[16:17], s[56:57] scale_offset
	s_branch .LBB117_67
.LBB117_123:                            ;   in Loop: Header=BB117_4 Depth=1
	ds_store_b64 v203, v[112:113]
	s_wait_dscnt 0x0
	s_barrier_signal -1
	s_barrier_wait -1
	s_and_saveexec_b32 s58, s64
	s_cbranch_execz .LBB117_2
; %bb.124:                              ;   in Loop: Header=BB117_4 Depth=1
	ds_load_2addr_b64 v[0:3], v189 offset1:67
	ds_load_2addr_b64 v[4:7], v189 offset0:134 offset1:201
	s_wait_dscnt 0x1
	v_pk_add_f32 v[0:1], v[2:3], v[0:1]
	v_lshl_add_u64 v[2:3], v[58:59], 3, s[56:57]
	s_wait_dscnt 0x0
	s_delay_alu instid0(VALU_DEP_2) | instskip(NEXT) | instid1(VALU_DEP_1)
	v_pk_add_f32 v[0:1], v[4:5], v[0:1]
	v_pk_add_f32 v[0:1], v[0:1], v[6:7]
	global_store_b64 v[2:3], v[0:1], off
	s_branch .LBB117_2
.LBB117_125:                            ;   in Loop: Header=BB117_4 Depth=1
	ds_load_b64 v[2:3], v208
	s_wait_dscnt 0x0
	ds_store_b64 v193, v[2:3]
	s_or_b32 exec_lo, exec_lo, s56
	s_and_saveexec_b32 s56, s7
	s_cbranch_execz .LBB117_25
.LBB117_126:                            ;   in Loop: Header=BB117_4 Depth=1
	ds_load_b64 v[2:3], v209
	s_wait_dscnt 0x0
	ds_store_b64 v193, v[2:3] offset:8
	s_or_b32 exec_lo, exec_lo, s56
	s_and_saveexec_b32 s56, s8
	s_cbranch_execz .LBB117_26
.LBB117_127:                            ;   in Loop: Header=BB117_4 Depth=1
	ds_load_b64 v[2:3], v209 offset:264
	s_wait_dscnt 0x0
	ds_store_b64 v193, v[2:3] offset:16
	s_or_b32 exec_lo, exec_lo, s56
	s_and_saveexec_b32 s56, s9
	s_cbranch_execnz .LBB117_27
	s_branch .LBB117_28
.LBB117_128:                            ;   in Loop: Header=BB117_4 Depth=1
	ds_load_b64 v[2:3], v208
	s_wait_dscnt 0x0
	ds_store_b64 v193, v[2:3]
	s_or_b32 exec_lo, exec_lo, s56
	s_and_saveexec_b32 s56, s7
	s_cbranch_execz .LBB117_44
.LBB117_129:                            ;   in Loop: Header=BB117_4 Depth=1
	ds_load_b64 v[2:3], v209
	s_wait_dscnt 0x0
	ds_store_b64 v193, v[2:3] offset:8
	s_or_b32 exec_lo, exec_lo, s56
	s_and_saveexec_b32 s56, s8
	s_cbranch_execz .LBB117_45
.LBB117_130:                            ;   in Loop: Header=BB117_4 Depth=1
	ds_load_b64 v[2:3], v209 offset:264
	s_wait_dscnt 0x0
	ds_store_b64 v193, v[2:3] offset:16
	s_or_b32 exec_lo, exec_lo, s56
	s_and_saveexec_b32 s56, s9
	s_cbranch_execnz .LBB117_46
	s_branch .LBB117_47
.LBB117_131:
	s_sendmsg sendmsg(MSG_DEALLOC_VGPRS)
	s_endpgm
	.section	.rodata,"a",@progbits
	.p2align	6, 0x0
	.amdhsa_kernel _ZL26rocblas_hemvn_kernel_upperILb0ELi64ELi4ELi33ELi32ELi16Ei19rocblas_complex_numIfEPKS1_PS1_EviT6_lT7_lT5_lS6_lS7_lS5_lT8_i
		.amdhsa_group_segment_fixed_size 9600
		.amdhsa_private_segment_fixed_size 0
		.amdhsa_kernarg_size 376
		.amdhsa_user_sgpr_count 2
		.amdhsa_user_sgpr_dispatch_ptr 0
		.amdhsa_user_sgpr_queue_ptr 0
		.amdhsa_user_sgpr_kernarg_segment_ptr 1
		.amdhsa_user_sgpr_dispatch_id 0
		.amdhsa_user_sgpr_kernarg_preload_length 0
		.amdhsa_user_sgpr_kernarg_preload_offset 0
		.amdhsa_user_sgpr_private_segment_size 0
		.amdhsa_wavefront_size32 1
		.amdhsa_uses_dynamic_stack 0
		.amdhsa_enable_private_segment 0
		.amdhsa_system_sgpr_workgroup_id_x 1
		.amdhsa_system_sgpr_workgroup_id_y 0
		.amdhsa_system_sgpr_workgroup_id_z 1
		.amdhsa_system_sgpr_workgroup_info 0
		.amdhsa_system_vgpr_workitem_id 1
		.amdhsa_next_free_vgpr 242
		.amdhsa_next_free_sgpr 76
		.amdhsa_named_barrier_count 0
		.amdhsa_reserve_vcc 1
		.amdhsa_float_round_mode_32 0
		.amdhsa_float_round_mode_16_64 0
		.amdhsa_float_denorm_mode_32 3
		.amdhsa_float_denorm_mode_16_64 3
		.amdhsa_fp16_overflow 0
		.amdhsa_memory_ordered 1
		.amdhsa_forward_progress 1
		.amdhsa_inst_pref_size 67
		.amdhsa_round_robin_scheduling 0
		.amdhsa_exception_fp_ieee_invalid_op 0
		.amdhsa_exception_fp_denorm_src 0
		.amdhsa_exception_fp_ieee_div_zero 0
		.amdhsa_exception_fp_ieee_overflow 0
		.amdhsa_exception_fp_ieee_underflow 0
		.amdhsa_exception_fp_ieee_inexact 0
		.amdhsa_exception_int_div_zero 0
	.end_amdhsa_kernel
	.section	.text._ZL26rocblas_hemvn_kernel_upperILb0ELi64ELi4ELi33ELi32ELi16Ei19rocblas_complex_numIfEPKS1_PS1_EviT6_lT7_lT5_lS6_lS7_lS5_lT8_i,"axG",@progbits,_ZL26rocblas_hemvn_kernel_upperILb0ELi64ELi4ELi33ELi32ELi16Ei19rocblas_complex_numIfEPKS1_PS1_EviT6_lT7_lT5_lS6_lS7_lS5_lT8_i,comdat
.Lfunc_end117:
	.size	_ZL26rocblas_hemvn_kernel_upperILb0ELi64ELi4ELi33ELi32ELi16Ei19rocblas_complex_numIfEPKS1_PS1_EviT6_lT7_lT5_lS6_lS7_lS5_lT8_i, .Lfunc_end117-_ZL26rocblas_hemvn_kernel_upperILb0ELi64ELi4ELi33ELi32ELi16Ei19rocblas_complex_numIfEPKS1_PS1_EviT6_lT7_lT5_lS6_lS7_lS5_lT8_i
                                        ; -- End function
	.set _ZL26rocblas_hemvn_kernel_upperILb0ELi64ELi4ELi33ELi32ELi16Ei19rocblas_complex_numIfEPKS1_PS1_EviT6_lT7_lT5_lS6_lS7_lS5_lT8_i.num_vgpr, 242
	.set _ZL26rocblas_hemvn_kernel_upperILb0ELi64ELi4ELi33ELi32ELi16Ei19rocblas_complex_numIfEPKS1_PS1_EviT6_lT7_lT5_lS6_lS7_lS5_lT8_i.num_agpr, 0
	.set _ZL26rocblas_hemvn_kernel_upperILb0ELi64ELi4ELi33ELi32ELi16Ei19rocblas_complex_numIfEPKS1_PS1_EviT6_lT7_lT5_lS6_lS7_lS5_lT8_i.numbered_sgpr, 76
	.set _ZL26rocblas_hemvn_kernel_upperILb0ELi64ELi4ELi33ELi32ELi16Ei19rocblas_complex_numIfEPKS1_PS1_EviT6_lT7_lT5_lS6_lS7_lS5_lT8_i.num_named_barrier, 0
	.set _ZL26rocblas_hemvn_kernel_upperILb0ELi64ELi4ELi33ELi32ELi16Ei19rocblas_complex_numIfEPKS1_PS1_EviT6_lT7_lT5_lS6_lS7_lS5_lT8_i.private_seg_size, 0
	.set _ZL26rocblas_hemvn_kernel_upperILb0ELi64ELi4ELi33ELi32ELi16Ei19rocblas_complex_numIfEPKS1_PS1_EviT6_lT7_lT5_lS6_lS7_lS5_lT8_i.uses_vcc, 1
	.set _ZL26rocblas_hemvn_kernel_upperILb0ELi64ELi4ELi33ELi32ELi16Ei19rocblas_complex_numIfEPKS1_PS1_EviT6_lT7_lT5_lS6_lS7_lS5_lT8_i.uses_flat_scratch, 0
	.set _ZL26rocblas_hemvn_kernel_upperILb0ELi64ELi4ELi33ELi32ELi16Ei19rocblas_complex_numIfEPKS1_PS1_EviT6_lT7_lT5_lS6_lS7_lS5_lT8_i.has_dyn_sized_stack, 0
	.set _ZL26rocblas_hemvn_kernel_upperILb0ELi64ELi4ELi33ELi32ELi16Ei19rocblas_complex_numIfEPKS1_PS1_EviT6_lT7_lT5_lS6_lS7_lS5_lT8_i.has_recursion, 0
	.set _ZL26rocblas_hemvn_kernel_upperILb0ELi64ELi4ELi33ELi32ELi16Ei19rocblas_complex_numIfEPKS1_PS1_EviT6_lT7_lT5_lS6_lS7_lS5_lT8_i.has_indirect_call, 0
	.section	.AMDGPU.csdata,"",@progbits
; Kernel info:
; codeLenInByte = 8516
; TotalNumSgprs: 78
; NumVgprs: 242
; ScratchSize: 0
; MemoryBound: 1
; FloatMode: 240
; IeeeMode: 1
; LDSByteSize: 9600 bytes/workgroup (compile time only)
; SGPRBlocks: 0
; VGPRBlocks: 15
; NumSGPRsForWavesPerEU: 78
; NumVGPRsForWavesPerEU: 242
; NamedBarCnt: 0
; Occupancy: 4
; WaveLimiterHint : 1
; COMPUTE_PGM_RSRC2:SCRATCH_EN: 0
; COMPUTE_PGM_RSRC2:USER_SGPR: 2
; COMPUTE_PGM_RSRC2:TRAP_HANDLER: 0
; COMPUTE_PGM_RSRC2:TGID_X_EN: 1
; COMPUTE_PGM_RSRC2:TGID_Y_EN: 0
; COMPUTE_PGM_RSRC2:TGID_Z_EN: 1
; COMPUTE_PGM_RSRC2:TIDIG_COMP_CNT: 1
	.section	.text._ZL26rocblas_hemvn_kernel_lowerILb0ELi64ELi4ELi33ELi32ELi16ElPK19rocblas_complex_numIfES3_PS1_EviT6_lT7_lT5_lS6_lS7_lS5_lT8_i,"axG",@progbits,_ZL26rocblas_hemvn_kernel_lowerILb0ELi64ELi4ELi33ELi32ELi16ElPK19rocblas_complex_numIfES3_PS1_EviT6_lT7_lT5_lS6_lS7_lS5_lT8_i,comdat
	.globl	_ZL26rocblas_hemvn_kernel_lowerILb0ELi64ELi4ELi33ELi32ELi16ElPK19rocblas_complex_numIfES3_PS1_EviT6_lT7_lT5_lS6_lS7_lS5_lT8_i ; -- Begin function _ZL26rocblas_hemvn_kernel_lowerILb0ELi64ELi4ELi33ELi32ELi16ElPK19rocblas_complex_numIfES3_PS1_EviT6_lT7_lT5_lS6_lS7_lS5_lT8_i
	.p2align	8
	.type	_ZL26rocblas_hemvn_kernel_lowerILb0ELi64ELi4ELi33ELi32ELi16ElPK19rocblas_complex_numIfES3_PS1_EviT6_lT7_lT5_lS6_lS7_lS5_lT8_i,@function
_ZL26rocblas_hemvn_kernel_lowerILb0ELi64ELi4ELi33ELi32ELi16ElPK19rocblas_complex_numIfES3_PS1_EviT6_lT7_lT5_lS6_lS7_lS5_lT8_i: ; @_ZL26rocblas_hemvn_kernel_lowerILb0ELi64ELi4ELi33ELi32ELi16ElPK19rocblas_complex_numIfES3_PS1_EviT6_lT7_lT5_lS6_lS7_lS5_lT8_i
; %bb.0:
	s_clause 0x1
	s_load_b64 s[2:3], s[0:1], 0x84
	s_load_b32 s33, s[0:1], 0x70
	s_bfe_u32 s4, ttmp6, 0x40014
	s_lshr_b32 s5, ttmp7, 16
	s_add_co_i32 s4, s4, 1
	s_bfe_u32 s6, ttmp6, 0x40008
	s_mul_i32 s7, s5, s4
	s_getreg_b32 s4, hwreg(HW_REG_IB_STS2, 6, 4)
	s_add_co_i32 s6, s6, s7
	s_mov_b32 s21, 0
	s_wait_kmcnt 0x0
	s_lshr_b32 s7, s2, 16
	s_and_b32 s2, s2, 0xffff
	s_and_b32 s3, s3, 0xffff
	s_mul_i32 s2, s7, s2
	s_cmp_eq_u32 s4, 0
	s_mul_i32 s2, s2, s3
	s_cselect_b32 s22, s5, s6
	s_cmp_lg_u32 s2, 0x100
	s_cselect_b32 s2, -1, 0
	s_cmp_ge_u32 s22, s33
	s_cselect_b32 s3, -1, 0
	s_delay_alu instid0(SALU_CYCLE_1) | instskip(NEXT) | instid1(SALU_CYCLE_1)
	s_or_b32 s2, s2, s3
	s_and_b32 vcc_lo, exec_lo, s2
	s_cbranch_vccnz .LBB118_82
; %bb.1:
	s_load_b32 s2, s[0:1], 0x0
	s_add_nc_u64 s[8:9], s[0:1], 0x78
	s_clause 0x2
	s_load_b512 s[36:51], s[0:1], 0x8
	s_load_b64 s[6:7], s[0:1], 0x68
	s_load_b256 s[24:31], s[0:1], 0x48
	s_wait_xcnt 0x0
	s_bfe_u32 s0, ttmp6, 0x4000c
	s_and_b32 s1, ttmp6, 15
	s_add_co_i32 s0, s0, 1
	v_and_b32_e32 v32, 0x3ff, v0
	s_mul_i32 s3, ttmp9, s0
	v_bfe_u32 v1, v0, 10, 10
	s_add_co_i32 s1, s1, s3
	s_load_b32 s20, s[8:9], 0x0
	v_dual_mov_b32 v35, 0 :: v_dual_bitop2_b32 v34, 31, v0 bitop3:0x40
	s_delay_alu instid0(VALU_DEP_2) | instskip(SKIP_2) | instid1(VALU_DEP_4)
	v_lshl_add_u32 v8, v1, 6, v32
	v_lshlrev_b32_e32 v33, 3, v32
	v_cmp_eq_u32_e64 s0, 0, v1
	v_lshlrev_b32_e32 v9, 3, v34
	v_mul_u32_u24_e32 v16, 33, v34
	v_sub_nc_u64_e32 v[36:37], 0, v[34:35]
	v_add_nc_u32_e32 v88, 0x2380, v33
	s_wait_kmcnt 0x0
	s_ashr_i32 s3, s2, 31
	s_cmp_eq_u32 s4, 0
	v_lshl_or_b32 v89, v34, 8, v9
	s_cselect_b32 s98, ttmp9, s1
	s_lshr_b32 s1, s3, 26
	s_lshl_b32 s18, s98, 6
	s_add_co_i32 s1, s2, s1
	v_add_nc_u32_e32 v38, s18, v32
	v_lshrrev_b32_e32 v10, 5, v8
	s_and_not1_b32 s1, s1, 63
	s_mul_u64 s[52:53], s[20:21], s[2:3]
	s_add_co_i32 s3, s20, -1
	v_ashrrev_i32_e32 v39, 31, v38
	v_add_nc_u32_e32 v12, 8, v10
	v_mad_nc_u64_u32 v[2:3], s44, v10, v[34:35]
	s_lshl_b64 s[4:5], s[50:51], 3
	s_lshl_b64 s[8:9], s[42:43], 3
	v_mul_u64_e32 v[4:5], s[24:25], v[38:39]
	s_sub_co_i32 s1, s2, s1
	s_cmp_eq_u32 s98, s3
	s_add_nc_u64 s[10:11], s[48:49], s[4:5]
	s_add_nc_u64 s[4:5], s[40:41], s[8:9]
	s_cselect_b32 s40, s1, 0
	s_mul_i32 s8, s2, s98
	s_cmp_eq_u32 s40, 0
	v_mad_u32 v3, s45, v10, v3
	s_cselect_b32 s99, -1, 0
	s_cmp_lg_u32 s40, 0
	v_add_nc_u32_e32 v13, 16, v10
	s_cselect_b32 s14, -1, 0
	s_ashr_i32 s19, s18, 31
	s_ashr_i32 s9, s8, 31
	s_lshl_b64 s[12:13], s[18:19], 3
	s_mul_u64 s[60:61], s[44:45], s[18:19]
	s_add_nc_u64 s[4:5], s[4:5], s[12:13]
	s_lshl_b64 s[8:9], s[8:9], 3
	v_lshl_add_u64 v[6:7], v[2:3], 3, s[4:5]
	s_add_nc_u64 s[50:51], s[6:7], s[8:9]
	v_cmp_le_i32_e32 vcc_lo, s40, v32
	s_sub_co_i32 s16, s40, 32
	v_mul_u32_u24_e32 v11, 0x108, v10
	v_lshl_add_u64 v[40:41], s[60:61], 3, v[6:7]
	v_and_b32_e32 v6, 0x7fe0, v8
	v_cmp_gt_i32_e64 s2, s40, v10
	s_and_b32 s4, s14, vcc_lo
	v_mul_u32_u24_e32 v14, 0x420, v10
	v_cmp_gt_i32_e64 s13, s16, v10
	v_add_nc_u32_e32 v91, 0x2380, v6
	v_cmp_gt_i32_e64 s14, s16, v12
	v_lshl_add_u64 v[42:43], v[4:5], 3, s[10:11]
	v_dual_lshlrev_b32 v4, 2, v10 :: v_dual_add_nc_u32 v5, 24, v10
	v_add_nc_u32_e32 v90, v89, v6
	v_cmp_gt_i32_e64 s15, s16, v13
	s_delay_alu instid0(VALU_DEP_3) | instskip(SKIP_3) | instid1(VALU_DEP_4)
	v_dual_lshlrev_b32 v17, 3, v10 :: v_dual_bitop2_b32 v7, 1, v4 bitop3:0x54
	v_cmp_lt_u32_e64 s7, v4, v34
	v_or_b32_e32 v15, 2, v4
	v_or_b32_e32 v4, 3, v4
	v_lshl_add_u32 v92, v16, 3, v17
	v_cmp_gt_i32_e64 s6, s40, v5
	v_cmp_gt_i32_e64 s16, s16, v5
	v_cmp_eq_u32_e64 s17, 1, v10
	v_cmp_lt_u32_e64 s10, v4, v34
	v_or_b32_e32 v4, 32, v34
	v_mul_i32_i24_e32 v6, 0xffffffe8, v10
	v_mad_u32_u24 v93, v10, 24, v92
	v_dual_mov_b32 v5, v35 :: v_dual_lshrrev_b32 v10, 4, v8
	s_delay_alu instid0(VALU_DEP_4)
	v_cmp_gt_i32_e64 s12, s40, v4
	v_lshlrev_b32_e32 v4, 2, v1
	v_cmp_gt_i32_e64 s3, s40, v12
	v_and_b32_e32 v12, 15, v0
	v_sub_nc_u64_e32 v[44:45], 0, v[2:3]
	v_dual_lshlrev_b32 v2, 5, v10 :: v_dual_bitop2_b32 v0, 48, v0 bitop3:0x40
	v_mul_u64_e32 v[46:47], s[44:45], v[4:5]
	v_cmp_lt_u32_e64 s8, v7, v34
	v_mul_u32_u24_e32 v7, 0x108, v7
	s_delay_alu instid0(VALU_DEP_4)
	v_dual_lshlrev_b32 v0, 3, v0 :: v_dual_add_nc_u32 v102, v9, v11
	v_or_b32_e32 v3, 0x78, v33
	v_mad_u32_u24 v97, 0x218, v12, v2
	v_mul_i32_i24_e32 v2, 0xffffffe8, v10
	s_mul_u64 s[18:19], s[24:25], s[18:19]
	v_mov_b64_e32 v[48:49], 0
	v_cmp_gt_i32_e64 s1, s40, v34
	s_lshl_b64 s[42:43], s[44:45], 6
	s_lshl_b64 s[48:49], s[44:45], 7
	s_ashr_i32 s41, s40, 31
	v_cmp_gt_i32_e64 s5, s40, v13
	v_cmp_lt_u32_e64 s9, v15, v34
	v_cmp_gt_u32_e64 s11, 32, v8
	s_lshl_b64 s[54:55], s[44:45], 5
	s_xor_b32 s20, s4, -1
	s_sub_nc_u64 s[58:59], 0, s[18:19]
	v_add_nc_u32_e32 v94, 0x2180, v33
	v_lshl_add_u32 v95, v1, 5, 0x2180
	v_mad_u32_u24 v96, 0x860, v1, v33
	v_cmp_gt_u32_e64 s18, 64, v8
	v_mad_u32_u24 v98, 0x218, v12, v0
	v_mad_u32_u24 v99, 0x218, v12, v3
	;; [unrolled: 1-line block ×3, first 2 shown]
	v_add_nc_u32_e32 v101, 0x2380, v17
	v_dual_add_nc_u32 v103, v9, v14 :: v_dual_add_nc_u32 v104, v9, v7
	v_add_nc_u32_e32 v105, v91, v6
	v_add_nc_u32_e32 v106, v97, v2
	v_lshlrev_b32_e32 v34, 3, v34
	s_cmp_gt_i32 s98, 0
	s_mul_u64 s[34:35], s[44:45], 0xc0
	s_sub_nc_u64 s[56:57], 0, s[54:55]
	s_cselect_b32 s100, -1, 0
	s_sub_nc_u64 s[60:61], 0, s[60:61]
	s_and_b32 s101, s0, s20
	s_sub_nc_u64 s[62:63], 0, s[40:41]
	s_lshl_b64 s[64:65], s[44:45], 3
	s_lshl_b64 s[66:67], s[44:45], 9
	;; [unrolled: 1-line block ×3, first 2 shown]
	s_mul_u64 s[70:71], s[44:45], 24
	s_mul_u64 s[72:73], s[44:45], 0x90
	;; [unrolled: 1-line block ×9, first 2 shown]
	s_mov_b64 s[88:89], 0xfffffffffffffef8
	s_mov_b64 s[90:91], 0xffffffffffffff00
	s_mul_u64 s[92:93], s[44:45], 0x108
	s_lshl_b64 s[94:95], s[44:45], 8
	s_mul_u64 s[44:45], s[44:45], 0x88
	s_branch .LBB118_4
.LBB118_2:                              ;   in Loop: Header=BB118_4 Depth=1
	s_wait_xcnt 0x0
	s_or_b32 exec_lo, exec_lo, s19
.LBB118_3:                              ;   in Loop: Header=BB118_4 Depth=1
	s_add_co_i32 s22, s22, 0x10000
	s_delay_alu instid0(SALU_CYCLE_1)
	s_cmp_lt_u32 s22, s33
	s_cbranch_scc0 .LBB118_82
.LBB118_4:                              ; =>This Loop Header: Depth=1
                                        ;     Child Loop BB118_70 Depth 2
	s_mov_b32 s23, s21
	s_mov_b32 s20, -1
	s_wait_xcnt 0x0
	s_mul_u64 s[96:97], s[38:39], s[22:23]
	s_delay_alu instid0(SALU_CYCLE_1) | instskip(NEXT) | instid1(SALU_CYCLE_1)
	s_lshl_b64 s[96:97], s[96:97], 3
	s_add_nc_u64 s[96:97], s[36:37], s[96:97]
	global_load_b64 v[0:1], v35, s[96:97]
	s_wait_loadcnt 0x0
	v_or_b32_e32 v0, v0, v1
	s_delay_alu instid0(VALU_DEP_1) | instskip(NEXT) | instid1(VALU_DEP_1)
	v_and_b32_e32 v0, 0x7fffffff, v0
	v_cmp_ne_u32_e64 s19, 0, v0
	s_and_b32 vcc_lo, exec_lo, s19
	s_cbranch_vccnz .LBB118_6
; %bb.5:                                ;   in Loop: Header=BB118_4 Depth=1
	s_wait_xcnt 0x0
	s_mul_u64 s[96:97], s[30:31], s[22:23]
	s_delay_alu instid0(SALU_CYCLE_1) | instskip(NEXT) | instid1(SALU_CYCLE_1)
	s_lshl_b64 s[96:97], s[96:97], 3
	s_add_nc_u64 s[96:97], s[28:29], s[96:97]
	global_load_b64 v[0:1], v35, s[96:97]
	s_wait_loadcnt 0x0
	v_cmp_neq_f32_e32 vcc_lo, 1.0, v0
	v_cmp_neq_f32_e64 s20, 0, v1
	s_or_b32 s20, vcc_lo, s20
.LBB118_6:                              ;   in Loop: Header=BB118_4 Depth=1
	s_delay_alu instid0(SALU_CYCLE_1)
	s_and_not1_b32 vcc_lo, exec_lo, s20
	s_cbranch_vccnz .LBB118_3
; %bb.7:                                ;   in Loop: Header=BB118_4 Depth=1
	s_and_not1_b32 vcc_lo, exec_lo, s19
	s_cbranch_vccnz .LBB118_3
; %bb.8:                                ;   in Loop: Header=BB118_4 Depth=1
	s_wait_xcnt 0x0
	s_mul_u64 s[96:97], s[26:27], s[22:23]
	s_delay_alu instid0(SALU_CYCLE_1)
	v_lshl_add_u64 v[16:17], s[96:97], 3, v[42:43]
	s_and_saveexec_b32 s19, s0
	s_cbranch_execz .LBB118_13
; %bb.9:                                ;   in Loop: Header=BB118_4 Depth=1
	s_and_saveexec_b32 s20, s4
	s_delay_alu instid0(SALU_CYCLE_1)
	s_xor_b32 s20, exec_lo, s20
; %bb.10:                               ;   in Loop: Header=BB118_4 Depth=1
	ds_store_b64 v88, v[48:49]
; %bb.11:                               ;   in Loop: Header=BB118_4 Depth=1
	s_and_not1_saveexec_b32 s20, s20
	s_cbranch_execz .LBB118_13
; %bb.12:                               ;   in Loop: Header=BB118_4 Depth=1
	global_load_b64 v[0:1], v[16:17], off
	s_wait_loadcnt 0x0
	ds_store_b64 v88, v[0:1]
.LBB118_13:                             ;   in Loop: Header=BB118_4 Depth=1
	s_wait_xcnt 0x0
	s_or_b32 exec_lo, exec_lo, s19
	s_mul_u64 s[96:97], s[46:47], s[22:23]
	s_and_not1_b32 vcc_lo, exec_lo, s99
	v_lshl_add_u64 v[0:1], s[96:97], 3, v[40:41]
	s_mov_b32 s19, -1
	s_cbranch_vccnz .LBB118_15
; %bb.14:                               ;   in Loop: Header=BB118_4 Depth=1
	s_delay_alu instid0(VALU_DEP_1) | instskip(SKIP_1) | instid1(VALU_DEP_1)
	v_add_nc_u64_e32 v[2:3], s[42:43], v[0:1]
	s_mov_b32 s19, 0
	v_add_nc_u64_e32 v[4:5], s[42:43], v[2:3]
	s_delay_alu instid0(VALU_DEP_1)
	v_add_nc_u64_e32 v[6:7], s[42:43], v[4:5]
	s_clause 0x3
	global_load_b64 v[8:9], v[0:1], off
	global_load_b64 v[2:3], v[2:3], off
	;; [unrolled: 1-line block ×4, first 2 shown]
	s_wait_loadcnt 0x3
	ds_store_b64 v102, v[8:9]
	s_wait_loadcnt 0x2
	ds_store_b64 v102, v[2:3] offset:2112
	s_wait_loadcnt 0x1
	ds_store_b64 v102, v[4:5] offset:4224
	;; [unrolled: 2-line block ×3, first 2 shown]
.LBB118_15:                             ;   in Loop: Header=BB118_4 Depth=1
	s_and_not1_b32 vcc_lo, exec_lo, s19
	s_cbranch_vccnz .LBB118_25
; %bb.16:                               ;   in Loop: Header=BB118_4 Depth=1
	s_wait_xcnt 0x2
	v_lshl_add_u64 v[2:3], v[36:37], 3, v[0:1]
	s_wait_xcnt 0x0
	v_dual_mov_b32 v6, 0 :: v_dual_mov_b32 v4, 0
	v_mov_b32_e32 v5, 0
	s_delay_alu instid0(VALU_DEP_3) | instskip(NEXT) | instid1(VALU_DEP_1)
	v_lshl_add_u64 v[2:3], s[40:41], 3, v[2:3]
	v_add_nc_u64_e32 v[2:3], -8, v[2:3]
	s_delay_alu instid0(VALU_DEP_1)
	v_dual_cndmask_b32 v3, v3, v1, s1 :: v_dual_cndmask_b32 v2, v2, v0, s1
	s_and_saveexec_b32 s19, s2
	s_cbranch_execz .LBB118_18
; %bb.17:                               ;   in Loop: Header=BB118_4 Depth=1
	global_load_b64 v[4:5], v[2:3], off
.LBB118_18:                             ;   in Loop: Header=BB118_4 Depth=1
	s_wait_xcnt 0x0
	s_or_b32 exec_lo, exec_lo, s19
	v_mov_b32_e32 v7, 0
	s_wait_loadcnt 0x0
	ds_store_b64 v102, v[4:5]
	s_and_saveexec_b32 s19, s3
	s_cbranch_execz .LBB118_20
; %bb.19:                               ;   in Loop: Header=BB118_4 Depth=1
	v_add_nc_u64_e32 v[4:5], s[42:43], v[2:3]
	global_load_b64 v[6:7], v[4:5], off
.LBB118_20:                             ;   in Loop: Header=BB118_4 Depth=1
	s_wait_xcnt 0x0
	s_or_b32 exec_lo, exec_lo, s19
	v_dual_mov_b32 v4, 0 :: v_dual_mov_b32 v8, 0
	v_mov_b32_e32 v9, 0
	s_wait_loadcnt 0x0
	ds_store_b64 v102, v[6:7] offset:2112
	s_and_saveexec_b32 s19, s5
	s_cbranch_execz .LBB118_22
; %bb.21:                               ;   in Loop: Header=BB118_4 Depth=1
	v_add_nc_u64_e32 v[6:7], s[48:49], v[2:3]
	global_load_b64 v[8:9], v[6:7], off
.LBB118_22:                             ;   in Loop: Header=BB118_4 Depth=1
	s_wait_xcnt 0x0
	s_or_b32 exec_lo, exec_lo, s19
	v_mov_b32_e32 v5, 0
	s_wait_loadcnt 0x0
	ds_store_b64 v102, v[8:9] offset:4224
	s_and_saveexec_b32 s19, s6
	s_cbranch_execz .LBB118_24
; %bb.23:                               ;   in Loop: Header=BB118_4 Depth=1
	v_add_nc_u64_e32 v[4:5], s[34:35], v[2:3]
	global_load_b64 v[4:5], v[4:5], off
.LBB118_24:                             ;   in Loop: Header=BB118_4 Depth=1
	s_wait_xcnt 0x0
	s_or_b32 exec_lo, exec_lo, s19
	v_add_nc_u64_e32 v[2:3], v[2:3], v[34:35]
	s_wait_loadcnt 0x0
	ds_store_b64 v102, v[4:5] offset:6336
	v_lshl_add_u64 v[2:3], s[62:63], 3, v[2:3]
	s_delay_alu instid0(VALU_DEP_1) | instskip(NEXT) | instid1(VALU_DEP_1)
	v_add_nc_u64_e32 v[2:3], 8, v[2:3]
	v_dual_cndmask_b32 v1, v3, v1, s1 :: v_dual_cndmask_b32 v0, v2, v0, s1
.LBB118_25:                             ;   in Loop: Header=BB118_4 Depth=1
	s_wait_dscnt 0x0
	s_barrier_signal -1
	s_barrier_wait -1
	s_wait_xcnt 0x0
	s_and_saveexec_b32 s19, s7
	s_cbranch_execnz .LBB118_76
; %bb.26:                               ;   in Loop: Header=BB118_4 Depth=1
	s_or_b32 exec_lo, exec_lo, s19
	s_and_saveexec_b32 s19, s8
	s_cbranch_execnz .LBB118_77
.LBB118_27:                             ;   in Loop: Header=BB118_4 Depth=1
	s_or_b32 exec_lo, exec_lo, s19
	s_and_saveexec_b32 s19, s9
	s_cbranch_execnz .LBB118_78
.LBB118_28:                             ;   in Loop: Header=BB118_4 Depth=1
	s_or_b32 exec_lo, exec_lo, s19
	s_and_saveexec_b32 s19, s10
	s_cbranch_execz .LBB118_30
.LBB118_29:                             ;   in Loop: Header=BB118_4 Depth=1
	ds_load_b64 v[2:3], v104 offset:528
	s_wait_dscnt 0x0
	ds_store_b64 v90, v[2:3] offset:24
.LBB118_30:                             ;   in Loop: Header=BB118_4 Depth=1
	s_or_b32 exec_lo, exec_lo, s19
	s_wait_dscnt 0x0
	s_barrier_signal -1
	s_barrier_wait -1
	ds_load_b64 v[14:15], v103
	ds_load_b128 v[2:5], v91
	ds_load_2addr_b64 v[6:9], v104 offset1:33
	ds_load_b128 v[10:13], v91 offset:16
	ds_load_b64 v[18:19], v104 offset:528
	v_mov_b64_e32 v[50:51], 0
	s_wait_dscnt 0x0
	s_barrier_signal -1
	s_barrier_wait -1
	v_pk_mul_f32 v[20:21], v[2:3], v[14:15] op_sel:[1,1] op_sel_hi:[0,1]
	v_dual_mov_b32 v22, v5 :: v_dual_mov_b32 v23, v4
	v_pk_mul_f32 v[24:25], v[10:11], v[8:9] op_sel:[1,1] op_sel_hi:[0,1]
	v_dual_mov_b32 v28, v13 :: v_dual_mov_b32 v29, v12
	s_delay_alu instid0(VALU_DEP_4) | instskip(NEXT) | instid1(VALU_DEP_4)
	v_pk_fma_f32 v[26:27], v[2:3], v[14:15], v[20:21] op_sel_hi:[1,0,1]
	v_pk_mul_f32 v[22:23], v[22:23], v[6:7] op_sel:[0,1]
	v_pk_fma_f32 v[2:3], v[2:3], v[14:15], v[20:21] neg_lo:[0,0,1] neg_hi:[0,0,1]
	v_pk_fma_f32 v[20:21], v[10:11], v[8:9], v[24:25] op_sel_hi:[1,0,1]
	s_delay_alu instid0(VALU_DEP_3)
	v_pk_fma_f32 v[14:15], v[4:5], v[6:7], v[22:23] op_sel_hi:[1,0,1]
	v_mov_b32_e32 v3, v27
	v_pk_fma_f32 v[4:5], v[4:5], v[6:7], v[22:23] neg_lo:[0,0,1] neg_hi:[0,0,1]
	v_pk_mul_f32 v[26:27], v[28:29], v[18:19] op_sel:[0,1]
	v_pk_fma_f32 v[6:7], v[10:11], v[8:9], v[24:25] neg_lo:[0,0,1] neg_hi:[0,0,1]
	v_mov_b32_e32 v5, v15
	v_pk_add_f32 v[2:3], v[2:3], 0 op_sel_hi:[1,0]
	s_delay_alu instid0(VALU_DEP_4) | instskip(SKIP_1) | instid1(VALU_DEP_3)
	v_pk_fma_f32 v[8:9], v[12:13], v[18:19], v[26:27] op_sel_hi:[1,0,1]
	v_mov_b32_e32 v7, v21
	v_pk_add_f32 v[2:3], v[2:3], v[4:5]
	v_pk_fma_f32 v[4:5], v[12:13], v[18:19], v[26:27] neg_lo:[0,0,1] neg_hi:[0,0,1]
	s_delay_alu instid0(VALU_DEP_4) | instskip(NEXT) | instid1(VALU_DEP_3)
	v_mov_b32_e32 v5, v9
	v_pk_add_f32 v[2:3], v[2:3], v[6:7]
	s_delay_alu instid0(VALU_DEP_1)
	v_pk_add_f32 v[2:3], v[2:3], v[4:5]
	ds_store_b64 v92, v[2:3]
	s_wait_dscnt 0x0
	s_barrier_signal -1
	s_barrier_wait -1
	s_and_saveexec_b32 s19, s11
	s_cbranch_execz .LBB118_32
; %bb.31:                               ;   in Loop: Header=BB118_4 Depth=1
	ds_load_2addr_b64 v[2:5], v89 offset1:7
	ds_load_2addr_b64 v[6:9], v89 offset0:1 offset1:2
	ds_load_2addr_b64 v[10:13], v89 offset0:3 offset1:4
	;; [unrolled: 1-line block ×3, first 2 shown]
	s_wait_dscnt 0x2
	v_dual_add_f32 v2, v6, v2 :: v_dual_add_f32 v3, v7, v3
	s_delay_alu instid0(VALU_DEP_1) | instskip(SKIP_1) | instid1(VALU_DEP_1)
	v_dual_add_f32 v2, v8, v2 :: v_dual_add_f32 v3, v9, v3
	s_wait_dscnt 0x1
	v_dual_add_f32 v2, v2, v10 :: v_dual_add_f32 v3, v3, v11
	s_delay_alu instid0(VALU_DEP_1) | instskip(SKIP_1) | instid1(VALU_DEP_1)
	v_dual_add_f32 v2, v2, v12 :: v_dual_add_f32 v3, v3, v13
	s_wait_dscnt 0x0
	v_dual_add_f32 v2, v2, v18 :: v_dual_add_f32 v3, v3, v19
	s_delay_alu instid0(VALU_DEP_1) | instskip(NEXT) | instid1(VALU_DEP_1)
	v_dual_add_f32 v2, v2, v20 :: v_dual_add_f32 v3, v3, v21
	v_pk_add_f32 v[50:51], v[2:3], v[4:5]
.LBB118_32:                             ;   in Loop: Header=BB118_4 Depth=1
	s_or_b32 exec_lo, exec_lo, s19
	v_lshl_add_u64 v[2:3], s[54:55], 3, v[0:1]
	s_and_not1_b32 vcc_lo, exec_lo, s99
	s_mov_b32 s19, -1
	s_barrier_signal -1
	s_barrier_wait -1
	s_cbranch_vccnz .LBB118_34
; %bb.33:                               ;   in Loop: Header=BB118_4 Depth=1
	v_add_nc_u64_e32 v[0:1], s[42:43], v[2:3]
	s_mov_b32 s19, 0
	s_delay_alu instid0(VALU_DEP_1) | instskip(NEXT) | instid1(VALU_DEP_1)
	v_add_nc_u64_e32 v[4:5], s[42:43], v[0:1]
	v_add_nc_u64_e32 v[6:7], s[42:43], v[4:5]
	s_clause 0x3
	global_load_b64 v[8:9], v[2:3], off offset:256
	global_load_b64 v[0:1], v[0:1], off offset:256
	;; [unrolled: 1-line block ×4, first 2 shown]
	s_wait_loadcnt 0x3
	ds_store_b64 v102, v[8:9]
	s_wait_loadcnt 0x2
	ds_store_b64 v102, v[0:1] offset:2112
	s_wait_loadcnt 0x1
	ds_store_b64 v102, v[4:5] offset:4224
	;; [unrolled: 2-line block ×3, first 2 shown]
.LBB118_34:                             ;   in Loop: Header=BB118_4 Depth=1
	s_wait_xcnt 0x2
	v_add_nc_u64_e32 v[0:1], 0x100, v[2:3]
	s_and_not1_b32 vcc_lo, exec_lo, s19
	s_cbranch_vccnz .LBB118_44
; %bb.35:                               ;   in Loop: Header=BB118_4 Depth=1
	v_lshl_add_u64 v[2:3], v[36:37], 3, v[2:3]
	s_wait_xcnt 0x0
	v_dual_mov_b32 v6, 0 :: v_dual_mov_b32 v4, 0
	v_mov_b32_e32 v5, 0
	s_delay_alu instid0(VALU_DEP_3) | instskip(NEXT) | instid1(VALU_DEP_1)
	v_lshl_add_u64 v[2:3], s[40:41], 3, v[2:3]
	v_add_nc_u64_e32 v[2:3], -8, v[2:3]
	s_delay_alu instid0(VALU_DEP_1)
	v_dual_cndmask_b32 v3, v3, v1, s12 :: v_dual_cndmask_b32 v2, v2, v0, s12
	s_and_saveexec_b32 s19, s13
	s_cbranch_execz .LBB118_37
; %bb.36:                               ;   in Loop: Header=BB118_4 Depth=1
	global_load_b64 v[4:5], v[2:3], off
.LBB118_37:                             ;   in Loop: Header=BB118_4 Depth=1
	s_wait_xcnt 0x0
	s_or_b32 exec_lo, exec_lo, s19
	v_mov_b32_e32 v7, 0
	s_wait_loadcnt 0x0
	ds_store_b64 v102, v[4:5]
	s_and_saveexec_b32 s19, s14
	s_cbranch_execz .LBB118_39
; %bb.38:                               ;   in Loop: Header=BB118_4 Depth=1
	v_add_nc_u64_e32 v[4:5], s[42:43], v[2:3]
	global_load_b64 v[6:7], v[4:5], off
.LBB118_39:                             ;   in Loop: Header=BB118_4 Depth=1
	s_wait_xcnt 0x0
	s_or_b32 exec_lo, exec_lo, s19
	v_dual_mov_b32 v4, 0 :: v_dual_mov_b32 v8, 0
	v_mov_b32_e32 v9, 0
	s_wait_loadcnt 0x0
	ds_store_b64 v102, v[6:7] offset:2112
	s_and_saveexec_b32 s19, s15
	s_cbranch_execz .LBB118_41
; %bb.40:                               ;   in Loop: Header=BB118_4 Depth=1
	v_add_nc_u64_e32 v[6:7], s[48:49], v[2:3]
	global_load_b64 v[8:9], v[6:7], off
.LBB118_41:                             ;   in Loop: Header=BB118_4 Depth=1
	s_wait_xcnt 0x0
	s_or_b32 exec_lo, exec_lo, s19
	v_mov_b32_e32 v5, 0
	s_wait_loadcnt 0x0
	ds_store_b64 v102, v[8:9] offset:4224
	s_and_saveexec_b32 s19, s16
	s_cbranch_execz .LBB118_43
; %bb.42:                               ;   in Loop: Header=BB118_4 Depth=1
	v_add_nc_u64_e32 v[4:5], s[34:35], v[2:3]
	global_load_b64 v[4:5], v[4:5], off
.LBB118_43:                             ;   in Loop: Header=BB118_4 Depth=1
	s_wait_xcnt 0x0
	s_or_b32 exec_lo, exec_lo, s19
	v_add_nc_u64_e32 v[2:3], v[2:3], v[34:35]
	s_wait_loadcnt 0x0
	ds_store_b64 v102, v[4:5] offset:6336
	v_lshl_add_u64 v[2:3], s[62:63], 3, v[2:3]
	s_delay_alu instid0(VALU_DEP_1) | instskip(NEXT) | instid1(VALU_DEP_1)
	v_add_nc_u64_e32 v[2:3], 0x108, v[2:3]
	v_dual_cndmask_b32 v1, v3, v1, s12 :: v_dual_cndmask_b32 v0, v2, v0, s12
.LBB118_44:                             ;   in Loop: Header=BB118_4 Depth=1
	s_wait_dscnt 0x0
	s_barrier_signal -1
	s_barrier_wait -1
	s_wait_xcnt 0x0
	s_and_saveexec_b32 s19, s7
	s_cbranch_execnz .LBB118_79
; %bb.45:                               ;   in Loop: Header=BB118_4 Depth=1
	s_or_b32 exec_lo, exec_lo, s19
	s_and_saveexec_b32 s19, s8
	s_cbranch_execnz .LBB118_80
.LBB118_46:                             ;   in Loop: Header=BB118_4 Depth=1
	s_or_b32 exec_lo, exec_lo, s19
	s_and_saveexec_b32 s19, s9
	s_cbranch_execnz .LBB118_81
.LBB118_47:                             ;   in Loop: Header=BB118_4 Depth=1
	s_or_b32 exec_lo, exec_lo, s19
	s_and_saveexec_b32 s19, s10
	s_cbranch_execz .LBB118_49
.LBB118_48:                             ;   in Loop: Header=BB118_4 Depth=1
	ds_load_b64 v[2:3], v104 offset:528
	s_wait_dscnt 0x0
	ds_store_b64 v90, v[2:3] offset:24
.LBB118_49:                             ;   in Loop: Header=BB118_4 Depth=1
	s_or_b32 exec_lo, exec_lo, s19
	s_wait_dscnt 0x0
	s_barrier_signal -1
	s_barrier_wait -1
	ds_load_b64 v[14:15], v103
	ds_load_b128 v[2:5], v91 offset:256
	ds_load_2addr_b64 v[6:9], v104 offset1:33
	ds_load_b128 v[10:13], v91 offset:272
	ds_load_b64 v[18:19], v104 offset:528
	s_wait_dscnt 0x0
	s_barrier_signal -1
	s_barrier_wait -1
	v_pk_mul_f32 v[20:21], v[2:3], v[14:15] op_sel:[1,1] op_sel_hi:[0,1]
	v_dual_mov_b32 v22, v5 :: v_dual_mov_b32 v23, v4
	v_pk_mul_f32 v[24:25], v[10:11], v[8:9] op_sel:[1,1] op_sel_hi:[0,1]
	v_dual_mov_b32 v28, v13 :: v_dual_mov_b32 v29, v12
	s_delay_alu instid0(VALU_DEP_4) | instskip(NEXT) | instid1(VALU_DEP_4)
	v_pk_fma_f32 v[26:27], v[2:3], v[14:15], v[20:21] op_sel_hi:[1,0,1]
	v_pk_mul_f32 v[22:23], v[22:23], v[6:7] op_sel:[0,1]
	v_pk_fma_f32 v[2:3], v[2:3], v[14:15], v[20:21] neg_lo:[0,0,1] neg_hi:[0,0,1]
	v_pk_fma_f32 v[20:21], v[10:11], v[8:9], v[24:25] op_sel_hi:[1,0,1]
	s_delay_alu instid0(VALU_DEP_3)
	v_pk_fma_f32 v[14:15], v[4:5], v[6:7], v[22:23] op_sel_hi:[1,0,1]
	v_mov_b32_e32 v3, v27
	v_pk_fma_f32 v[4:5], v[4:5], v[6:7], v[22:23] neg_lo:[0,0,1] neg_hi:[0,0,1]
	v_pk_mul_f32 v[26:27], v[28:29], v[18:19] op_sel:[0,1]
	v_pk_fma_f32 v[6:7], v[10:11], v[8:9], v[24:25] neg_lo:[0,0,1] neg_hi:[0,0,1]
	v_mov_b32_e32 v5, v15
	v_pk_add_f32 v[2:3], v[2:3], 0 op_sel_hi:[1,0]
	s_delay_alu instid0(VALU_DEP_4) | instskip(SKIP_1) | instid1(VALU_DEP_3)
	v_pk_fma_f32 v[8:9], v[12:13], v[18:19], v[26:27] op_sel_hi:[1,0,1]
	v_mov_b32_e32 v7, v21
	v_pk_add_f32 v[2:3], v[2:3], v[4:5]
	v_pk_fma_f32 v[4:5], v[12:13], v[18:19], v[26:27] neg_lo:[0,0,1] neg_hi:[0,0,1]
	s_delay_alu instid0(VALU_DEP_4) | instskip(NEXT) | instid1(VALU_DEP_3)
	v_mov_b32_e32 v5, v9
	v_pk_add_f32 v[2:3], v[2:3], v[6:7]
	s_delay_alu instid0(VALU_DEP_1)
	v_pk_add_f32 v[2:3], v[2:3], v[4:5]
	ds_store_b64 v92, v[2:3]
	s_wait_dscnt 0x0
	s_barrier_signal -1
	s_barrier_wait -1
	s_and_saveexec_b32 s19, s17
	s_cbranch_execz .LBB118_51
; %bb.50:                               ;   in Loop: Header=BB118_4 Depth=1
	ds_load_2addr_b64 v[2:5], v89 offset1:7
	ds_load_2addr_b64 v[6:9], v89 offset0:1 offset1:2
	ds_load_2addr_b64 v[10:13], v89 offset0:3 offset1:4
	;; [unrolled: 1-line block ×3, first 2 shown]
	s_wait_dscnt 0x2
	v_dual_add_f32 v2, v6, v2 :: v_dual_add_f32 v3, v7, v3
	s_delay_alu instid0(VALU_DEP_1) | instskip(SKIP_1) | instid1(VALU_DEP_1)
	v_dual_add_f32 v2, v8, v2 :: v_dual_add_f32 v3, v9, v3
	s_wait_dscnt 0x1
	v_dual_add_f32 v2, v2, v10 :: v_dual_add_f32 v3, v3, v11
	s_delay_alu instid0(VALU_DEP_1) | instskip(SKIP_1) | instid1(VALU_DEP_1)
	v_dual_add_f32 v2, v2, v12 :: v_dual_add_f32 v3, v3, v13
	s_wait_dscnt 0x0
	v_dual_add_f32 v2, v2, v18 :: v_dual_add_f32 v3, v3, v19
	s_delay_alu instid0(VALU_DEP_1) | instskip(NEXT) | instid1(VALU_DEP_1)
	v_pk_add_f32 v[2:3], v[2:3], v[20:21]
	v_pk_add_f32 v[50:51], v[2:3], v[4:5]
.LBB118_51:                             ;   in Loop: Header=BB118_4 Depth=1
	s_or_b32 exec_lo, exec_lo, s19
	v_lshl_add_u64 v[18:19], s[56:57], 3, v[0:1]
	s_and_not1_b32 vcc_lo, exec_lo, s99
	s_mov_b32 s19, -1
	s_barrier_signal -1
	s_barrier_wait -1
	s_cbranch_vccnz .LBB118_53
; %bb.52:                               ;   in Loop: Header=BB118_4 Depth=1
	v_add_nc_u64_e32 v[0:1], s[42:43], v[18:19]
	s_mov_b32 s19, 0
	s_delay_alu instid0(VALU_DEP_1) | instskip(NEXT) | instid1(VALU_DEP_1)
	v_add_nc_u64_e32 v[2:3], s[42:43], v[0:1]
	v_add_nc_u64_e32 v[4:5], s[42:43], v[2:3]
	s_clause 0x3
	global_load_b64 v[6:7], v[18:19], off
	global_load_b64 v[0:1], v[0:1], off
	;; [unrolled: 1-line block ×4, first 2 shown]
	s_wait_loadcnt 0x3
	ds_store_b64 v102, v[6:7]
	s_wait_loadcnt 0x2
	ds_store_b64 v102, v[0:1] offset:2112
	s_wait_loadcnt 0x1
	ds_store_b64 v102, v[2:3] offset:4224
	;; [unrolled: 2-line block ×3, first 2 shown]
.LBB118_53:                             ;   in Loop: Header=BB118_4 Depth=1
	s_and_not1_b32 vcc_lo, exec_lo, s19
	s_cbranch_vccnz .LBB118_63
; %bb.54:                               ;   in Loop: Header=BB118_4 Depth=1
	s_wait_xcnt 0x2
	v_lshl_add_u64 v[0:1], v[36:37], 3, v[18:19]
	s_wait_xcnt 0x0
	v_dual_mov_b32 v4, 0 :: v_dual_mov_b32 v2, 0
	v_mov_b32_e32 v3, 0
	s_delay_alu instid0(VALU_DEP_3) | instskip(NEXT) | instid1(VALU_DEP_1)
	v_lshl_add_u64 v[0:1], s[40:41], 3, v[0:1]
	v_add_nc_u64_e32 v[0:1], s[88:89], v[0:1]
	s_delay_alu instid0(VALU_DEP_1)
	v_dual_cndmask_b32 v1, v1, v19, s12 :: v_dual_cndmask_b32 v0, v0, v18, s12
	s_and_saveexec_b32 s19, s2
	s_cbranch_execz .LBB118_56
; %bb.55:                               ;   in Loop: Header=BB118_4 Depth=1
	global_load_b64 v[2:3], v[0:1], off
.LBB118_56:                             ;   in Loop: Header=BB118_4 Depth=1
	s_wait_xcnt 0x0
	s_or_b32 exec_lo, exec_lo, s19
	v_mov_b32_e32 v5, 0
	s_wait_loadcnt 0x0
	ds_store_b64 v102, v[2:3]
	s_and_saveexec_b32 s19, s3
	s_cbranch_execz .LBB118_58
; %bb.57:                               ;   in Loop: Header=BB118_4 Depth=1
	v_add_nc_u64_e32 v[2:3], s[42:43], v[0:1]
	global_load_b64 v[4:5], v[2:3], off
.LBB118_58:                             ;   in Loop: Header=BB118_4 Depth=1
	s_wait_xcnt 0x0
	s_or_b32 exec_lo, exec_lo, s19
	v_dual_mov_b32 v2, 0 :: v_dual_mov_b32 v6, 0
	v_mov_b32_e32 v7, 0
	s_wait_loadcnt 0x0
	ds_store_b64 v102, v[4:5] offset:2112
	s_and_saveexec_b32 s19, s5
	s_cbranch_execz .LBB118_60
; %bb.59:                               ;   in Loop: Header=BB118_4 Depth=1
	v_add_nc_u64_e32 v[4:5], s[48:49], v[0:1]
	global_load_b64 v[6:7], v[4:5], off
.LBB118_60:                             ;   in Loop: Header=BB118_4 Depth=1
	s_wait_xcnt 0x0
	s_or_b32 exec_lo, exec_lo, s19
	v_mov_b32_e32 v3, 0
	s_wait_loadcnt 0x0
	ds_store_b64 v102, v[6:7] offset:4224
	s_and_saveexec_b32 s19, s6
	s_cbranch_execz .LBB118_62
; %bb.61:                               ;   in Loop: Header=BB118_4 Depth=1
	v_add_nc_u64_e32 v[2:3], s[34:35], v[0:1]
	global_load_b64 v[2:3], v[2:3], off
.LBB118_62:                             ;   in Loop: Header=BB118_4 Depth=1
	s_wait_xcnt 0x0
	s_or_b32 exec_lo, exec_lo, s19
	v_add_nc_u64_e32 v[0:1], v[0:1], v[34:35]
	s_wait_loadcnt 0x0
	ds_store_b64 v102, v[2:3] offset:6336
	v_lshl_add_u64 v[0:1], s[62:63], 3, v[0:1]
	s_delay_alu instid0(VALU_DEP_1) | instskip(NEXT) | instid1(VALU_DEP_1)
	v_add_nc_u64_e32 v[0:1], 0x108, v[0:1]
	v_dual_cndmask_b32 v19, v1, v19, s12 :: v_dual_cndmask_b32 v18, v0, v18, s12
.LBB118_63:                             ;   in Loop: Header=BB118_4 Depth=1
	s_wait_dscnt 0x0
	s_barrier_signal -1
	s_barrier_wait -1
	ds_load_b64 v[8:9], v102
	ds_load_b64 v[10:11], v105
	ds_load_2addr_b64 v[20:23], v101 offset0:8 offset1:16
	ds_load_b64 v[12:13], v102 offset:2112
	ds_load_b64 v[24:25], v102 offset:4224
	;; [unrolled: 1-line block ×4, first 2 shown]
	s_wait_xcnt 0x0
	ds_load_2addr_b64 v[4:7], v93 offset1:1
	ds_load_2addr_b64 v[0:3], v93 offset0:2 offset1:3
	s_wait_dscnt 0x7
	v_pk_mul_f32 v[14:15], v[10:11], v[8:9] op_sel:[1,1] op_sel_hi:[0,1]
	s_wait_dscnt 0x5
	v_pk_mul_f32 v[30:31], v[20:21], v[12:13] op_sel:[1,1] op_sel_hi:[0,1]
	;; [unrolled: 2-line block ×3, first 2 shown]
	v_pk_fma_f32 v[52:53], v[10:11], v[8:9], v[14:15] op_sel_hi:[1,0,1]
	v_pk_fma_f32 v[8:9], v[10:11], v[8:9], v[14:15] neg_lo:[0,0,1] neg_hi:[0,0,1]
	v_pk_fma_f32 v[10:11], v[20:21], v[12:13], v[30:31] op_sel_hi:[1,0,1]
	v_pk_fma_f32 v[20:21], v[20:21], v[12:13], v[30:31] neg_lo:[0,0,1] neg_hi:[0,0,1]
	v_pk_fma_f32 v[30:31], v[22:23], v[24:25], v[54:55] op_sel_hi:[1,0,1]
	v_mov_b32_e32 v9, v53
	s_wait_dscnt 0x2
	v_pk_mul_f32 v[52:53], v[28:29], v[26:27] op_sel:[1,1] op_sel_hi:[0,1]
	v_mov_b32_e32 v21, v11
	v_pk_fma_f32 v[22:23], v[22:23], v[24:25], v[54:55] neg_lo:[0,0,1] neg_hi:[0,0,1]
	v_pk_add_f32 v[56:57], v[8:9], 0 op_sel_hi:[1,0]
	ds_load_b128 v[12:15], v91 offset:256
	ds_load_b128 v[8:11], v91 offset:272
	v_pk_fma_f32 v[24:25], v[28:29], v[26:27], v[52:53] op_sel_hi:[1,0,1]
	v_mov_b32_e32 v23, v31
	v_pk_fma_f32 v[26:27], v[28:29], v[26:27], v[52:53] neg_lo:[0,0,1] neg_hi:[0,0,1]
	v_pk_add_f32 v[20:21], v[56:57], v[20:21]
	s_wait_dscnt 0x0
	v_mov_b32_e32 v27, v25
	s_barrier_signal -1
	s_barrier_wait -1
	v_pk_add_f32 v[20:21], v[20:21], v[22:23]
	s_delay_alu instid0(VALU_DEP_1)
	v_pk_add_f32 v[20:21], v[20:21], v[26:27]
	ds_store_b64 v92, v[20:21]
	s_wait_dscnt 0x0
	s_barrier_signal -1
	s_barrier_wait -1
	s_and_saveexec_b32 s19, s17
	s_cbranch_execz .LBB118_65
; %bb.64:                               ;   in Loop: Header=BB118_4 Depth=1
	ds_load_2addr_b64 v[20:23], v89 offset1:1
	ds_load_2addr_b64 v[24:27], v89 offset0:2 offset1:3
	ds_load_2addr_b64 v[28:31], v89 offset0:4 offset1:5
	s_wait_dscnt 0x2
	v_pk_add_f32 v[20:21], v[50:51], v[20:21]
	s_delay_alu instid0(VALU_DEP_1) | instskip(SKIP_1) | instid1(VALU_DEP_1)
	v_pk_add_f32 v[20:21], v[20:21], v[22:23]
	s_wait_dscnt 0x1
	v_pk_add_f32 v[24:25], v[20:21], v[24:25]
	ds_load_2addr_b64 v[20:23], v89 offset0:6 offset1:7
	v_pk_add_f32 v[24:25], v[24:25], v[26:27]
	s_wait_dscnt 0x1
	s_delay_alu instid0(VALU_DEP_1) | instskip(NEXT) | instid1(VALU_DEP_1)
	v_pk_add_f32 v[24:25], v[24:25], v[28:29]
	v_pk_add_f32 v[24:25], v[24:25], v[30:31]
	s_wait_dscnt 0x0
	s_delay_alu instid0(VALU_DEP_1) | instskip(NEXT) | instid1(VALU_DEP_1)
	v_pk_add_f32 v[20:21], v[24:25], v[20:21]
	v_pk_add_f32 v[50:51], v[20:21], v[22:23]
.LBB118_65:                             ;   in Loop: Header=BB118_4 Depth=1
	s_or_b32 exec_lo, exec_lo, s19
	v_pk_mul_f32 v[20:21], v[12:13], v[4:5] op_sel:[1,1] op_sel_hi:[0,1]
	v_dual_mov_b32 v22, v15 :: v_dual_mov_b32 v23, v14
	v_dual_mov_b32 v24, v7 :: v_dual_mov_b32 v30, v11
	s_delay_alu instid0(VALU_DEP_3) | instskip(SKIP_2) | instid1(VALU_DEP_4)
	v_pk_fma_f32 v[28:29], v[12:13], v[4:5], v[20:21] op_sel_hi:[1,0,1]
	v_pk_fma_f32 v[4:5], v[12:13], v[4:5], v[20:21] neg_lo:[0,0,1] neg_hi:[0,0,1]
	v_pk_mul_f32 v[26:27], v[8:9], v[0:1] op_sel:[1,1] op_sel_hi:[0,1]
	v_pk_mul_f32 v[22:23], v[22:23], v[24:25] op_sel_hi:[1,0]
	s_delay_alu instid0(VALU_DEP_4) | instskip(NEXT) | instid1(VALU_DEP_3)
	v_dual_mov_b32 v31, v10 :: v_dual_mov_b32 v5, v29
	v_pk_fma_f32 v[24:25], v[8:9], v[0:1], v[26:27] op_sel_hi:[1,0,1]
	s_delay_alu instid0(VALU_DEP_3)
	v_pk_fma_f32 v[20:21], v[14:15], v[6:7], v[22:23] op_sel_hi:[1,0,1]
	v_mov_b32_e32 v12, v3
	v_pk_fma_f32 v[6:7], v[14:15], v[6:7], v[22:23] neg_lo:[0,0,1] neg_hi:[0,0,1]
	v_pk_add_f32 v[4:5], v[4:5], 0 op_sel_hi:[1,0]
	v_pk_fma_f32 v[0:1], v[8:9], v[0:1], v[26:27] neg_lo:[0,0,1] neg_hi:[0,0,1]
	v_mov_b32_e32 v7, v21
	v_pk_mul_f32 v[12:13], v[30:31], v[12:13] op_sel_hi:[1,0]
	s_barrier_signal -1
	s_barrier_wait -1
	s_delay_alu instid0(VALU_DEP_2) | instskip(NEXT) | instid1(VALU_DEP_2)
	v_pk_add_f32 v[4:5], v[4:5], v[6:7]
	v_pk_fma_f32 v[8:9], v[10:11], v[2:3], v[12:13] op_sel_hi:[1,0,1]
	v_mov_b32_e32 v1, v25
	v_pk_fma_f32 v[2:3], v[10:11], v[2:3], v[12:13] neg_lo:[0,0,1] neg_hi:[0,0,1]
	s_delay_alu instid0(VALU_DEP_3) | instskip(NEXT) | instid1(VALU_DEP_3)
	v_mov_b32_e32 v3, v9
	v_pk_add_f32 v[0:1], v[4:5], v[0:1]
	s_delay_alu instid0(VALU_DEP_1)
	v_pk_add_f32 v[0:1], v[0:1], v[2:3]
	ds_store_b64 v92, v[0:1]
	s_wait_dscnt 0x0
	s_barrier_signal -1
	s_barrier_wait -1
	s_and_saveexec_b32 s19, s11
	s_cbranch_execz .LBB118_67
; %bb.66:                               ;   in Loop: Header=BB118_4 Depth=1
	ds_load_2addr_b64 v[0:3], v89 offset1:1
	ds_load_2addr_b64 v[4:7], v89 offset0:2 offset1:3
	ds_load_2addr_b64 v[8:11], v89 offset0:4 offset1:5
	s_wait_dscnt 0x2
	v_pk_add_f32 v[0:1], v[50:51], v[0:1]
	s_delay_alu instid0(VALU_DEP_1) | instskip(SKIP_1) | instid1(VALU_DEP_1)
	v_pk_add_f32 v[0:1], v[0:1], v[2:3]
	s_wait_dscnt 0x1
	v_pk_add_f32 v[4:5], v[0:1], v[4:5]
	ds_load_2addr_b64 v[0:3], v89 offset0:6 offset1:7
	v_pk_add_f32 v[4:5], v[4:5], v[6:7]
	s_wait_dscnt 0x1
	s_delay_alu instid0(VALU_DEP_1) | instskip(NEXT) | instid1(VALU_DEP_1)
	v_pk_add_f32 v[4:5], v[4:5], v[8:9]
	v_pk_add_f32 v[4:5], v[4:5], v[10:11]
	s_wait_dscnt 0x0
	s_delay_alu instid0(VALU_DEP_1) | instskip(NEXT) | instid1(VALU_DEP_1)
	v_pk_add_f32 v[0:1], v[4:5], v[0:1]
	v_pk_add_f32 v[50:51], v[0:1], v[2:3]
.LBB118_67:                             ;   in Loop: Header=BB118_4 Depth=1
	s_or_b32 exec_lo, exec_lo, s19
	s_mul_u64 s[96:97], s[52:53], s[22:23]
	s_and_not1_b32 vcc_lo, exec_lo, s100
	s_lshl_b64 s[96:97], s[96:97], 3
	s_delay_alu instid0(SALU_CYCLE_1)
	s_add_nc_u64 s[96:97], s[50:51], s[96:97]
	s_barrier_signal -1
	s_barrier_wait -1
	s_cbranch_vccnz .LBB118_74
; %bb.68:                               ;   in Loop: Header=BB118_4 Depth=1
	v_lshl_add_u64 v[0:1], s[60:61], 3, v[18:19]
	v_dual_mov_b32 v3, v35 :: v_dual_lshlrev_b32 v2, 3, v32
	v_lshl_add_u64 v[52:53], s[58:59], 3, v[16:17]
	s_mov_b32 s20, 0
	s_delay_alu instid0(VALU_DEP_3) | instskip(SKIP_1) | instid1(VALU_DEP_1)
	v_lshl_add_u64 v[0:1], v[44:45], 3, v[0:1]
	s_mov_b32 s19, s98
	v_lshl_add_u64 v[0:1], v[46:47], 3, v[0:1]
	s_delay_alu instid0(VALU_DEP_1) | instskip(SKIP_1) | instid1(VALU_DEP_1)
	v_add_nc_u64_e32 v[2:3], v[0:1], v[2:3]
	v_lshl_add_u64 v[0:1], s[40:41], 3, v[0:1]
	v_add_nc_u64_e32 v[0:1], s[88:89], v[0:1]
	s_delay_alu instid0(VALU_DEP_3) | instskip(NEXT) | instid1(VALU_DEP_1)
	v_add_nc_u64_e32 v[2:3], s[90:91], v[2:3]
	v_dual_cndmask_b32 v55, v3, v1, s4 :: v_dual_cndmask_b32 v54, v2, v0, s4
	s_branch .LBB118_70
.LBB118_69:                             ;   in Loop: Header=BB118_70 Depth=2
	s_wait_xcnt 0x0
	s_or_b32 exec_lo, exec_lo, s23
	v_dual_mul_f32 v107, v5, v61 :: v_dual_mul_f32 v5, v5, v60
	v_dual_mul_f32 v108, v7, v63 :: v_dual_mul_f32 v7, v7, v62
	s_delay_alu instid0(VALU_DEP_2) | instskip(NEXT) | instid1(VALU_DEP_3)
	v_dual_mul_f32 v109, v1, v59 :: v_dual_fma_f32 v60, v4, v60, -v107
	v_dual_mul_f32 v1, v1, v58 :: v_dual_fmac_f32 v5, v4, v61
	s_delay_alu instid0(VALU_DEP_3) | instskip(NEXT) | instid1(VALU_DEP_3)
	v_dual_mul_f32 v4, v3, v57 :: v_dual_fma_f32 v61, v6, v62, -v108
	v_add_f32_e32 v50, v50, v60
	v_dual_fmac_f32 v7, v6, v63 :: v_dual_mul_f32 v3, v3, v56
	s_delay_alu instid0(VALU_DEP_4) | instskip(NEXT) | instid1(VALU_DEP_3)
	v_dual_add_f32 v5, v51, v5 :: v_dual_fma_f32 v6, v0, v58, -v109
	v_dual_add_f32 v50, v50, v61 :: v_dual_fmac_f32 v1, v0, v59
	s_delay_alu instid0(VALU_DEP_2) | instskip(NEXT) | instid1(VALU_DEP_2)
	v_dual_fma_f32 v4, v2, v56, -v4 :: v_dual_add_f32 v0, v5, v7
	v_dual_mul_f32 v5, v9, v73 :: v_dual_add_f32 v6, v50, v6
	v_dual_fmac_f32 v3, v2, v57 :: v_dual_mul_f32 v2, v9, v72
	s_delay_alu instid0(VALU_DEP_3) | instskip(NEXT) | instid1(VALU_DEP_3)
	v_dual_add_f32 v0, v0, v1 :: v_dual_mul_f32 v1, v11, v71
	v_add_f32_e32 v4, v6, v4
	s_delay_alu instid0(VALU_DEP_4) | instskip(NEXT) | instid1(VALU_DEP_3)
	v_dual_fma_f32 v5, v8, v72, -v5 :: v_dual_mul_f32 v6, v11, v70
	v_dual_add_f32 v0, v0, v3 :: v_dual_fma_f32 v1, v10, v70, -v1
	v_fmac_f32_e32 v2, v8, v73
	s_delay_alu instid0(VALU_DEP_3) | instskip(SKIP_2) | instid1(VALU_DEP_3)
	v_dual_add_f32 v3, v4, v5 :: v_dual_fmac_f32 v6, v10, v71
	v_mul_f32_e32 v4, v13, v67
	v_add_nc_u64_e32 v[54:55], s[66:67], v[54:55]
	v_dual_add_f32 v7, v0, v2 :: v_dual_add_f32 v0, v3, v1
	s_delay_alu instid0(VALU_DEP_3) | instskip(SKIP_1) | instid1(VALU_DEP_2)
	v_dual_mul_f32 v3, v13, v66 :: v_dual_fma_f32 v2, v12, v66, -v4
	v_dual_mul_f32 v4, v15, v65 :: v_dual_mul_f32 v5, v15, v64
	v_dual_add_f32 v1, v7, v6 :: v_dual_fmac_f32 v3, v12, v67
	s_delay_alu instid0(VALU_DEP_2) | instskip(NEXT) | instid1(VALU_DEP_3)
	v_dual_mov_b32 v6, v79 :: v_dual_fma_f32 v4, v14, v64, -v4
	v_dual_fmac_f32 v5, v14, v65 :: v_dual_mov_b32 v8, v77
	s_delay_alu instid0(VALU_DEP_3) | instskip(NEXT) | instid1(VALU_DEP_3)
	v_pk_add_f32 v[0:1], v[0:1], v[2:3]
	v_pk_mul_f32 v[2:3], v[16:17], v[6:7] op_sel:[1,0] op_sel_hi:[0,0]
	v_dual_mov_b32 v6, v19 :: v_dual_mov_b32 v7, v18
	v_mov_b32_e32 v13, v30
	s_delay_alu instid0(VALU_DEP_4) | instskip(NEXT) | instid1(VALU_DEP_4)
	v_pk_add_f32 v[0:1], v[0:1], v[4:5]
	v_pk_fma_f32 v[10:11], v[16:17], v[78:79], v[2:3] op_sel_hi:[1,0,1]
	v_pk_fma_f32 v[2:3], v[16:17], v[78:79], v[2:3] neg_lo:[0,0,1] neg_hi:[0,0,1]
	v_pk_mul_f32 v[4:5], v[6:7], v[8:9] op_sel_hi:[1,0]
	v_mov_b32_e32 v6, v75
	s_add_co_i32 s19, s19, -1
	v_mov_b32_e32 v3, v11
	s_add_co_i32 s20, s20, 64
	v_pk_fma_f32 v[8:9], v[18:19], v[76:77], v[4:5] op_sel_hi:[1,0,1]
	v_pk_mul_f32 v[6:7], v[20:21], v[6:7] op_sel:[1,0] op_sel_hi:[0,0]
	v_mov_b32_e32 v8, v23
	v_pk_add_f32 v[0:1], v[0:1], v[2:3]
	v_pk_fma_f32 v[2:3], v[18:19], v[76:77], v[4:5] neg_lo:[0,0,1] neg_hi:[0,0,1]
	v_mov_b32_e32 v3, v9
	v_pk_fma_f32 v[4:5], v[20:21], v[74:75], v[6:7] op_sel_hi:[1,0,1]
	v_dual_mov_b32 v9, v22 :: v_dual_mov_b32 v4, v69
	s_cmp_eq_u32 s19, 0
	s_delay_alu instid0(VALU_DEP_3)
	v_pk_add_f32 v[0:1], v[0:1], v[2:3]
	v_pk_fma_f32 v[2:3], v[20:21], v[74:75], v[6:7] neg_lo:[0,0,1] neg_hi:[0,0,1]
	v_mov_b32_e32 v3, v5
	v_pk_mul_f32 v[4:5], v[8:9], v[4:5] op_sel_hi:[1,0]
	v_dual_mov_b32 v6, v27 :: v_dual_mov_b32 v7, v26
	s_wait_storecnt 0x0
	s_delay_alu instid0(VALU_DEP_3) | instskip(NEXT) | instid1(VALU_DEP_3)
	v_pk_add_f32 v[0:1], v[0:1], v[2:3]
	v_pk_fma_f32 v[2:3], v[22:23], v[68:69], v[4:5] op_sel_hi:[1,0,1]
	v_mov_b32_e32 v2, v87
	v_pk_fma_f32 v[4:5], v[22:23], v[68:69], v[4:5] neg_lo:[0,0,1] neg_hi:[0,0,1]
	v_dual_mov_b32 v8, v81 :: v_dual_mov_b32 v12, v31
	s_delay_alu instid0(VALU_DEP_4) | instskip(NEXT) | instid1(VALU_DEP_4)
	v_mov_b32_e32 v5, v3
	v_pk_mul_f32 v[2:3], v[24:25], v[2:3] op_sel:[1,0] op_sel_hi:[0,0]
	s_barrier_signal -1
	s_delay_alu instid0(VALU_DEP_3)
	v_pk_mul_f32 v[6:7], v[6:7], v[8:9] op_sel_hi:[1,0]
	v_mov_b32_e32 v8, v85
	v_pk_add_f32 v[0:1], v[0:1], v[4:5]
	v_pk_fma_f32 v[4:5], v[24:25], v[86:87], v[2:3] neg_lo:[0,0,1] neg_hi:[0,0,1]
	v_pk_fma_f32 v[2:3], v[24:25], v[86:87], v[2:3] op_sel_hi:[1,0,1]
	v_pk_fma_f32 v[10:11], v[26:27], v[80:81], v[6:7] op_sel_hi:[1,0,1]
	v_pk_mul_f32 v[8:9], v[28:29], v[8:9] op_sel:[1,0] op_sel_hi:[0,0]
	v_mov_b32_e32 v2, v83
	v_pk_fma_f32 v[6:7], v[26:27], v[80:81], v[6:7] neg_lo:[0,0,1] neg_hi:[0,0,1]
	s_delay_alu instid0(VALU_DEP_4) | instskip(NEXT) | instid1(VALU_DEP_4)
	v_dual_mov_b32 v5, v3 :: v_dual_mov_b32 v7, v11
	v_pk_fma_f32 v[10:11], v[28:29], v[84:85], v[8:9] op_sel_hi:[1,0,1]
	s_delay_alu instid0(VALU_DEP_4) | instskip(SKIP_1) | instid1(VALU_DEP_3)
	v_pk_mul_f32 v[2:3], v[12:13], v[2:3] op_sel_hi:[1,0]
	s_barrier_wait -1
	v_pk_add_f32 v[0:1], v[0:1], v[4:5]
	v_pk_fma_f32 v[4:5], v[28:29], v[84:85], v[8:9] neg_lo:[0,0,1] neg_hi:[0,0,1]
	s_delay_alu instid0(VALU_DEP_3) | instskip(SKIP_1) | instid1(VALU_DEP_4)
	v_pk_fma_f32 v[8:9], v[30:31], v[82:83], v[2:3] op_sel_hi:[1,0,1]
	v_mov_b32_e32 v5, v11
	v_pk_add_f32 v[0:1], v[0:1], v[6:7]
	v_pk_fma_f32 v[2:3], v[30:31], v[82:83], v[2:3] neg_lo:[0,0,1] neg_hi:[0,0,1]
	s_delay_alu instid0(VALU_DEP_4) | instskip(NEXT) | instid1(VALU_DEP_3)
	v_mov_b32_e32 v3, v9
	v_pk_add_f32 v[0:1], v[0:1], v[4:5]
	s_delay_alu instid0(VALU_DEP_1)
	v_pk_add_f32 v[50:51], v[0:1], v[2:3]
	s_cbranch_scc1 .LBB118_74
.LBB118_70:                             ;   Parent Loop BB118_4 Depth=1
                                        ; =>  This Inner Loop Header: Depth=2
	s_and_saveexec_b32 s23, s0
	s_cbranch_execz .LBB118_72
; %bb.71:                               ;   in Loop: Header=BB118_70 Depth=2
	s_mul_u64 s[102:103], s[24:25], s[20:21]
	s_delay_alu instid0(SALU_CYCLE_1)
	v_lshl_add_u64 v[0:1], s[102:103], 3, v[52:53]
	global_load_b64 v[0:1], v[0:1], off
	s_wait_loadcnt 0x0
	ds_store_b64 v94, v[0:1]
.LBB118_72:                             ;   in Loop: Header=BB118_70 Depth=2
	s_wait_xcnt 0x0
	s_or_b32 exec_lo, exec_lo, s23
	v_add_nc_u64_e32 v[0:1], s[64:65], v[54:55]
	v_add_nc_u64_e32 v[2:3], s[68:69], v[54:55]
	;; [unrolled: 1-line block ×3, first 2 shown]
	s_wait_dscnt 0x0
	s_barrier_signal -1
	s_barrier_wait -1
	s_clause 0x3
	global_load_b64 v[60:61], v[54:55], off
	global_load_b64 v[62:63], v[0:1], off
	;; [unrolled: 1-line block ×4, first 2 shown]
	ds_load_b64 v[8:9], v88
	s_wait_xcnt 0x0
	ds_load_b128 v[4:7], v95
	v_add_nc_u64_e32 v[12:13], s[48:49], v[54:55]
	v_add_nc_u64_e32 v[20:21], s[72:73], v[54:55]
	;; [unrolled: 1-line block ×3, first 2 shown]
	ds_load_b128 v[0:3], v95 offset:16
	v_add_nc_u64_e32 v[28:29], s[76:77], v[54:55]
	v_add_nc_u64_e32 v[30:31], s[78:79], v[54:55]
	;; [unrolled: 1-line block ×4, first 2 shown]
	s_wait_loadcnt_dscnt 0x202
	v_dual_mul_f32 v14, v9, v63 :: v_dual_mul_f32 v15, v9, v62
	v_dual_mul_f32 v10, v9, v61 :: v_dual_mul_f32 v11, v9, v60
	s_wait_loadcnt 0x1
	v_dual_mul_f32 v16, v9, v59 :: v_dual_mul_f32 v17, v9, v58
	s_wait_loadcnt 0x0
	v_dual_mul_f32 v18, v9, v57 :: v_dual_mul_f32 v19, v8, v57
	v_dual_fma_f32 v10, v8, v60, -v10 :: v_dual_fmac_f32 v11, v8, v61
	v_dual_fma_f32 v14, v8, v62, -v14 :: v_dual_fmac_f32 v15, v8, v63
	;; [unrolled: 1-line block ×3, first 2 shown]
	s_delay_alu instid0(VALU_DEP_4)
	v_dual_fma_f32 v18, v8, v56, -v18 :: v_dual_fmac_f32 v19, v9, v56
	v_add_nc_u64_e32 v[8:9], s[44:45], v[54:55]
	ds_store_2addr_b64 v96, v[10:11], v[14:15] offset1:67
	ds_store_2addr_b64 v96, v[16:17], v[18:19] offset0:134 offset1:201
	s_wait_dscnt 0x0
	s_barrier_signal -1
	s_barrier_wait -1
	ds_load_2addr_b64 v[108:111], v97 offset1:1
	ds_load_2addr_b64 v[112:115], v97 offset0:2 offset1:3
	s_wait_dscnt 0x0
	s_barrier_signal -1
	s_barrier_wait -1
	s_clause 0x3
	global_load_b64 v[72:73], v[12:13], off
	global_load_b64 v[70:71], v[8:9], off
	;; [unrolled: 1-line block ×4, first 2 shown]
	s_wait_xcnt 0x3
	ds_load_b64 v[12:13], v88
	s_wait_xcnt 0x2
	ds_load_b128 v[8:11], v95 offset:128
	v_add_nc_u64_e32 v[16:17], s[94:95], v[54:55]
	v_add_nc_u64_e32 v[18:19], s[92:93], v[54:55]
	v_pk_add_f32 v[108:109], v[108:109], 0 op_sel_hi:[1,0]
	s_delay_alu instid0(VALU_DEP_1) | instskip(NEXT) | instid1(VALU_DEP_1)
	v_pk_add_f32 v[108:109], v[108:109], v[110:111]
	v_pk_add_f32 v[108:109], v[108:109], v[112:113]
	s_delay_alu instid0(VALU_DEP_1)
	v_pk_add_f32 v[108:109], v[108:109], v[114:115]
	s_wait_loadcnt_dscnt 0x301
	s_wait_xcnt 0x1
	v_dual_mul_f32 v14, v13, v73 :: v_dual_mul_f32 v21, v13, v72
	s_wait_loadcnt 0x2
	s_wait_xcnt 0x0
	v_dual_mul_f32 v15, v13, v71 :: v_dual_mul_f32 v23, v13, v70
	s_wait_loadcnt 0x1
	v_dual_mul_f32 v24, v13, v67 :: v_dual_mul_f32 v25, v13, v66
	s_wait_loadcnt 0x0
	v_dual_mul_f32 v26, v13, v65 :: v_dual_mul_f32 v27, v12, v65
	v_dual_fma_f32 v20, v12, v72, -v14 :: v_dual_fmac_f32 v21, v12, v73
	s_delay_alu instid0(VALU_DEP_3) | instskip(SKIP_1) | instid1(VALU_DEP_4)
	v_dual_fma_f32 v22, v12, v70, -v15 :: v_dual_fmac_f32 v25, v12, v67
	v_dual_fmac_f32 v23, v12, v71 :: v_dual_fma_f32 v24, v12, v66, -v24
	v_dual_fma_f32 v26, v12, v64, -v26 :: v_dual_fmac_f32 v27, v13, v64
	ds_load_b128 v[12:15], v95 offset:144
	ds_store_2addr_b64 v96, v[20:21], v[22:23] offset1:67
	ds_store_2addr_b64 v96, v[24:25], v[26:27] offset0:134 offset1:201
	s_wait_dscnt 0x0
	s_barrier_signal -1
	s_barrier_wait -1
	ds_load_2addr_b64 v[116:119], v97 offset1:1
	ds_load_2addr_b64 v[120:123], v97 offset0:2 offset1:3
	s_wait_dscnt 0x0
	s_barrier_signal -1
	s_barrier_wait -1
	s_clause 0x3
	global_load_b64 v[78:79], v[16:17], off
	global_load_b64 v[76:77], v[18:19], off
	;; [unrolled: 1-line block ×4, first 2 shown]
	ds_load_b64 v[20:21], v88
	s_wait_xcnt 0x2
	ds_load_b128 v[16:19], v95 offset:256
	v_add_nc_u64_e32 v[24:25], s[86:87], v[54:55]
	v_add_nc_u64_e32 v[26:27], s[84:85], v[54:55]
	v_pk_add_f32 v[116:117], v[116:117], 0 op_sel_hi:[1,0]
	s_delay_alu instid0(VALU_DEP_1) | instskip(NEXT) | instid1(VALU_DEP_1)
	v_pk_add_f32 v[110:111], v[116:117], v[118:119]
	v_pk_add_f32 v[110:111], v[110:111], v[120:121]
	s_delay_alu instid0(VALU_DEP_1)
	v_pk_add_f32 v[110:111], v[110:111], v[122:123]
	s_wait_loadcnt_dscnt 0x301
	s_wait_xcnt 0x1
	v_dual_mul_f32 v22, v21, v79 :: v_dual_mul_f32 v29, v21, v78
	s_wait_loadcnt 0x2
	s_wait_xcnt 0x0
	v_dual_mul_f32 v23, v21, v77 :: v_dual_mul_f32 v31, v21, v76
	s_wait_loadcnt 0x1
	v_dual_mul_f32 v80, v21, v75 :: v_dual_mul_f32 v81, v21, v74
	s_wait_loadcnt 0x0
	v_dual_mul_f32 v82, v21, v69 :: v_dual_mul_f32 v83, v20, v69
	v_dual_fma_f32 v28, v20, v78, -v22 :: v_dual_fma_f32 v30, v20, v76, -v23
	s_delay_alu instid0(VALU_DEP_3) | instskip(SKIP_1) | instid1(VALU_DEP_4)
	v_dual_fma_f32 v80, v20, v74, -v80 :: v_dual_fmac_f32 v29, v20, v79
	v_dual_fmac_f32 v31, v20, v77 :: v_dual_fmac_f32 v81, v20, v75
	v_dual_fma_f32 v82, v20, v68, -v82 :: v_dual_fmac_f32 v83, v21, v68
	ds_load_b128 v[20:23], v95 offset:272
	ds_store_2addr_b64 v96, v[28:29], v[30:31] offset1:67
	ds_store_2addr_b64 v96, v[80:81], v[82:83] offset0:134 offset1:201
	s_wait_dscnt 0x0
	s_barrier_signal -1
	s_barrier_wait -1
	ds_load_2addr_b64 v[124:127], v97 offset1:1
	ds_load_2addr_b64 v[128:131], v97 offset0:2 offset1:3
	s_wait_dscnt 0x0
	s_barrier_signal -1
	s_barrier_wait -1
	s_clause 0x3
	global_load_b64 v[86:87], v[24:25], off
	global_load_b64 v[80:81], v[26:27], off
	;; [unrolled: 1-line block ×4, first 2 shown]
	ds_load_b64 v[28:29], v88
	s_wait_xcnt 0x2
	ds_load_b128 v[24:27], v95 offset:384
	v_pk_add_f32 v[124:125], v[124:125], 0 op_sel_hi:[1,0]
	s_delay_alu instid0(VALU_DEP_1) | instskip(NEXT) | instid1(VALU_DEP_1)
	v_pk_add_f32 v[116:117], v[124:125], v[126:127]
	v_pk_add_f32 v[112:113], v[116:117], v[128:129]
	s_delay_alu instid0(VALU_DEP_1)
	v_pk_add_f32 v[112:113], v[112:113], v[130:131]
	s_wait_loadcnt_dscnt 0x301
	s_wait_xcnt 0x0
	v_dual_mul_f32 v30, v29, v87 :: v_dual_mul_f32 v133, v29, v86
	s_wait_loadcnt 0x2
	v_dual_mul_f32 v31, v29, v81 :: v_dual_mul_f32 v135, v29, v80
	s_wait_loadcnt 0x1
	v_dual_mul_f32 v107, v29, v85 :: v_dual_mul_f32 v137, v29, v84
	s_wait_loadcnt 0x0
	v_dual_mul_f32 v138, v29, v83 :: v_dual_mul_f32 v139, v28, v83
	v_dual_fma_f32 v132, v28, v86, -v30 :: v_dual_fma_f32 v134, v28, v80, -v31
	v_dual_fmac_f32 v133, v28, v87 :: v_dual_fmac_f32 v135, v28, v81
	s_delay_alu instid0(VALU_DEP_3) | instskip(NEXT) | instid1(VALU_DEP_4)
	v_dual_fma_f32 v136, v28, v84, -v107 :: v_dual_fma_f32 v138, v28, v82, -v138
	v_dual_fmac_f32 v137, v28, v85 :: v_dual_fmac_f32 v139, v29, v82
	ds_load_b128 v[28:31], v95 offset:400
	ds_store_2addr_b64 v96, v[132:133], v[134:135] offset1:67
	ds_store_2addr_b64 v96, v[136:137], v[138:139] offset0:134 offset1:201
	s_wait_dscnt 0x0
	s_barrier_signal -1
	s_barrier_wait -1
	ds_load_2addr_b64 v[132:135], v97 offset1:1
	ds_load_2addr_b64 v[136:139], v97 offset0:2 offset1:3
	s_wait_dscnt 0x0
	s_barrier_signal -1
	s_barrier_wait -1
	v_pk_add_f32 v[132:133], v[132:133], 0 op_sel_hi:[1,0]
	s_delay_alu instid0(VALU_DEP_1) | instskip(NEXT) | instid1(VALU_DEP_1)
	v_pk_add_f32 v[118:119], v[132:133], v[134:135]
	v_pk_add_f32 v[116:117], v[118:119], v[136:137]
	s_delay_alu instid0(VALU_DEP_1)
	v_pk_add_f32 v[114:115], v[116:117], v[138:139]
	ds_store_2addr_b64 v106, v[108:109], v[110:111] offset1:16
	ds_store_2addr_b64 v106, v[112:113], v[114:115] offset0:32 offset1:48
	s_wait_dscnt 0x0
	s_barrier_signal -1
	s_barrier_wait -1
	s_and_saveexec_b32 s23, s18
	s_cbranch_execz .LBB118_69
; %bb.73:                               ;   in Loop: Header=BB118_70 Depth=2
	ds_load_b64 v[120:121], v98
	ds_load_2addr_b64 v[108:111], v98 offset0:1 offset1:2
	ds_load_2addr_b64 v[112:115], v98 offset0:3 offset1:4
	;; [unrolled: 1-line block ×3, first 2 shown]
	s_wait_dscnt 0x2
	v_dual_add_f32 v107, v108, v120 :: v_dual_add_f32 v108, v109, v121
	s_delay_alu instid0(VALU_DEP_1) | instskip(SKIP_3) | instid1(VALU_DEP_1)
	v_dual_add_f32 v107, v110, v107 :: v_dual_add_f32 v120, v111, v108
	ds_load_2addr_b64 v[108:111], v98 offset0:7 offset1:8
	s_wait_dscnt 0x2
	v_dual_add_f32 v107, v107, v112 :: v_dual_add_f32 v112, v120, v113
	v_dual_add_f32 v120, v107, v114 :: v_dual_add_f32 v121, v112, v115
	ds_load_2addr_b64 v[112:115], v98 offset0:9 offset1:10
	v_add_nc_u32_e32 v107, s20, v32
	s_wait_dscnt 0x2
	v_pk_add_f32 v[116:117], v[120:121], v[116:117]
	s_delay_alu instid0(VALU_DEP_1) | instskip(SKIP_3) | instid1(VALU_DEP_1)
	v_pk_add_f32 v[120:121], v[116:117], v[118:119]
	ds_load_2addr_b64 v[116:119], v98 offset0:11 offset1:12
	s_wait_dscnt 0x2
	v_pk_add_f32 v[108:109], v[120:121], v[108:109]
	v_pk_add_f32 v[108:109], v[108:109], v[110:111]
	s_wait_dscnt 0x1
	s_delay_alu instid0(VALU_DEP_1)
	v_pk_add_f32 v[112:113], v[108:109], v[112:113]
	ds_load_2addr_b64 v[108:111], v98 offset0:13 offset1:14
	v_pk_add_f32 v[112:113], v[112:113], v[114:115]
	ds_load_b64 v[114:115], v99
	s_wait_dscnt 0x2
	v_pk_add_f32 v[112:113], v[112:113], v[116:117]
	s_delay_alu instid0(VALU_DEP_1) | instskip(SKIP_1) | instid1(VALU_DEP_1)
	v_pk_add_f32 v[112:113], v[112:113], v[118:119]
	s_wait_dscnt 0x1
	v_pk_add_f32 v[108:109], v[112:113], v[108:109]
	s_delay_alu instid0(VALU_DEP_1) | instskip(SKIP_1) | instid1(VALU_DEP_1)
	v_pk_add_f32 v[108:109], v[108:109], v[110:111]
	s_wait_dscnt 0x0
	v_pk_add_f32 v[108:109], v[108:109], v[114:115]
	global_store_b64 v107, v[108:109], s[96:97] scale_offset
	s_branch .LBB118_69
.LBB118_74:                             ;   in Loop: Header=BB118_4 Depth=1
	ds_store_b64 v100, v[50:51]
	s_wait_dscnt 0x0
	s_barrier_signal -1
	s_barrier_wait -1
	s_and_saveexec_b32 s19, s101
	s_cbranch_execz .LBB118_2
; %bb.75:                               ;   in Loop: Header=BB118_4 Depth=1
	ds_load_2addr_b64 v[0:3], v33 offset1:67
	ds_load_2addr_b64 v[4:7], v33 offset0:134 offset1:201
	s_wait_dscnt 0x1
	v_pk_add_f32 v[0:1], v[2:3], v[0:1]
	v_lshl_add_u64 v[2:3], v[38:39], 3, s[96:97]
	s_wait_dscnt 0x0
	s_delay_alu instid0(VALU_DEP_2) | instskip(NEXT) | instid1(VALU_DEP_1)
	v_pk_add_f32 v[0:1], v[4:5], v[0:1]
	v_pk_add_f32 v[0:1], v[0:1], v[6:7]
	global_store_b64 v[2:3], v[0:1], off
	s_branch .LBB118_2
.LBB118_76:                             ;   in Loop: Header=BB118_4 Depth=1
	ds_load_b64 v[2:3], v103
	s_wait_dscnt 0x0
	ds_store_b64 v90, v[2:3]
	s_or_b32 exec_lo, exec_lo, s19
	s_and_saveexec_b32 s19, s8
	s_cbranch_execz .LBB118_27
.LBB118_77:                             ;   in Loop: Header=BB118_4 Depth=1
	ds_load_b64 v[2:3], v104
	s_wait_dscnt 0x0
	ds_store_b64 v90, v[2:3] offset:8
	s_or_b32 exec_lo, exec_lo, s19
	s_and_saveexec_b32 s19, s9
	s_cbranch_execz .LBB118_28
.LBB118_78:                             ;   in Loop: Header=BB118_4 Depth=1
	ds_load_b64 v[2:3], v104 offset:264
	s_wait_dscnt 0x0
	ds_store_b64 v90, v[2:3] offset:16
	s_or_b32 exec_lo, exec_lo, s19
	s_and_saveexec_b32 s19, s10
	s_cbranch_execnz .LBB118_29
	s_branch .LBB118_30
.LBB118_79:                             ;   in Loop: Header=BB118_4 Depth=1
	ds_load_b64 v[2:3], v103
	s_wait_dscnt 0x0
	ds_store_b64 v90, v[2:3]
	s_or_b32 exec_lo, exec_lo, s19
	s_and_saveexec_b32 s19, s8
	s_cbranch_execz .LBB118_46
.LBB118_80:                             ;   in Loop: Header=BB118_4 Depth=1
	ds_load_b64 v[2:3], v104
	s_wait_dscnt 0x0
	ds_store_b64 v90, v[2:3] offset:8
	s_or_b32 exec_lo, exec_lo, s19
	s_and_saveexec_b32 s19, s9
	s_cbranch_execz .LBB118_47
.LBB118_81:                             ;   in Loop: Header=BB118_4 Depth=1
	ds_load_b64 v[2:3], v104 offset:264
	s_wait_dscnt 0x0
	ds_store_b64 v90, v[2:3] offset:16
	s_or_b32 exec_lo, exec_lo, s19
	s_and_saveexec_b32 s19, s10
	s_cbranch_execnz .LBB118_48
	s_branch .LBB118_49
.LBB118_82:
	s_sendmsg sendmsg(MSG_DEALLOC_VGPRS)
	s_endpgm
	.section	.rodata,"a",@progbits
	.p2align	6, 0x0
	.amdhsa_kernel _ZL26rocblas_hemvn_kernel_lowerILb0ELi64ELi4ELi33ELi32ELi16ElPK19rocblas_complex_numIfES3_PS1_EviT6_lT7_lT5_lS6_lS7_lS5_lT8_i
		.amdhsa_group_segment_fixed_size 9600
		.amdhsa_private_segment_fixed_size 0
		.amdhsa_kernarg_size 376
		.amdhsa_user_sgpr_count 2
		.amdhsa_user_sgpr_dispatch_ptr 0
		.amdhsa_user_sgpr_queue_ptr 0
		.amdhsa_user_sgpr_kernarg_segment_ptr 1
		.amdhsa_user_sgpr_dispatch_id 0
		.amdhsa_user_sgpr_kernarg_preload_length 0
		.amdhsa_user_sgpr_kernarg_preload_offset 0
		.amdhsa_user_sgpr_private_segment_size 0
		.amdhsa_wavefront_size32 1
		.amdhsa_uses_dynamic_stack 0
		.amdhsa_enable_private_segment 0
		.amdhsa_system_sgpr_workgroup_id_x 1
		.amdhsa_system_sgpr_workgroup_id_y 0
		.amdhsa_system_sgpr_workgroup_id_z 1
		.amdhsa_system_sgpr_workgroup_info 0
		.amdhsa_system_vgpr_workitem_id 1
		.amdhsa_next_free_vgpr 140
		.amdhsa_next_free_sgpr 104
		.amdhsa_named_barrier_count 0
		.amdhsa_reserve_vcc 1
		.amdhsa_float_round_mode_32 0
		.amdhsa_float_round_mode_16_64 0
		.amdhsa_float_denorm_mode_32 3
		.amdhsa_float_denorm_mode_16_64 3
		.amdhsa_fp16_overflow 0
		.amdhsa_memory_ordered 1
		.amdhsa_forward_progress 1
		.amdhsa_inst_pref_size 57
		.amdhsa_round_robin_scheduling 0
		.amdhsa_exception_fp_ieee_invalid_op 0
		.amdhsa_exception_fp_denorm_src 0
		.amdhsa_exception_fp_ieee_div_zero 0
		.amdhsa_exception_fp_ieee_overflow 0
		.amdhsa_exception_fp_ieee_underflow 0
		.amdhsa_exception_fp_ieee_inexact 0
		.amdhsa_exception_int_div_zero 0
	.end_amdhsa_kernel
	.section	.text._ZL26rocblas_hemvn_kernel_lowerILb0ELi64ELi4ELi33ELi32ELi16ElPK19rocblas_complex_numIfES3_PS1_EviT6_lT7_lT5_lS6_lS7_lS5_lT8_i,"axG",@progbits,_ZL26rocblas_hemvn_kernel_lowerILb0ELi64ELi4ELi33ELi32ELi16ElPK19rocblas_complex_numIfES3_PS1_EviT6_lT7_lT5_lS6_lS7_lS5_lT8_i,comdat
.Lfunc_end118:
	.size	_ZL26rocblas_hemvn_kernel_lowerILb0ELi64ELi4ELi33ELi32ELi16ElPK19rocblas_complex_numIfES3_PS1_EviT6_lT7_lT5_lS6_lS7_lS5_lT8_i, .Lfunc_end118-_ZL26rocblas_hemvn_kernel_lowerILb0ELi64ELi4ELi33ELi32ELi16ElPK19rocblas_complex_numIfES3_PS1_EviT6_lT7_lT5_lS6_lS7_lS5_lT8_i
                                        ; -- End function
	.set _ZL26rocblas_hemvn_kernel_lowerILb0ELi64ELi4ELi33ELi32ELi16ElPK19rocblas_complex_numIfES3_PS1_EviT6_lT7_lT5_lS6_lS7_lS5_lT8_i.num_vgpr, 140
	.set _ZL26rocblas_hemvn_kernel_lowerILb0ELi64ELi4ELi33ELi32ELi16ElPK19rocblas_complex_numIfES3_PS1_EviT6_lT7_lT5_lS6_lS7_lS5_lT8_i.num_agpr, 0
	.set _ZL26rocblas_hemvn_kernel_lowerILb0ELi64ELi4ELi33ELi32ELi16ElPK19rocblas_complex_numIfES3_PS1_EviT6_lT7_lT5_lS6_lS7_lS5_lT8_i.numbered_sgpr, 104
	.set _ZL26rocblas_hemvn_kernel_lowerILb0ELi64ELi4ELi33ELi32ELi16ElPK19rocblas_complex_numIfES3_PS1_EviT6_lT7_lT5_lS6_lS7_lS5_lT8_i.num_named_barrier, 0
	.set _ZL26rocblas_hemvn_kernel_lowerILb0ELi64ELi4ELi33ELi32ELi16ElPK19rocblas_complex_numIfES3_PS1_EviT6_lT7_lT5_lS6_lS7_lS5_lT8_i.private_seg_size, 0
	.set _ZL26rocblas_hemvn_kernel_lowerILb0ELi64ELi4ELi33ELi32ELi16ElPK19rocblas_complex_numIfES3_PS1_EviT6_lT7_lT5_lS6_lS7_lS5_lT8_i.uses_vcc, 1
	.set _ZL26rocblas_hemvn_kernel_lowerILb0ELi64ELi4ELi33ELi32ELi16ElPK19rocblas_complex_numIfES3_PS1_EviT6_lT7_lT5_lS6_lS7_lS5_lT8_i.uses_flat_scratch, 0
	.set _ZL26rocblas_hemvn_kernel_lowerILb0ELi64ELi4ELi33ELi32ELi16ElPK19rocblas_complex_numIfES3_PS1_EviT6_lT7_lT5_lS6_lS7_lS5_lT8_i.has_dyn_sized_stack, 0
	.set _ZL26rocblas_hemvn_kernel_lowerILb0ELi64ELi4ELi33ELi32ELi16ElPK19rocblas_complex_numIfES3_PS1_EviT6_lT7_lT5_lS6_lS7_lS5_lT8_i.has_recursion, 0
	.set _ZL26rocblas_hemvn_kernel_lowerILb0ELi64ELi4ELi33ELi32ELi16ElPK19rocblas_complex_numIfES3_PS1_EviT6_lT7_lT5_lS6_lS7_lS5_lT8_i.has_indirect_call, 0
	.section	.AMDGPU.csdata,"",@progbits
; Kernel info:
; codeLenInByte = 7200
; TotalNumSgprs: 106
; NumVgprs: 140
; ScratchSize: 0
; MemoryBound: 1
; FloatMode: 240
; IeeeMode: 1
; LDSByteSize: 9600 bytes/workgroup (compile time only)
; SGPRBlocks: 0
; VGPRBlocks: 8
; NumSGPRsForWavesPerEU: 106
; NumVGPRsForWavesPerEU: 140
; NamedBarCnt: 0
; Occupancy: 7
; WaveLimiterHint : 0
; COMPUTE_PGM_RSRC2:SCRATCH_EN: 0
; COMPUTE_PGM_RSRC2:USER_SGPR: 2
; COMPUTE_PGM_RSRC2:TRAP_HANDLER: 0
; COMPUTE_PGM_RSRC2:TGID_X_EN: 1
; COMPUTE_PGM_RSRC2:TGID_Y_EN: 0
; COMPUTE_PGM_RSRC2:TGID_Z_EN: 1
; COMPUTE_PGM_RSRC2:TIDIG_COMP_CNT: 1
	.section	.text._ZL26rocblas_hemvn_kernel_lowerILb0ELi64ELi4ELi33ELi32ELi16EiPK19rocblas_complex_numIfES3_PS1_EviT6_lT7_lT5_lS6_lS7_lS5_lT8_i,"axG",@progbits,_ZL26rocblas_hemvn_kernel_lowerILb0ELi64ELi4ELi33ELi32ELi16EiPK19rocblas_complex_numIfES3_PS1_EviT6_lT7_lT5_lS6_lS7_lS5_lT8_i,comdat
	.globl	_ZL26rocblas_hemvn_kernel_lowerILb0ELi64ELi4ELi33ELi32ELi16EiPK19rocblas_complex_numIfES3_PS1_EviT6_lT7_lT5_lS6_lS7_lS5_lT8_i ; -- Begin function _ZL26rocblas_hemvn_kernel_lowerILb0ELi64ELi4ELi33ELi32ELi16EiPK19rocblas_complex_numIfES3_PS1_EviT6_lT7_lT5_lS6_lS7_lS5_lT8_i
	.p2align	8
	.type	_ZL26rocblas_hemvn_kernel_lowerILb0ELi64ELi4ELi33ELi32ELi16EiPK19rocblas_complex_numIfES3_PS1_EviT6_lT7_lT5_lS6_lS7_lS5_lT8_i,@function
_ZL26rocblas_hemvn_kernel_lowerILb0ELi64ELi4ELi33ELi32ELi16EiPK19rocblas_complex_numIfES3_PS1_EviT6_lT7_lT5_lS6_lS7_lS5_lT8_i: ; @_ZL26rocblas_hemvn_kernel_lowerILb0ELi64ELi4ELi33ELi32ELi16EiPK19rocblas_complex_numIfES3_PS1_EviT6_lT7_lT5_lS6_lS7_lS5_lT8_i
; %bb.0:
	s_clause 0x1
	s_load_b64 s[2:3], s[0:1], 0x84
	s_load_b32 s33, s[0:1], 0x70
	s_bfe_u32 s4, ttmp6, 0x40014
	s_lshr_b32 s5, ttmp7, 16
	s_add_co_i32 s4, s4, 1
	s_bfe_u32 s6, ttmp6, 0x40008
	s_mul_i32 s7, s5, s4
	s_getreg_b32 s4, hwreg(HW_REG_IB_STS2, 6, 4)
	s_add_co_i32 s6, s6, s7
	s_mov_b32 s23, 0
	s_wait_kmcnt 0x0
	s_lshr_b32 s7, s2, 16
	s_and_b32 s2, s2, 0xffff
	s_and_b32 s3, s3, 0xffff
	s_mul_i32 s2, s7, s2
	s_cmp_eq_u32 s4, 0
	s_mul_i32 s2, s2, s3
	s_cselect_b32 s22, s5, s6
	s_cmp_lg_u32 s2, 0x100
	s_cselect_b32 s2, -1, 0
	s_cmp_ge_u32 s22, s33
	s_cselect_b32 s3, -1, 0
	s_delay_alu instid0(SALU_CYCLE_1) | instskip(NEXT) | instid1(SALU_CYCLE_1)
	s_or_b32 s2, s2, s3
	s_and_b32 vcc_lo, exec_lo, s2
	s_cbranch_vccnz .LBB119_82
; %bb.1:
	s_clause 0x5
	s_load_b32 s2, s[0:1], 0x0
	s_load_b32 s20, s[0:1], 0x28
	s_load_b256 s[24:31], s[0:1], 0x8
	s_load_b128 s[44:47], s[0:1], 0x30
	s_load_b96 s[16:18], s[0:1], 0x40
	s_load_b256 s[36:43], s[0:1], 0x50
	s_add_nc_u64 s[6:7], s[0:1], 0x78
	s_wait_xcnt 0x0
	s_bfe_u32 s0, ttmp6, 0x4000c
	s_load_b32 s8, s[6:7], 0x0
	s_add_co_i32 s0, s0, 1
	s_and_b32 s1, ttmp6, 15
	s_mul_i32 s3, ttmp9, s0
	v_and_b32_e32 v32, 0x3ff, v0
	s_add_co_i32 s1, s1, s3
	v_bfe_u32 v1, v0, 10, 10
	s_mov_b32 s9, s23
	v_mov_b64_e32 v[50:51], 0
	s_mov_b64 s[90:91], 0xfffffffffffffef8
	s_mov_b64 s[92:93], 0xffffffffffffff00
	v_lshl_add_u32 v6, v1, 6, v32
	v_and_b32_e32 v34, 31, v0
	v_cmp_eq_u32_e64 s0, 0, v1
	v_mov_b32_e32 v35, 0
	s_wait_kmcnt 0x0
	s_ashr_i32 s3, s2, 31
	s_ashr_i32 s21, s20, 31
	s_cmp_eq_u32 s4, 0
	v_lshrrev_b32_e32 v7, 5, v6
	s_cselect_b32 s100, ttmp9, s1
	s_lshr_b32 s1, s3, 26
	s_lshl_b32 s52, s100, 6
	s_delay_alu instid0(SALU_CYCLE_1)
	v_dual_lshlrev_b32 v90, 3, v32 :: v_dual_add_nc_u32 v36, s52, v32
	s_add_co_i32 s1, s2, s1
	s_add_co_i32 s10, s8, -1
	s_and_not1_b32 s1, s1, 63
	v_mad_u32 v4, s20, v7, v34
	v_mul_lo_u32 v2, s18, v36
	s_lshl_b64 s[4:5], s[16:17], 3
	s_lshl_b64 s[6:7], s[30:31], 3
	s_sub_co_i32 s1, s2, s1
	s_cmp_eq_u32 s100, s10
	v_dual_lshlrev_b32 v10, 2, v7 :: v_dual_add_nc_u32 v11, 24, v7
	s_cselect_b32 s30, s1, 0
	s_add_nc_u64 s[4:5], s[46:47], s[4:5]
	s_cmp_eq_u32 s30, 0
	s_delay_alu instid0(VALU_DEP_2)
	v_dual_ashrrev_i32 v5, 31, v4 :: v_dual_ashrrev_i32 v3, 31, v2
	s_cselect_b32 s101, -1, 0
	s_cmp_lg_u32 s30, 0
	v_dual_add_nc_u32 v8, 8, v7 :: v_dual_add_nc_u32 v9, 16, v7
	s_cselect_b32 s1, -1, 0
	s_ashr_i32 s53, s52, 31
	s_add_nc_u64 s[6:7], s[28:29], s[6:7]
	v_lshl_add_u64 v[38:39], v[2:3], 3, s[4:5]
	s_lshl_b64 s[4:5], s[52:53], 3
	v_dual_lshlrev_b32 v17, 3, v7 :: v_dual_bitop2_b32 v15, 2, v10 bitop3:0x54
	v_mul_u32_u24_e32 v16, 33, v34
	s_add_nc_u64 s[4:5], s[6:7], s[4:5]
	s_sub_co_i32 s16, s30, 32
	s_mul_u64 s[28:29], s[8:9], s[2:3]
	s_mul_i32 s2, s2, s100
	v_lshl_add_u64 v[2:3], v[4:5], 3, s[4:5]
	v_cmp_gt_i32_e64 s4, s30, v8
	v_cmp_gt_i32_e64 s14, s16, v8
	v_mul_lo_u32 v8, v1, s20
	v_lshl_add_u32 v95, v16, 3, v17
	s_ashr_i32 s3, s2, 31
	s_mul_i32 s54, s20, s52
	s_lshl_b64 s[2:3], s[2:3], 3
	s_ashr_i32 s55, s54, 31
	s_add_nc_u64 s[34:35], s[42:43], s[2:3]
	v_lshl_add_u64 v[40:41], s[54:55], 3, v[2:3]
	v_lshlrev_b32_e32 v2, 3, v34
	v_mul_u32_u24_e32 v3, 0x108, v7
	v_cmp_gt_i32_e64 s3, s30, v7
	v_cmp_gt_i32_e64 s5, s30, v9
	v_mul_u32_u24_e32 v14, 0x420, v7
	v_cmp_gt_i32_e64 s13, s16, v7
	v_cmp_gt_i32_e64 s15, s16, v9
	v_cmp_eq_u32_e64 s17, 1, v7
	v_mul_i32_i24_e32 v9, 0xffffffe8, v7
	v_mad_u32_u24 v96, v7, 24, v95
	v_lshrrev_b32_e32 v7, 4, v6
	v_cmp_le_i32_e32 vcc_lo, s30, v32
	v_lshl_or_b32 v92, v34, 8, v2
	v_and_b32_e32 v12, 0x7fe0, v6
	v_or_b32_e32 v13, 1, v10
	v_cmp_lt_u32_e64 s7, v10, v34
	v_dual_mov_b32 v33, v35 :: v_dual_bitop2_b32 v10, 3, v10 bitop3:0x54
	v_lshl_add_u32 v44, v8, 2, v32
	v_and_b32_e32 v8, 15, v0
	v_sub_nc_u64_e32 v[46:47], 0, v[4:5]
	v_dual_lshlrev_b32 v4, 5, v7 :: v_dual_bitop2_b32 v0, 48, v0 bitop3:0x40
	s_and_b32 s1, s1, vcc_lo
	s_lshl_b32 s42, s20, 3
	s_lshl_b32 s46, s20, 4
	s_mul_i32 s48, s20, 24
	v_add_nc_u32_e32 v93, v92, v12
	v_cmp_lt_u32_e64 s8, v13, v34
	v_mul_u32_u24_e32 v13, 0x108, v13
	v_cmp_lt_u32_e64 s10, v10, v34
	v_add_nc_u32_e32 v94, 0x2380, v12
	v_dual_ashrrev_i32 v45, 31, v44 :: v_dual_bitop2_b32 v10, 32, v34 bitop3:0x54
	s_lshl_b32 s50, s20, 5
	s_mul_i32 s52, s18, s52
	v_dual_lshlrev_b32 v0, 3, v0 :: v_dual_add_nc_u32 v103, v2, v3
	v_or_b32_e32 v5, 0x78, v90
	v_mad_u32_u24 v98, 0x218, v8, v4
	v_mul_i32_i24_e32 v4, 0xffffffe8, v7
	s_ashr_i32 s43, s42, 31
	s_ashr_i32 s47, s46, 31
	;; [unrolled: 1-line block ×5, first 2 shown]
	s_xor_b32 s19, s1, -1
	s_ashr_i32 s53, s52, 31
	v_sub_nc_u64_e32 v[42:43], 0, v[34:35]
	s_cmp_gt_i32 s100, 0
	v_sub_nc_u64_e32 v[48:49], 0, v[32:33]
	v_add_nc_u32_e32 v91, 0x2380, v90
	v_cmp_gt_i32_e64 s2, s30, v34
	v_cmp_gt_i32_e64 s6, s30, v11
	v_cmp_lt_u32_e64 s9, v15, v34
	v_cmp_gt_u32_e64 s11, 32, v6
	v_cmp_gt_i32_e64 s12, s30, v10
	v_cmp_gt_i32_e64 s16, s16, v11
	s_cselect_b32 s102, -1, 0
	s_lshl_b32 s103, s18, 6
	v_lshl_add_u32 v33, v1, 5, 0x2180
	v_mad_u32_u24 v97, 0x860, v1, v90
	v_mad_u32_u24 v99, 0x218, v8, v0
	;; [unrolled: 1-line block ×4, first 2 shown]
	v_dual_ashrrev_i32 v37, 31, v36 :: v_dual_add_nc_u32 v104, v2, v14
	v_add_nc_u32_e32 v102, 0x2380, v17
	v_dual_add_nc_u32 v105, v2, v13 :: v_dual_lshlrev_b32 v34, 3, v34
	v_add_nc_u32_e32 v106, v94, v9
	v_add_nc_u32_e32 v107, v98, v4
	v_cmp_gt_u32_e64 s18, 64, v6
	s_sub_nc_u64 s[52:53], 0, s[52:53]
	s_sub_nc_u64 s[54:55], 0, s[54:55]
	s_and_b32 s104, s0, s19
	s_lshl_b64 s[56:57], s[20:21], 6
	s_lshl_b64 s[58:59], s[20:21], 3
	;; [unrolled: 1-line block ×4, first 2 shown]
	s_mul_u64 s[64:65], s[20:21], 24
	s_mul_u64 s[66:67], s[20:21], 0x90
	;; [unrolled: 1-line block ×10, first 2 shown]
	s_lshl_b64 s[84:85], s[20:21], 8
	s_mul_u64 s[86:87], s[20:21], 0x88
	s_lshl_b64 s[88:89], s[20:21], 7
	s_sub_nc_u64 s[94:95], 0, s[50:51]
	s_sub_nc_u64 s[96:97], 0, s[30:31]
	s_branch .LBB119_4
.LBB119_2:                              ;   in Loop: Header=BB119_4 Depth=1
	s_wait_xcnt 0x0
	s_or_b32 exec_lo, exec_lo, s19
.LBB119_3:                              ;   in Loop: Header=BB119_4 Depth=1
	s_add_co_i32 s22, s22, 0x10000
	s_delay_alu instid0(SALU_CYCLE_1)
	s_cmp_lt_u32 s22, s33
	s_cbranch_scc0 .LBB119_82
.LBB119_4:                              ; =>This Loop Header: Depth=1
                                        ;     Child Loop BB119_70 Depth 2
	s_mul_u64 s[20:21], s[26:27], s[22:23]
	s_delay_alu instid0(SALU_CYCLE_1) | instskip(NEXT) | instid1(SALU_CYCLE_1)
	s_lshl_b64 s[20:21], s[20:21], 3
	s_add_nc_u64 s[20:21], s[24:25], s[20:21]
	global_load_b64 v[0:1], v35, s[20:21]
	s_wait_xcnt 0x0
	s_mov_b32 s20, -1
	s_wait_loadcnt 0x0
	v_or_b32_e32 v0, v0, v1
	s_delay_alu instid0(VALU_DEP_1) | instskip(NEXT) | instid1(VALU_DEP_1)
	v_and_b32_e32 v0, 0x7fffffff, v0
	v_cmp_ne_u32_e64 s19, 0, v0
	s_and_b32 vcc_lo, exec_lo, s19
	s_cbranch_vccnz .LBB119_6
; %bb.5:                                ;   in Loop: Header=BB119_4 Depth=1
	s_mul_u64 s[20:21], s[40:41], s[22:23]
	s_delay_alu instid0(SALU_CYCLE_1) | instskip(NEXT) | instid1(SALU_CYCLE_1)
	s_lshl_b64 s[20:21], s[20:21], 3
	s_add_nc_u64 s[20:21], s[38:39], s[20:21]
	global_load_b64 v[0:1], v35, s[20:21]
	s_wait_loadcnt 0x0
	v_cmp_neq_f32_e32 vcc_lo, 1.0, v0
	s_wait_xcnt 0x0
	v_cmp_neq_f32_e64 s20, 0, v1
	s_or_b32 s20, vcc_lo, s20
.LBB119_6:                              ;   in Loop: Header=BB119_4 Depth=1
	s_delay_alu instid0(SALU_CYCLE_1)
	s_and_not1_b32 vcc_lo, exec_lo, s20
	s_cbranch_vccnz .LBB119_3
; %bb.7:                                ;   in Loop: Header=BB119_4 Depth=1
	s_and_not1_b32 vcc_lo, exec_lo, s19
	s_cbranch_vccnz .LBB119_3
; %bb.8:                                ;   in Loop: Header=BB119_4 Depth=1
	s_mul_u64 s[20:21], s[36:37], s[22:23]
	s_delay_alu instid0(SALU_CYCLE_1)
	v_lshl_add_u64 v[16:17], s[20:21], 3, v[38:39]
	s_and_saveexec_b32 s19, s0
	s_cbranch_execz .LBB119_13
; %bb.9:                                ;   in Loop: Header=BB119_4 Depth=1
	s_and_saveexec_b32 s20, s1
	s_delay_alu instid0(SALU_CYCLE_1)
	s_xor_b32 s20, exec_lo, s20
; %bb.10:                               ;   in Loop: Header=BB119_4 Depth=1
	ds_store_b64 v91, v[50:51]
; %bb.11:                               ;   in Loop: Header=BB119_4 Depth=1
	s_and_not1_saveexec_b32 s20, s20
	s_cbranch_execz .LBB119_13
; %bb.12:                               ;   in Loop: Header=BB119_4 Depth=1
	global_load_b64 v[0:1], v[16:17], off
	s_wait_loadcnt 0x0
	ds_store_b64 v91, v[0:1]
.LBB119_13:                             ;   in Loop: Header=BB119_4 Depth=1
	s_wait_xcnt 0x0
	s_or_b32 exec_lo, exec_lo, s19
	s_mul_u64 s[20:21], s[44:45], s[22:23]
	s_and_not1_b32 vcc_lo, exec_lo, s101
	v_lshl_add_u64 v[0:1], s[20:21], 3, v[40:41]
	s_mov_b32 s19, -1
	s_cbranch_vccnz .LBB119_15
; %bb.14:                               ;   in Loop: Header=BB119_4 Depth=1
	s_delay_alu instid0(VALU_DEP_1) | instskip(SKIP_1) | instid1(VALU_DEP_1)
	v_lshl_add_u64 v[2:3], s[42:43], 3, v[0:1]
	s_mov_b32 s19, 0
	v_add_nc_u64_e32 v[4:5], s[56:57], v[2:3]
	s_delay_alu instid0(VALU_DEP_1)
	v_add_nc_u64_e32 v[6:7], s[56:57], v[4:5]
	s_clause 0x3
	global_load_b64 v[8:9], v[0:1], off
	global_load_b64 v[2:3], v[2:3], off
	;; [unrolled: 1-line block ×4, first 2 shown]
	s_wait_loadcnt 0x3
	ds_store_b64 v103, v[8:9]
	s_wait_loadcnt 0x2
	ds_store_b64 v103, v[2:3] offset:2112
	s_wait_loadcnt 0x1
	ds_store_b64 v103, v[4:5] offset:4224
	;; [unrolled: 2-line block ×3, first 2 shown]
.LBB119_15:                             ;   in Loop: Header=BB119_4 Depth=1
	s_and_not1_b32 vcc_lo, exec_lo, s19
	s_cbranch_vccnz .LBB119_25
; %bb.16:                               ;   in Loop: Header=BB119_4 Depth=1
	s_wait_xcnt 0x2
	v_lshl_add_u64 v[2:3], v[42:43], 3, v[0:1]
	s_wait_xcnt 0x0
	v_dual_mov_b32 v6, 0 :: v_dual_mov_b32 v4, 0
	v_mov_b32_e32 v5, 0
	s_delay_alu instid0(VALU_DEP_3) | instskip(NEXT) | instid1(VALU_DEP_1)
	v_lshl_add_u64 v[2:3], s[30:31], 3, v[2:3]
	v_add_nc_u64_e32 v[2:3], -8, v[2:3]
	s_delay_alu instid0(VALU_DEP_1)
	v_dual_cndmask_b32 v3, v3, v1, s2 :: v_dual_cndmask_b32 v2, v2, v0, s2
	s_and_saveexec_b32 s19, s3
	s_cbranch_execz .LBB119_18
; %bb.17:                               ;   in Loop: Header=BB119_4 Depth=1
	global_load_b64 v[4:5], v[2:3], off
.LBB119_18:                             ;   in Loop: Header=BB119_4 Depth=1
	s_wait_xcnt 0x0
	s_or_b32 exec_lo, exec_lo, s19
	v_mov_b32_e32 v7, 0
	s_wait_loadcnt 0x0
	ds_store_b64 v103, v[4:5]
	s_and_saveexec_b32 s19, s4
	s_cbranch_execz .LBB119_20
; %bb.19:                               ;   in Loop: Header=BB119_4 Depth=1
	v_lshl_add_u64 v[4:5], s[42:43], 3, v[2:3]
	global_load_b64 v[6:7], v[4:5], off
.LBB119_20:                             ;   in Loop: Header=BB119_4 Depth=1
	s_wait_xcnt 0x0
	s_or_b32 exec_lo, exec_lo, s19
	v_dual_mov_b32 v4, 0 :: v_dual_mov_b32 v8, 0
	v_mov_b32_e32 v9, 0
	s_wait_loadcnt 0x0
	ds_store_b64 v103, v[6:7] offset:2112
	s_and_saveexec_b32 s19, s5
	s_cbranch_execz .LBB119_22
; %bb.21:                               ;   in Loop: Header=BB119_4 Depth=1
	v_lshl_add_u64 v[6:7], s[46:47], 3, v[2:3]
	global_load_b64 v[8:9], v[6:7], off
.LBB119_22:                             ;   in Loop: Header=BB119_4 Depth=1
	s_wait_xcnt 0x0
	s_or_b32 exec_lo, exec_lo, s19
	v_mov_b32_e32 v5, 0
	s_wait_loadcnt 0x0
	ds_store_b64 v103, v[8:9] offset:4224
	s_and_saveexec_b32 s19, s6
	s_cbranch_execz .LBB119_24
; %bb.23:                               ;   in Loop: Header=BB119_4 Depth=1
	v_lshl_add_u64 v[4:5], s[48:49], 3, v[2:3]
	global_load_b64 v[4:5], v[4:5], off
.LBB119_24:                             ;   in Loop: Header=BB119_4 Depth=1
	s_wait_xcnt 0x0
	s_or_b32 exec_lo, exec_lo, s19
	v_add_nc_u64_e32 v[2:3], v[2:3], v[34:35]
	s_wait_loadcnt 0x0
	ds_store_b64 v103, v[4:5] offset:6336
	v_lshl_add_u64 v[2:3], s[96:97], 3, v[2:3]
	s_delay_alu instid0(VALU_DEP_1) | instskip(NEXT) | instid1(VALU_DEP_1)
	v_add_nc_u64_e32 v[2:3], 8, v[2:3]
	v_dual_cndmask_b32 v1, v3, v1, s2 :: v_dual_cndmask_b32 v0, v2, v0, s2
.LBB119_25:                             ;   in Loop: Header=BB119_4 Depth=1
	s_wait_dscnt 0x0
	s_barrier_signal -1
	s_barrier_wait -1
	s_wait_xcnt 0x0
	s_and_saveexec_b32 s19, s7
	s_cbranch_execnz .LBB119_76
; %bb.26:                               ;   in Loop: Header=BB119_4 Depth=1
	s_or_b32 exec_lo, exec_lo, s19
	s_and_saveexec_b32 s19, s8
	s_cbranch_execnz .LBB119_77
.LBB119_27:                             ;   in Loop: Header=BB119_4 Depth=1
	s_or_b32 exec_lo, exec_lo, s19
	s_and_saveexec_b32 s19, s9
	s_cbranch_execnz .LBB119_78
.LBB119_28:                             ;   in Loop: Header=BB119_4 Depth=1
	s_or_b32 exec_lo, exec_lo, s19
	s_and_saveexec_b32 s19, s10
	s_cbranch_execz .LBB119_30
.LBB119_29:                             ;   in Loop: Header=BB119_4 Depth=1
	ds_load_b64 v[2:3], v105 offset:528
	s_wait_dscnt 0x0
	ds_store_b64 v93, v[2:3] offset:24
.LBB119_30:                             ;   in Loop: Header=BB119_4 Depth=1
	s_or_b32 exec_lo, exec_lo, s19
	s_wait_dscnt 0x0
	s_barrier_signal -1
	s_barrier_wait -1
	ds_load_b64 v[14:15], v104
	ds_load_b128 v[2:5], v94
	ds_load_2addr_b64 v[6:9], v105 offset1:33
	ds_load_b128 v[10:13], v94 offset:16
	ds_load_b64 v[18:19], v105 offset:528
	v_mov_b64_e32 v[52:53], 0
	s_wait_dscnt 0x0
	s_barrier_signal -1
	s_barrier_wait -1
	v_pk_mul_f32 v[20:21], v[2:3], v[14:15] op_sel:[1,1] op_sel_hi:[0,1]
	v_dual_mov_b32 v22, v5 :: v_dual_mov_b32 v23, v4
	v_pk_mul_f32 v[24:25], v[10:11], v[8:9] op_sel:[1,1] op_sel_hi:[0,1]
	v_dual_mov_b32 v28, v13 :: v_dual_mov_b32 v29, v12
	s_delay_alu instid0(VALU_DEP_4) | instskip(NEXT) | instid1(VALU_DEP_4)
	v_pk_fma_f32 v[26:27], v[2:3], v[14:15], v[20:21] op_sel_hi:[1,0,1]
	v_pk_mul_f32 v[22:23], v[22:23], v[6:7] op_sel:[0,1]
	v_pk_fma_f32 v[2:3], v[2:3], v[14:15], v[20:21] neg_lo:[0,0,1] neg_hi:[0,0,1]
	v_pk_fma_f32 v[20:21], v[10:11], v[8:9], v[24:25] op_sel_hi:[1,0,1]
	s_delay_alu instid0(VALU_DEP_3)
	v_pk_fma_f32 v[14:15], v[4:5], v[6:7], v[22:23] op_sel_hi:[1,0,1]
	v_mov_b32_e32 v3, v27
	v_pk_fma_f32 v[4:5], v[4:5], v[6:7], v[22:23] neg_lo:[0,0,1] neg_hi:[0,0,1]
	v_pk_mul_f32 v[26:27], v[28:29], v[18:19] op_sel:[0,1]
	v_pk_fma_f32 v[6:7], v[10:11], v[8:9], v[24:25] neg_lo:[0,0,1] neg_hi:[0,0,1]
	v_mov_b32_e32 v5, v15
	v_pk_add_f32 v[2:3], v[2:3], 0 op_sel_hi:[1,0]
	s_delay_alu instid0(VALU_DEP_4) | instskip(SKIP_1) | instid1(VALU_DEP_3)
	v_pk_fma_f32 v[8:9], v[12:13], v[18:19], v[26:27] op_sel_hi:[1,0,1]
	v_mov_b32_e32 v7, v21
	v_pk_add_f32 v[2:3], v[2:3], v[4:5]
	v_pk_fma_f32 v[4:5], v[12:13], v[18:19], v[26:27] neg_lo:[0,0,1] neg_hi:[0,0,1]
	s_delay_alu instid0(VALU_DEP_4) | instskip(NEXT) | instid1(VALU_DEP_3)
	v_mov_b32_e32 v5, v9
	v_pk_add_f32 v[2:3], v[2:3], v[6:7]
	s_delay_alu instid0(VALU_DEP_1)
	v_pk_add_f32 v[2:3], v[2:3], v[4:5]
	ds_store_b64 v95, v[2:3]
	s_wait_dscnt 0x0
	s_barrier_signal -1
	s_barrier_wait -1
	s_and_saveexec_b32 s19, s11
	s_cbranch_execz .LBB119_32
; %bb.31:                               ;   in Loop: Header=BB119_4 Depth=1
	ds_load_2addr_b64 v[2:5], v92 offset1:7
	ds_load_2addr_b64 v[6:9], v92 offset0:1 offset1:2
	ds_load_2addr_b64 v[10:13], v92 offset0:3 offset1:4
	;; [unrolled: 1-line block ×3, first 2 shown]
	s_wait_dscnt 0x2
	v_dual_add_f32 v2, v6, v2 :: v_dual_add_f32 v3, v7, v3
	s_delay_alu instid0(VALU_DEP_1) | instskip(SKIP_1) | instid1(VALU_DEP_1)
	v_dual_add_f32 v2, v8, v2 :: v_dual_add_f32 v3, v9, v3
	s_wait_dscnt 0x1
	v_dual_add_f32 v2, v2, v10 :: v_dual_add_f32 v3, v3, v11
	s_delay_alu instid0(VALU_DEP_1) | instskip(SKIP_1) | instid1(VALU_DEP_1)
	v_dual_add_f32 v2, v2, v12 :: v_dual_add_f32 v3, v3, v13
	s_wait_dscnt 0x0
	v_dual_add_f32 v2, v2, v18 :: v_dual_add_f32 v3, v3, v19
	s_delay_alu instid0(VALU_DEP_1) | instskip(NEXT) | instid1(VALU_DEP_1)
	v_dual_add_f32 v2, v2, v20 :: v_dual_add_f32 v3, v3, v21
	v_pk_add_f32 v[52:53], v[2:3], v[4:5]
.LBB119_32:                             ;   in Loop: Header=BB119_4 Depth=1
	s_or_b32 exec_lo, exec_lo, s19
	v_lshl_add_u64 v[2:3], s[50:51], 3, v[0:1]
	s_and_not1_b32 vcc_lo, exec_lo, s101
	s_mov_b32 s19, -1
	s_barrier_signal -1
	s_barrier_wait -1
	s_cbranch_vccnz .LBB119_34
; %bb.33:                               ;   in Loop: Header=BB119_4 Depth=1
	v_lshl_add_u64 v[0:1], s[42:43], 3, v[2:3]
	s_mov_b32 s19, 0
	s_delay_alu instid0(VALU_DEP_1) | instskip(NEXT) | instid1(VALU_DEP_1)
	v_add_nc_u64_e32 v[4:5], s[56:57], v[0:1]
	v_add_nc_u64_e32 v[6:7], s[56:57], v[4:5]
	s_clause 0x3
	global_load_b64 v[8:9], v[2:3], off offset:256
	global_load_b64 v[0:1], v[0:1], off offset:256
	;; [unrolled: 1-line block ×4, first 2 shown]
	s_wait_loadcnt 0x3
	ds_store_b64 v103, v[8:9]
	s_wait_loadcnt 0x2
	ds_store_b64 v103, v[0:1] offset:2112
	s_wait_loadcnt 0x1
	ds_store_b64 v103, v[4:5] offset:4224
	;; [unrolled: 2-line block ×3, first 2 shown]
.LBB119_34:                             ;   in Loop: Header=BB119_4 Depth=1
	s_wait_xcnt 0x2
	v_add_nc_u64_e32 v[0:1], 0x100, v[2:3]
	s_and_not1_b32 vcc_lo, exec_lo, s19
	s_cbranch_vccnz .LBB119_44
; %bb.35:                               ;   in Loop: Header=BB119_4 Depth=1
	v_lshl_add_u64 v[2:3], v[42:43], 3, v[2:3]
	s_wait_xcnt 0x0
	v_dual_mov_b32 v6, 0 :: v_dual_mov_b32 v4, 0
	v_mov_b32_e32 v5, 0
	s_delay_alu instid0(VALU_DEP_3) | instskip(NEXT) | instid1(VALU_DEP_1)
	v_lshl_add_u64 v[2:3], s[30:31], 3, v[2:3]
	v_add_nc_u64_e32 v[2:3], -8, v[2:3]
	s_delay_alu instid0(VALU_DEP_1)
	v_dual_cndmask_b32 v3, v3, v1, s12 :: v_dual_cndmask_b32 v2, v2, v0, s12
	s_and_saveexec_b32 s19, s13
	s_cbranch_execz .LBB119_37
; %bb.36:                               ;   in Loop: Header=BB119_4 Depth=1
	global_load_b64 v[4:5], v[2:3], off
.LBB119_37:                             ;   in Loop: Header=BB119_4 Depth=1
	s_wait_xcnt 0x0
	s_or_b32 exec_lo, exec_lo, s19
	v_mov_b32_e32 v7, 0
	s_wait_loadcnt 0x0
	ds_store_b64 v103, v[4:5]
	s_and_saveexec_b32 s19, s14
	s_cbranch_execz .LBB119_39
; %bb.38:                               ;   in Loop: Header=BB119_4 Depth=1
	v_lshl_add_u64 v[4:5], s[42:43], 3, v[2:3]
	global_load_b64 v[6:7], v[4:5], off
.LBB119_39:                             ;   in Loop: Header=BB119_4 Depth=1
	s_wait_xcnt 0x0
	s_or_b32 exec_lo, exec_lo, s19
	v_dual_mov_b32 v4, 0 :: v_dual_mov_b32 v8, 0
	v_mov_b32_e32 v9, 0
	s_wait_loadcnt 0x0
	ds_store_b64 v103, v[6:7] offset:2112
	s_and_saveexec_b32 s19, s15
	s_cbranch_execz .LBB119_41
; %bb.40:                               ;   in Loop: Header=BB119_4 Depth=1
	v_lshl_add_u64 v[6:7], s[46:47], 3, v[2:3]
	global_load_b64 v[8:9], v[6:7], off
.LBB119_41:                             ;   in Loop: Header=BB119_4 Depth=1
	s_wait_xcnt 0x0
	s_or_b32 exec_lo, exec_lo, s19
	v_mov_b32_e32 v5, 0
	s_wait_loadcnt 0x0
	ds_store_b64 v103, v[8:9] offset:4224
	s_and_saveexec_b32 s19, s16
	s_cbranch_execz .LBB119_43
; %bb.42:                               ;   in Loop: Header=BB119_4 Depth=1
	v_lshl_add_u64 v[4:5], s[48:49], 3, v[2:3]
	global_load_b64 v[4:5], v[4:5], off
.LBB119_43:                             ;   in Loop: Header=BB119_4 Depth=1
	s_wait_xcnt 0x0
	s_or_b32 exec_lo, exec_lo, s19
	v_add_nc_u64_e32 v[2:3], v[2:3], v[34:35]
	s_wait_loadcnt 0x0
	ds_store_b64 v103, v[4:5] offset:6336
	v_lshl_add_u64 v[2:3], s[96:97], 3, v[2:3]
	s_delay_alu instid0(VALU_DEP_1) | instskip(NEXT) | instid1(VALU_DEP_1)
	v_add_nc_u64_e32 v[2:3], 0x108, v[2:3]
	v_dual_cndmask_b32 v1, v3, v1, s12 :: v_dual_cndmask_b32 v0, v2, v0, s12
.LBB119_44:                             ;   in Loop: Header=BB119_4 Depth=1
	s_wait_dscnt 0x0
	s_barrier_signal -1
	s_barrier_wait -1
	s_wait_xcnt 0x0
	s_and_saveexec_b32 s19, s7
	s_cbranch_execnz .LBB119_79
; %bb.45:                               ;   in Loop: Header=BB119_4 Depth=1
	s_or_b32 exec_lo, exec_lo, s19
	s_and_saveexec_b32 s19, s8
	s_cbranch_execnz .LBB119_80
.LBB119_46:                             ;   in Loop: Header=BB119_4 Depth=1
	s_or_b32 exec_lo, exec_lo, s19
	s_and_saveexec_b32 s19, s9
	s_cbranch_execnz .LBB119_81
.LBB119_47:                             ;   in Loop: Header=BB119_4 Depth=1
	s_or_b32 exec_lo, exec_lo, s19
	s_and_saveexec_b32 s19, s10
	s_cbranch_execz .LBB119_49
.LBB119_48:                             ;   in Loop: Header=BB119_4 Depth=1
	ds_load_b64 v[2:3], v105 offset:528
	s_wait_dscnt 0x0
	ds_store_b64 v93, v[2:3] offset:24
.LBB119_49:                             ;   in Loop: Header=BB119_4 Depth=1
	s_or_b32 exec_lo, exec_lo, s19
	s_wait_dscnt 0x0
	s_barrier_signal -1
	s_barrier_wait -1
	ds_load_b64 v[14:15], v104
	ds_load_b128 v[2:5], v94 offset:256
	ds_load_2addr_b64 v[6:9], v105 offset1:33
	ds_load_b128 v[10:13], v94 offset:272
	ds_load_b64 v[18:19], v105 offset:528
	s_wait_dscnt 0x0
	s_barrier_signal -1
	s_barrier_wait -1
	v_pk_mul_f32 v[20:21], v[2:3], v[14:15] op_sel:[1,1] op_sel_hi:[0,1]
	v_dual_mov_b32 v22, v5 :: v_dual_mov_b32 v23, v4
	v_pk_mul_f32 v[24:25], v[10:11], v[8:9] op_sel:[1,1] op_sel_hi:[0,1]
	v_dual_mov_b32 v28, v13 :: v_dual_mov_b32 v29, v12
	s_delay_alu instid0(VALU_DEP_4) | instskip(NEXT) | instid1(VALU_DEP_4)
	v_pk_fma_f32 v[26:27], v[2:3], v[14:15], v[20:21] op_sel_hi:[1,0,1]
	v_pk_mul_f32 v[22:23], v[22:23], v[6:7] op_sel:[0,1]
	v_pk_fma_f32 v[2:3], v[2:3], v[14:15], v[20:21] neg_lo:[0,0,1] neg_hi:[0,0,1]
	v_pk_fma_f32 v[20:21], v[10:11], v[8:9], v[24:25] op_sel_hi:[1,0,1]
	s_delay_alu instid0(VALU_DEP_3)
	v_pk_fma_f32 v[14:15], v[4:5], v[6:7], v[22:23] op_sel_hi:[1,0,1]
	v_mov_b32_e32 v3, v27
	v_pk_fma_f32 v[4:5], v[4:5], v[6:7], v[22:23] neg_lo:[0,0,1] neg_hi:[0,0,1]
	v_pk_mul_f32 v[26:27], v[28:29], v[18:19] op_sel:[0,1]
	v_pk_fma_f32 v[6:7], v[10:11], v[8:9], v[24:25] neg_lo:[0,0,1] neg_hi:[0,0,1]
	v_mov_b32_e32 v5, v15
	v_pk_add_f32 v[2:3], v[2:3], 0 op_sel_hi:[1,0]
	s_delay_alu instid0(VALU_DEP_4) | instskip(SKIP_1) | instid1(VALU_DEP_3)
	v_pk_fma_f32 v[8:9], v[12:13], v[18:19], v[26:27] op_sel_hi:[1,0,1]
	v_mov_b32_e32 v7, v21
	v_pk_add_f32 v[2:3], v[2:3], v[4:5]
	v_pk_fma_f32 v[4:5], v[12:13], v[18:19], v[26:27] neg_lo:[0,0,1] neg_hi:[0,0,1]
	s_delay_alu instid0(VALU_DEP_4) | instskip(NEXT) | instid1(VALU_DEP_3)
	v_mov_b32_e32 v5, v9
	v_pk_add_f32 v[2:3], v[2:3], v[6:7]
	s_delay_alu instid0(VALU_DEP_1)
	v_pk_add_f32 v[2:3], v[2:3], v[4:5]
	ds_store_b64 v95, v[2:3]
	s_wait_dscnt 0x0
	s_barrier_signal -1
	s_barrier_wait -1
	s_and_saveexec_b32 s19, s17
	s_cbranch_execz .LBB119_51
; %bb.50:                               ;   in Loop: Header=BB119_4 Depth=1
	ds_load_2addr_b64 v[2:5], v92 offset1:7
	ds_load_2addr_b64 v[6:9], v92 offset0:1 offset1:2
	ds_load_2addr_b64 v[10:13], v92 offset0:3 offset1:4
	;; [unrolled: 1-line block ×3, first 2 shown]
	s_wait_dscnt 0x2
	v_dual_add_f32 v2, v6, v2 :: v_dual_add_f32 v3, v7, v3
	s_delay_alu instid0(VALU_DEP_1) | instskip(SKIP_1) | instid1(VALU_DEP_1)
	v_dual_add_f32 v2, v8, v2 :: v_dual_add_f32 v3, v9, v3
	s_wait_dscnt 0x1
	v_dual_add_f32 v2, v2, v10 :: v_dual_add_f32 v3, v3, v11
	s_delay_alu instid0(VALU_DEP_1) | instskip(SKIP_1) | instid1(VALU_DEP_1)
	v_dual_add_f32 v2, v2, v12 :: v_dual_add_f32 v3, v3, v13
	s_wait_dscnt 0x0
	v_dual_add_f32 v2, v2, v18 :: v_dual_add_f32 v3, v3, v19
	s_delay_alu instid0(VALU_DEP_1) | instskip(NEXT) | instid1(VALU_DEP_1)
	v_pk_add_f32 v[2:3], v[2:3], v[20:21]
	v_pk_add_f32 v[52:53], v[2:3], v[4:5]
.LBB119_51:                             ;   in Loop: Header=BB119_4 Depth=1
	s_or_b32 exec_lo, exec_lo, s19
	v_lshl_add_u64 v[18:19], s[94:95], 3, v[0:1]
	s_and_not1_b32 vcc_lo, exec_lo, s101
	s_mov_b32 s19, -1
	s_barrier_signal -1
	s_barrier_wait -1
	s_cbranch_vccnz .LBB119_53
; %bb.52:                               ;   in Loop: Header=BB119_4 Depth=1
	v_lshl_add_u64 v[0:1], s[42:43], 3, v[18:19]
	s_mov_b32 s19, 0
	s_delay_alu instid0(VALU_DEP_1) | instskip(NEXT) | instid1(VALU_DEP_1)
	v_add_nc_u64_e32 v[2:3], s[56:57], v[0:1]
	v_add_nc_u64_e32 v[4:5], s[56:57], v[2:3]
	s_clause 0x3
	global_load_b64 v[6:7], v[18:19], off
	global_load_b64 v[0:1], v[0:1], off
	;; [unrolled: 1-line block ×4, first 2 shown]
	s_wait_loadcnt 0x3
	ds_store_b64 v103, v[6:7]
	s_wait_loadcnt 0x2
	ds_store_b64 v103, v[0:1] offset:2112
	s_wait_loadcnt 0x1
	ds_store_b64 v103, v[2:3] offset:4224
	;; [unrolled: 2-line block ×3, first 2 shown]
.LBB119_53:                             ;   in Loop: Header=BB119_4 Depth=1
	s_and_not1_b32 vcc_lo, exec_lo, s19
	s_cbranch_vccnz .LBB119_63
; %bb.54:                               ;   in Loop: Header=BB119_4 Depth=1
	s_wait_xcnt 0x2
	v_lshl_add_u64 v[0:1], v[42:43], 3, v[18:19]
	s_wait_xcnt 0x0
	v_dual_mov_b32 v4, 0 :: v_dual_mov_b32 v2, 0
	v_mov_b32_e32 v3, 0
	s_delay_alu instid0(VALU_DEP_3) | instskip(NEXT) | instid1(VALU_DEP_1)
	v_lshl_add_u64 v[0:1], s[30:31], 3, v[0:1]
	v_add_nc_u64_e32 v[0:1], s[90:91], v[0:1]
	s_delay_alu instid0(VALU_DEP_1)
	v_dual_cndmask_b32 v1, v1, v19, s12 :: v_dual_cndmask_b32 v0, v0, v18, s12
	s_and_saveexec_b32 s19, s3
	s_cbranch_execz .LBB119_56
; %bb.55:                               ;   in Loop: Header=BB119_4 Depth=1
	global_load_b64 v[2:3], v[0:1], off
.LBB119_56:                             ;   in Loop: Header=BB119_4 Depth=1
	s_wait_xcnt 0x0
	s_or_b32 exec_lo, exec_lo, s19
	v_mov_b32_e32 v5, 0
	s_wait_loadcnt 0x0
	ds_store_b64 v103, v[2:3]
	s_and_saveexec_b32 s19, s4
	s_cbranch_execz .LBB119_58
; %bb.57:                               ;   in Loop: Header=BB119_4 Depth=1
	v_lshl_add_u64 v[2:3], s[42:43], 3, v[0:1]
	global_load_b64 v[4:5], v[2:3], off
.LBB119_58:                             ;   in Loop: Header=BB119_4 Depth=1
	s_wait_xcnt 0x0
	s_or_b32 exec_lo, exec_lo, s19
	v_dual_mov_b32 v2, 0 :: v_dual_mov_b32 v6, 0
	v_mov_b32_e32 v7, 0
	s_wait_loadcnt 0x0
	ds_store_b64 v103, v[4:5] offset:2112
	s_and_saveexec_b32 s19, s5
	s_cbranch_execz .LBB119_60
; %bb.59:                               ;   in Loop: Header=BB119_4 Depth=1
	v_lshl_add_u64 v[4:5], s[46:47], 3, v[0:1]
	global_load_b64 v[6:7], v[4:5], off
.LBB119_60:                             ;   in Loop: Header=BB119_4 Depth=1
	s_wait_xcnt 0x0
	s_or_b32 exec_lo, exec_lo, s19
	v_mov_b32_e32 v3, 0
	s_wait_loadcnt 0x0
	ds_store_b64 v103, v[6:7] offset:4224
	s_and_saveexec_b32 s19, s6
	s_cbranch_execz .LBB119_62
; %bb.61:                               ;   in Loop: Header=BB119_4 Depth=1
	v_lshl_add_u64 v[2:3], s[48:49], 3, v[0:1]
	global_load_b64 v[2:3], v[2:3], off
.LBB119_62:                             ;   in Loop: Header=BB119_4 Depth=1
	s_wait_xcnt 0x0
	s_or_b32 exec_lo, exec_lo, s19
	v_add_nc_u64_e32 v[0:1], v[0:1], v[34:35]
	s_wait_loadcnt 0x0
	ds_store_b64 v103, v[2:3] offset:6336
	v_lshl_add_u64 v[0:1], s[96:97], 3, v[0:1]
	s_delay_alu instid0(VALU_DEP_1) | instskip(NEXT) | instid1(VALU_DEP_1)
	v_add_nc_u64_e32 v[0:1], 0x108, v[0:1]
	v_dual_cndmask_b32 v19, v1, v19, s12 :: v_dual_cndmask_b32 v18, v0, v18, s12
.LBB119_63:                             ;   in Loop: Header=BB119_4 Depth=1
	s_wait_dscnt 0x0
	s_barrier_signal -1
	s_barrier_wait -1
	ds_load_b64 v[8:9], v103
	ds_load_b64 v[10:11], v106
	ds_load_2addr_b64 v[20:23], v102 offset0:8 offset1:16
	ds_load_b64 v[12:13], v103 offset:2112
	ds_load_b64 v[24:25], v103 offset:4224
	;; [unrolled: 1-line block ×4, first 2 shown]
	s_wait_xcnt 0x0
	ds_load_2addr_b64 v[4:7], v96 offset1:1
	ds_load_2addr_b64 v[0:3], v96 offset0:2 offset1:3
	s_wait_dscnt 0x7
	v_pk_mul_f32 v[14:15], v[10:11], v[8:9] op_sel:[1,1] op_sel_hi:[0,1]
	s_wait_dscnt 0x5
	v_pk_mul_f32 v[30:31], v[20:21], v[12:13] op_sel:[1,1] op_sel_hi:[0,1]
	;; [unrolled: 2-line block ×3, first 2 shown]
	v_pk_fma_f32 v[54:55], v[10:11], v[8:9], v[14:15] op_sel_hi:[1,0,1]
	v_pk_fma_f32 v[8:9], v[10:11], v[8:9], v[14:15] neg_lo:[0,0,1] neg_hi:[0,0,1]
	v_pk_fma_f32 v[10:11], v[20:21], v[12:13], v[30:31] op_sel_hi:[1,0,1]
	v_pk_fma_f32 v[20:21], v[20:21], v[12:13], v[30:31] neg_lo:[0,0,1] neg_hi:[0,0,1]
	v_pk_fma_f32 v[30:31], v[22:23], v[24:25], v[56:57] op_sel_hi:[1,0,1]
	v_mov_b32_e32 v9, v55
	s_wait_dscnt 0x2
	v_pk_mul_f32 v[54:55], v[28:29], v[26:27] op_sel:[1,1] op_sel_hi:[0,1]
	v_mov_b32_e32 v21, v11
	v_pk_fma_f32 v[22:23], v[22:23], v[24:25], v[56:57] neg_lo:[0,0,1] neg_hi:[0,0,1]
	v_pk_add_f32 v[58:59], v[8:9], 0 op_sel_hi:[1,0]
	ds_load_b128 v[12:15], v94 offset:256
	ds_load_b128 v[8:11], v94 offset:272
	v_pk_fma_f32 v[24:25], v[28:29], v[26:27], v[54:55] op_sel_hi:[1,0,1]
	v_mov_b32_e32 v23, v31
	v_pk_fma_f32 v[26:27], v[28:29], v[26:27], v[54:55] neg_lo:[0,0,1] neg_hi:[0,0,1]
	v_pk_add_f32 v[20:21], v[58:59], v[20:21]
	s_wait_dscnt 0x0
	v_mov_b32_e32 v27, v25
	s_barrier_signal -1
	s_barrier_wait -1
	v_pk_add_f32 v[20:21], v[20:21], v[22:23]
	s_delay_alu instid0(VALU_DEP_1)
	v_pk_add_f32 v[20:21], v[20:21], v[26:27]
	ds_store_b64 v95, v[20:21]
	s_wait_dscnt 0x0
	s_barrier_signal -1
	s_barrier_wait -1
	s_and_saveexec_b32 s19, s17
	s_cbranch_execz .LBB119_65
; %bb.64:                               ;   in Loop: Header=BB119_4 Depth=1
	ds_load_2addr_b64 v[20:23], v92 offset1:1
	ds_load_2addr_b64 v[24:27], v92 offset0:2 offset1:3
	ds_load_2addr_b64 v[28:31], v92 offset0:4 offset1:5
	s_wait_dscnt 0x2
	v_pk_add_f32 v[20:21], v[52:53], v[20:21]
	s_delay_alu instid0(VALU_DEP_1) | instskip(SKIP_1) | instid1(VALU_DEP_1)
	v_pk_add_f32 v[20:21], v[20:21], v[22:23]
	s_wait_dscnt 0x1
	v_pk_add_f32 v[24:25], v[20:21], v[24:25]
	ds_load_2addr_b64 v[20:23], v92 offset0:6 offset1:7
	v_pk_add_f32 v[24:25], v[24:25], v[26:27]
	s_wait_dscnt 0x1
	s_delay_alu instid0(VALU_DEP_1) | instskip(NEXT) | instid1(VALU_DEP_1)
	v_pk_add_f32 v[24:25], v[24:25], v[28:29]
	v_pk_add_f32 v[24:25], v[24:25], v[30:31]
	s_wait_dscnt 0x0
	s_delay_alu instid0(VALU_DEP_1) | instskip(NEXT) | instid1(VALU_DEP_1)
	v_pk_add_f32 v[20:21], v[24:25], v[20:21]
	v_pk_add_f32 v[52:53], v[20:21], v[22:23]
.LBB119_65:                             ;   in Loop: Header=BB119_4 Depth=1
	s_or_b32 exec_lo, exec_lo, s19
	v_pk_mul_f32 v[20:21], v[12:13], v[4:5] op_sel:[1,1] op_sel_hi:[0,1]
	v_dual_mov_b32 v22, v15 :: v_dual_mov_b32 v23, v14
	v_dual_mov_b32 v24, v7 :: v_dual_mov_b32 v30, v11
	s_delay_alu instid0(VALU_DEP_3) | instskip(SKIP_2) | instid1(VALU_DEP_4)
	v_pk_fma_f32 v[28:29], v[12:13], v[4:5], v[20:21] op_sel_hi:[1,0,1]
	v_pk_fma_f32 v[4:5], v[12:13], v[4:5], v[20:21] neg_lo:[0,0,1] neg_hi:[0,0,1]
	v_pk_mul_f32 v[26:27], v[8:9], v[0:1] op_sel:[1,1] op_sel_hi:[0,1]
	v_pk_mul_f32 v[22:23], v[22:23], v[24:25] op_sel_hi:[1,0]
	s_delay_alu instid0(VALU_DEP_4) | instskip(NEXT) | instid1(VALU_DEP_3)
	v_dual_mov_b32 v31, v10 :: v_dual_mov_b32 v5, v29
	v_pk_fma_f32 v[24:25], v[8:9], v[0:1], v[26:27] op_sel_hi:[1,0,1]
	s_delay_alu instid0(VALU_DEP_3)
	v_pk_fma_f32 v[20:21], v[14:15], v[6:7], v[22:23] op_sel_hi:[1,0,1]
	v_mov_b32_e32 v12, v3
	v_pk_fma_f32 v[6:7], v[14:15], v[6:7], v[22:23] neg_lo:[0,0,1] neg_hi:[0,0,1]
	v_pk_add_f32 v[4:5], v[4:5], 0 op_sel_hi:[1,0]
	v_pk_fma_f32 v[0:1], v[8:9], v[0:1], v[26:27] neg_lo:[0,0,1] neg_hi:[0,0,1]
	v_mov_b32_e32 v7, v21
	v_pk_mul_f32 v[12:13], v[30:31], v[12:13] op_sel_hi:[1,0]
	s_barrier_signal -1
	s_barrier_wait -1
	s_delay_alu instid0(VALU_DEP_2) | instskip(NEXT) | instid1(VALU_DEP_2)
	v_pk_add_f32 v[4:5], v[4:5], v[6:7]
	v_pk_fma_f32 v[8:9], v[10:11], v[2:3], v[12:13] op_sel_hi:[1,0,1]
	v_mov_b32_e32 v1, v25
	v_pk_fma_f32 v[2:3], v[10:11], v[2:3], v[12:13] neg_lo:[0,0,1] neg_hi:[0,0,1]
	s_delay_alu instid0(VALU_DEP_3) | instskip(NEXT) | instid1(VALU_DEP_3)
	v_mov_b32_e32 v3, v9
	v_pk_add_f32 v[0:1], v[4:5], v[0:1]
	s_delay_alu instid0(VALU_DEP_1)
	v_pk_add_f32 v[0:1], v[0:1], v[2:3]
	ds_store_b64 v95, v[0:1]
	s_wait_dscnt 0x0
	s_barrier_signal -1
	s_barrier_wait -1
	s_and_saveexec_b32 s19, s11
	s_cbranch_execz .LBB119_67
; %bb.66:                               ;   in Loop: Header=BB119_4 Depth=1
	ds_load_2addr_b64 v[0:3], v92 offset1:1
	ds_load_2addr_b64 v[4:7], v92 offset0:2 offset1:3
	ds_load_2addr_b64 v[8:11], v92 offset0:4 offset1:5
	s_wait_dscnt 0x2
	v_pk_add_f32 v[0:1], v[52:53], v[0:1]
	s_delay_alu instid0(VALU_DEP_1) | instskip(SKIP_1) | instid1(VALU_DEP_1)
	v_pk_add_f32 v[0:1], v[0:1], v[2:3]
	s_wait_dscnt 0x1
	v_pk_add_f32 v[4:5], v[0:1], v[4:5]
	ds_load_2addr_b64 v[0:3], v92 offset0:6 offset1:7
	v_pk_add_f32 v[4:5], v[4:5], v[6:7]
	s_wait_dscnt 0x1
	s_delay_alu instid0(VALU_DEP_1) | instskip(NEXT) | instid1(VALU_DEP_1)
	v_pk_add_f32 v[4:5], v[4:5], v[8:9]
	v_pk_add_f32 v[4:5], v[4:5], v[10:11]
	s_wait_dscnt 0x0
	s_delay_alu instid0(VALU_DEP_1) | instskip(NEXT) | instid1(VALU_DEP_1)
	v_pk_add_f32 v[0:1], v[4:5], v[0:1]
	v_pk_add_f32 v[52:53], v[0:1], v[2:3]
.LBB119_67:                             ;   in Loop: Header=BB119_4 Depth=1
	s_or_b32 exec_lo, exec_lo, s19
	s_mul_u64 s[20:21], s[28:29], s[22:23]
	s_and_not1_b32 vcc_lo, exec_lo, s102
	s_lshl_b64 s[20:21], s[20:21], 3
	s_delay_alu instid0(SALU_CYCLE_1)
	s_add_nc_u64 s[20:21], s[34:35], s[20:21]
	s_barrier_signal -1
	s_barrier_wait -1
	s_cbranch_vccnz .LBB119_74
; %bb.68:                               ;   in Loop: Header=BB119_4 Depth=1
	v_lshl_add_u64 v[0:1], s[54:55], 3, v[18:19]
	v_lshl_add_u64 v[54:55], s[52:53], 3, v[16:17]
	v_mov_b32_e32 v108, v32
	s_mov_b32 s98, 0
	s_mov_b32 s19, s100
	v_lshl_add_u64 v[0:1], v[46:47], 3, v[0:1]
	s_delay_alu instid0(VALU_DEP_1) | instskip(NEXT) | instid1(VALU_DEP_1)
	v_lshl_add_u64 v[0:1], v[44:45], 3, v[0:1]
	v_lshl_add_u64 v[2:3], v[48:49], 3, v[0:1]
	v_add_nc_u64_e32 v[0:1], s[92:93], v[0:1]
	s_delay_alu instid0(VALU_DEP_2) | instskip(NEXT) | instid1(VALU_DEP_1)
	v_lshl_add_u64 v[2:3], s[30:31], 3, v[2:3]
	v_add_nc_u64_e32 v[2:3], s[90:91], v[2:3]
	s_delay_alu instid0(VALU_DEP_1)
	v_dual_cndmask_b32 v57, v1, v3, s1 :: v_dual_cndmask_b32 v56, v0, v2, s1
	s_branch .LBB119_70
.LBB119_69:                             ;   in Loop: Header=BB119_70 Depth=2
	s_wait_xcnt 0x0
	s_or_b32 exec_lo, exec_lo, s99
	v_dual_mul_f32 v109, v5, v63 :: v_dual_mul_f32 v5, v5, v62
	v_dual_mul_f32 v110, v7, v65 :: v_dual_mul_f32 v7, v7, v64
	s_delay_alu instid0(VALU_DEP_2) | instskip(NEXT) | instid1(VALU_DEP_3)
	v_dual_mul_f32 v111, v1, v61 :: v_dual_fma_f32 v62, v4, v62, -v109
	v_dual_mul_f32 v1, v1, v60 :: v_dual_fmac_f32 v5, v4, v63
	s_delay_alu instid0(VALU_DEP_3) | instskip(NEXT) | instid1(VALU_DEP_3)
	v_dual_mul_f32 v4, v3, v59 :: v_dual_fma_f32 v63, v6, v64, -v110
	v_dual_add_f32 v52, v52, v62 :: v_dual_fmac_f32 v7, v6, v65
	s_delay_alu instid0(VALU_DEP_3) | instskip(NEXT) | instid1(VALU_DEP_4)
	v_dual_add_f32 v5, v53, v5 :: v_dual_mul_f32 v3, v3, v58
	v_dual_fma_f32 v6, v0, v60, -v111 :: v_dual_fmac_f32 v1, v0, v61
	s_delay_alu instid0(VALU_DEP_3) | instskip(NEXT) | instid1(VALU_DEP_3)
	v_dual_add_f32 v52, v52, v63 :: v_dual_fma_f32 v4, v2, v58, -v4
	v_add_f32_e32 v0, v5, v7
	s_delay_alu instid0(VALU_DEP_4) | instskip(SKIP_1) | instid1(VALU_DEP_4)
	v_fmac_f32_e32 v3, v2, v59
	v_add_nc_u64_e32 v[56:57], s[60:61], v[56:57]
	v_dual_add_f32 v6, v52, v6 :: v_dual_mul_f32 v5, v9, v75
	s_delay_alu instid0(VALU_DEP_4) | instskip(SKIP_1) | instid1(VALU_DEP_3)
	v_add_f32_e32 v0, v0, v1
	v_dual_mul_f32 v1, v11, v73 :: v_dual_mul_f32 v2, v9, v74
	v_dual_add_f32 v4, v6, v4 :: v_dual_fma_f32 v5, v8, v74, -v5
	s_delay_alu instid0(VALU_DEP_3) | instskip(NEXT) | instid1(VALU_DEP_3)
	v_dual_mul_f32 v6, v11, v72 :: v_dual_add_f32 v0, v0, v3
	v_dual_fma_f32 v1, v10, v72, -v1 :: v_dual_fmac_f32 v2, v8, v75
	s_delay_alu instid0(VALU_DEP_3) | instskip(SKIP_1) | instid1(VALU_DEP_4)
	v_add_f32_e32 v3, v4, v5
	v_mul_f32_e32 v4, v13, v69
	v_dual_fmac_f32 v6, v10, v73 :: v_dual_mul_f32 v5, v15, v66
	s_delay_alu instid0(VALU_DEP_4) | instskip(NEXT) | instid1(VALU_DEP_3)
	v_dual_add_f32 v7, v0, v2 :: v_dual_add_nc_u32 v108, 64, v108
	v_dual_fma_f32 v2, v12, v68, -v4 :: v_dual_mul_f32 v4, v15, v67
	v_dual_add_f32 v0, v3, v1 :: v_dual_mul_f32 v3, v13, v68
	s_delay_alu instid0(VALU_DEP_3) | instskip(NEXT) | instid1(VALU_DEP_3)
	v_dual_add_f32 v1, v7, v6 :: v_dual_mov_b32 v6, v81
	v_dual_fma_f32 v4, v14, v66, -v4 :: v_dual_fmac_f32 v5, v14, v67
	s_delay_alu instid0(VALU_DEP_3) | instskip(SKIP_3) | instid1(VALU_DEP_2)
	v_dual_fmac_f32 v3, v12, v69 :: v_dual_mov_b32 v8, v79
	v_mov_b32_e32 v13, v26
	s_add_co_i32 s19, s19, -1
	s_add_co_i32 s98, s98, s103
	v_pk_add_f32 v[0:1], v[0:1], v[2:3]
	v_pk_mul_f32 v[2:3], v[28:29], v[6:7] op_sel:[1,0] op_sel_hi:[0,0]
	v_dual_mov_b32 v6, v31 :: v_dual_mov_b32 v7, v30
	s_cmp_eq_u32 s19, 0
	s_delay_alu instid0(VALU_DEP_3) | instskip(NEXT) | instid1(VALU_DEP_3)
	v_pk_add_f32 v[0:1], v[0:1], v[4:5]
	v_pk_fma_f32 v[10:11], v[28:29], v[80:81], v[2:3] op_sel_hi:[1,0,1]
	v_pk_fma_f32 v[2:3], v[28:29], v[80:81], v[2:3] neg_lo:[0,0,1] neg_hi:[0,0,1]
	v_pk_mul_f32 v[4:5], v[6:7], v[8:9] op_sel_hi:[1,0]
	v_mov_b32_e32 v6, v77
	s_wait_storecnt 0x0
	v_mov_b32_e32 v3, v11
	s_barrier_signal -1
	v_pk_fma_f32 v[8:9], v[30:31], v[78:79], v[4:5] op_sel_hi:[1,0,1]
	v_pk_mul_f32 v[6:7], v[16:17], v[6:7] op_sel:[1,0] op_sel_hi:[0,0]
	v_mov_b32_e32 v8, v19
	v_pk_add_f32 v[0:1], v[0:1], v[2:3]
	v_pk_fma_f32 v[2:3], v[30:31], v[78:79], v[4:5] neg_lo:[0,0,1] neg_hi:[0,0,1]
	v_mov_b32_e32 v3, v9
	v_pk_fma_f32 v[4:5], v[16:17], v[76:77], v[6:7] op_sel_hi:[1,0,1]
	v_dual_mov_b32 v9, v18 :: v_dual_mov_b32 v4, v71
	s_barrier_wait -1
	s_delay_alu instid0(VALU_DEP_3)
	v_pk_add_f32 v[0:1], v[0:1], v[2:3]
	v_pk_fma_f32 v[2:3], v[16:17], v[76:77], v[6:7] neg_lo:[0,0,1] neg_hi:[0,0,1]
	v_mov_b32_e32 v3, v5
	v_pk_mul_f32 v[4:5], v[8:9], v[4:5] op_sel_hi:[1,0]
	v_dual_mov_b32 v6, v23 :: v_dual_mov_b32 v7, v22
	v_mov_b32_e32 v12, v27
	s_delay_alu instid0(VALU_DEP_4) | instskip(NEXT) | instid1(VALU_DEP_4)
	v_pk_add_f32 v[0:1], v[0:1], v[2:3]
	v_pk_fma_f32 v[2:3], v[18:19], v[70:71], v[4:5] op_sel_hi:[1,0,1]
	v_mov_b32_e32 v2, v89
	v_pk_fma_f32 v[4:5], v[18:19], v[70:71], v[4:5] neg_lo:[0,0,1] neg_hi:[0,0,1]
	v_mov_b32_e32 v8, v87
	s_delay_alu instid0(VALU_DEP_4) | instskip(NEXT) | instid1(VALU_DEP_4)
	v_mov_b32_e32 v5, v3
	v_pk_mul_f32 v[2:3], v[20:21], v[2:3] op_sel:[1,0] op_sel_hi:[0,0]
	s_delay_alu instid0(VALU_DEP_3) | instskip(SKIP_1) | instid1(VALU_DEP_4)
	v_pk_mul_f32 v[6:7], v[6:7], v[8:9] op_sel_hi:[1,0]
	v_mov_b32_e32 v8, v85
	v_pk_add_f32 v[0:1], v[0:1], v[4:5]
	s_delay_alu instid0(VALU_DEP_4)
	v_pk_fma_f32 v[4:5], v[20:21], v[88:89], v[2:3] neg_lo:[0,0,1] neg_hi:[0,0,1]
	v_pk_fma_f32 v[2:3], v[20:21], v[88:89], v[2:3] op_sel_hi:[1,0,1]
	v_pk_fma_f32 v[10:11], v[22:23], v[86:87], v[6:7] op_sel_hi:[1,0,1]
	v_pk_mul_f32 v[8:9], v[24:25], v[8:9] op_sel:[1,0] op_sel_hi:[0,0]
	v_mov_b32_e32 v2, v83
	v_pk_fma_f32 v[6:7], v[22:23], v[86:87], v[6:7] neg_lo:[0,0,1] neg_hi:[0,0,1]
	s_delay_alu instid0(VALU_DEP_4) | instskip(NEXT) | instid1(VALU_DEP_4)
	v_dual_mov_b32 v5, v3 :: v_dual_mov_b32 v7, v11
	v_pk_fma_f32 v[10:11], v[24:25], v[84:85], v[8:9] op_sel_hi:[1,0,1]
	s_delay_alu instid0(VALU_DEP_4) | instskip(NEXT) | instid1(VALU_DEP_3)
	v_pk_mul_f32 v[2:3], v[12:13], v[2:3] op_sel_hi:[1,0]
	v_pk_add_f32 v[0:1], v[0:1], v[4:5]
	v_pk_fma_f32 v[4:5], v[24:25], v[84:85], v[8:9] neg_lo:[0,0,1] neg_hi:[0,0,1]
	s_delay_alu instid0(VALU_DEP_3) | instskip(SKIP_1) | instid1(VALU_DEP_4)
	v_pk_fma_f32 v[8:9], v[26:27], v[82:83], v[2:3] op_sel_hi:[1,0,1]
	v_mov_b32_e32 v5, v11
	v_pk_add_f32 v[0:1], v[0:1], v[6:7]
	v_pk_fma_f32 v[2:3], v[26:27], v[82:83], v[2:3] neg_lo:[0,0,1] neg_hi:[0,0,1]
	s_delay_alu instid0(VALU_DEP_4) | instskip(NEXT) | instid1(VALU_DEP_3)
	v_mov_b32_e32 v3, v9
	v_pk_add_f32 v[0:1], v[0:1], v[4:5]
	s_delay_alu instid0(VALU_DEP_1)
	v_pk_add_f32 v[52:53], v[0:1], v[2:3]
	s_cbranch_scc1 .LBB119_74
.LBB119_70:                             ;   Parent Loop BB119_4 Depth=1
                                        ; =>  This Inner Loop Header: Depth=2
	s_and_saveexec_b32 vcc_lo, s0
	s_cbranch_execz .LBB119_72
; %bb.71:                               ;   in Loop: Header=BB119_70 Depth=2
	s_ashr_i32 s99, s98, 31
	v_add_nc_u32_e32 v2, 0x2180, v90
	v_lshl_add_u64 v[0:1], s[98:99], 3, v[54:55]
	global_load_b64 v[0:1], v[0:1], off
	s_wait_loadcnt 0x0
	ds_store_b64 v2, v[0:1]
.LBB119_72:                             ;   in Loop: Header=BB119_70 Depth=2
	s_wait_xcnt 0x0
	s_or_b32 exec_lo, exec_lo, vcc_lo
	v_add_nc_u64_e32 v[0:1], s[58:59], v[56:57]
	v_add_nc_u64_e32 v[2:3], s[62:63], v[56:57]
	;; [unrolled: 1-line block ×3, first 2 shown]
	s_wait_dscnt 0x0
	s_barrier_signal -1
	s_barrier_wait -1
	s_clause 0x3
	global_load_b64 v[62:63], v[56:57], off
	global_load_b64 v[64:65], v[0:1], off
	;; [unrolled: 1-line block ×4, first 2 shown]
	ds_load_b64 v[8:9], v91
	s_wait_xcnt 0x0
	ds_load_b128 v[4:7], v33
	v_add_nc_u64_e32 v[12:13], s[88:89], v[56:57]
	v_add_nc_u64_e32 v[24:25], s[66:67], v[56:57]
	;; [unrolled: 1-line block ×3, first 2 shown]
	ds_load_b128 v[0:3], v33 offset:16
	v_add_nc_u64_e32 v[28:29], s[84:85], v[56:57]
	v_add_nc_u64_e32 v[30:31], s[82:83], v[56:57]
	;; [unrolled: 1-line block ×4, first 2 shown]
	s_wait_loadcnt_dscnt 0x202
	v_dual_mul_f32 v14, v9, v65 :: v_dual_mul_f32 v15, v9, v64
	v_dual_mul_f32 v10, v9, v63 :: v_dual_mul_f32 v11, v9, v62
	s_wait_loadcnt 0x1
	v_dual_mul_f32 v16, v9, v61 :: v_dual_mul_f32 v17, v9, v60
	s_wait_loadcnt 0x0
	v_dual_mul_f32 v18, v9, v59 :: v_dual_mul_f32 v19, v8, v59
	v_dual_fma_f32 v10, v8, v62, -v10 :: v_dual_fmac_f32 v11, v8, v63
	v_dual_fma_f32 v14, v8, v64, -v14 :: v_dual_fmac_f32 v15, v8, v65
	;; [unrolled: 1-line block ×3, first 2 shown]
	s_delay_alu instid0(VALU_DEP_4)
	v_dual_fma_f32 v18, v8, v58, -v18 :: v_dual_fmac_f32 v19, v9, v58
	v_add_nc_u64_e32 v[8:9], s[86:87], v[56:57]
	ds_store_2addr_b64 v97, v[10:11], v[14:15] offset1:67
	ds_store_2addr_b64 v97, v[16:17], v[18:19] offset0:134 offset1:201
	s_wait_dscnt 0x0
	s_barrier_signal -1
	s_barrier_wait -1
	ds_load_2addr_b64 v[16:19], v98 offset1:1
	ds_load_2addr_b64 v[20:23], v98 offset0:2 offset1:3
	s_wait_dscnt 0x0
	s_barrier_signal -1
	s_barrier_wait -1
	s_clause 0x3
	global_load_b64 v[74:75], v[12:13], off
	global_load_b64 v[72:73], v[8:9], off
	;; [unrolled: 1-line block ×4, first 2 shown]
	s_wait_xcnt 0x3
	ds_load_b64 v[12:13], v91
	s_wait_xcnt 0x2
	ds_load_b128 v[8:11], v33 offset:128
	v_pk_add_f32 v[16:17], v[16:17], 0 op_sel_hi:[1,0]
	s_delay_alu instid0(VALU_DEP_1) | instskip(NEXT) | instid1(VALU_DEP_1)
	v_pk_add_f32 v[16:17], v[16:17], v[18:19]
	v_pk_add_f32 v[16:17], v[16:17], v[20:21]
	s_delay_alu instid0(VALU_DEP_1)
	v_pk_add_f32 v[122:123], v[16:17], v[22:23]
	s_wait_loadcnt_dscnt 0x301
	s_wait_xcnt 0x1
	v_dual_mul_f32 v14, v13, v75 :: v_dual_mul_f32 v25, v13, v74
	s_wait_loadcnt 0x2
	s_wait_xcnt 0x0
	v_dual_mul_f32 v15, v13, v73 :: v_dual_mul_f32 v27, v13, v72
	s_wait_loadcnt 0x1
	v_dual_mul_f32 v70, v13, v69 :: v_dual_mul_f32 v71, v13, v68
	s_wait_loadcnt 0x0
	v_dual_mul_f32 v76, v13, v67 :: v_dual_mul_f32 v77, v12, v67
	v_dual_fma_f32 v24, v12, v74, -v14 :: v_dual_fmac_f32 v25, v12, v75
	s_delay_alu instid0(VALU_DEP_2) | instskip(SKIP_1) | instid1(VALU_DEP_4)
	v_dual_fma_f32 v26, v12, v72, -v15 :: v_dual_fma_f32 v76, v12, v66, -v76
	v_dual_fmac_f32 v27, v12, v73 :: v_dual_fma_f32 v70, v12, v68, -v70
	v_dual_fmac_f32 v71, v12, v69 :: v_dual_fmac_f32 v77, v13, v66
	ds_load_b128 v[12:15], v33 offset:144
	ds_store_2addr_b64 v97, v[24:25], v[26:27] offset1:67
	ds_store_2addr_b64 v97, v[70:71], v[76:77] offset0:134 offset1:201
	s_wait_dscnt 0x0
	s_barrier_signal -1
	s_barrier_wait -1
	ds_load_2addr_b64 v[24:27], v98 offset1:1
	ds_load_2addr_b64 v[82:85], v98 offset0:2 offset1:3
	s_wait_dscnt 0x0
	s_barrier_signal -1
	s_barrier_wait -1
	s_clause 0x3
	global_load_b64 v[80:81], v[28:29], off
	global_load_b64 v[78:79], v[30:31], off
	;; [unrolled: 1-line block ×4, first 2 shown]
	s_wait_xcnt 0x1
	ds_load_b64 v[86:87], v91
	ds_load_b128 v[28:31], v33 offset:256
	s_wait_xcnt 0x0
	v_add_nc_u64_e32 v[88:89], s[80:81], v[56:57]
	v_pk_add_f32 v[16:17], v[24:25], 0 op_sel_hi:[1,0]
	s_delay_alu instid0(VALU_DEP_1)
	v_pk_add_f32 v[26:27], v[16:17], v[26:27]
	s_wait_loadcnt_dscnt 0x301
	v_dual_mul_f32 v18, v87, v81 :: v_dual_mul_f32 v21, v87, v80
	s_wait_loadcnt 0x2
	v_dual_mul_f32 v19, v87, v79 :: v_dual_mul_f32 v23, v87, v78
	s_wait_loadcnt 0x1
	;; [unrolled: 2-line block ×3, first 2 shown]
	v_dual_fma_f32 v20, v86, v80, -v18 :: v_dual_mul_f32 v18, v87, v71
	v_dual_mul_f32 v111, v86, v71 :: v_dual_fmac_f32 v21, v86, v81
	s_delay_alu instid0(VALU_DEP_3) | instskip(SKIP_1) | instid1(VALU_DEP_3)
	v_dual_fma_f32 v22, v86, v78, -v19 :: v_dual_fma_f32 v24, v86, v76, -v24
	v_dual_fmac_f32 v23, v86, v79 :: v_dual_fmac_f32 v25, v86, v77
	v_dual_fma_f32 v110, v86, v70, -v18 :: v_dual_fmac_f32 v111, v87, v70
	ds_load_b128 v[16:19], v33 offset:272
	ds_store_2addr_b64 v97, v[20:21], v[22:23] offset1:67
	ds_store_2addr_b64 v97, v[24:25], v[110:111] offset0:134 offset1:201
	s_wait_dscnt 0x0
	s_barrier_signal -1
	s_barrier_wait -1
	ds_load_2addr_b64 v[20:23], v98 offset1:1
	ds_load_2addr_b64 v[110:113], v98 offset0:2 offset1:3
	v_add_nc_u64_e32 v[86:87], s[78:79], v[56:57]
	s_wait_dscnt 0x0
	s_barrier_signal -1
	s_barrier_wait -1
	s_clause 0x1
	global_load_b64 v[88:89], v[88:89], off
	global_load_b64 v[86:87], v[86:87], off
	v_pk_add_f32 v[24:25], v[26:27], v[82:83]
	s_delay_alu instid0(VALU_DEP_1) | instskip(SKIP_2) | instid1(VALU_DEP_1)
	v_pk_add_f32 v[124:125], v[24:25], v[84:85]
	v_add_nc_u64_e32 v[24:25], s[74:75], v[56:57]
	v_pk_add_f32 v[20:21], v[20:21], 0 op_sel_hi:[1,0]
	v_pk_add_f32 v[126:127], v[20:21], v[22:23]
	v_add_nc_u64_e32 v[20:21], s[76:77], v[56:57]
	s_clause 0x1
	global_load_b64 v[84:85], v[24:25], off
	global_load_b64 v[82:83], v[20:21], off
	s_wait_xcnt 0x1
	ds_load_b64 v[24:25], v91
	s_wait_xcnt 0x0
	ds_load_b128 v[20:23], v33 offset:384
	v_pk_add_f32 v[110:111], v[126:127], v[110:111]
	s_delay_alu instid0(VALU_DEP_1) | instskip(SKIP_4) | instid1(VALU_DEP_2)
	v_pk_add_f32 v[110:111], v[110:111], v[112:113]
	s_wait_loadcnt_dscnt 0x301
	v_dual_mul_f32 v26, v25, v89 :: v_dual_mul_f32 v27, v25, v88
	s_wait_loadcnt 0x2
	v_dual_mul_f32 v109, v25, v87 :: v_dual_mul_f32 v115, v25, v86
	v_dual_fma_f32 v26, v24, v88, -v26 :: v_dual_fmac_f32 v27, v24, v89
	s_delay_alu instid0(VALU_DEP_2) | instskip(SKIP_4) | instid1(VALU_DEP_2)
	v_dual_fma_f32 v114, v24, v86, -v109 :: v_dual_fmac_f32 v115, v24, v87
	ds_store_2addr_b64 v97, v[26:27], v[114:115] offset1:67
	s_wait_loadcnt 0x0
	v_dual_mul_f32 v27, v25, v84 :: v_dual_mul_f32 v109, v25, v83
	v_dual_mul_f32 v26, v25, v85 :: v_dual_mul_f32 v115, v24, v83
	v_dual_fmac_f32 v27, v24, v85 :: v_dual_fma_f32 v114, v24, v82, -v109
	s_delay_alu instid0(VALU_DEP_2)
	v_dual_fma_f32 v26, v24, v84, -v26 :: v_dual_fmac_f32 v115, v25, v82
	ds_store_2addr_b64 v97, v[26:27], v[114:115] offset0:134 offset1:201
	ds_load_b128 v[24:27], v33 offset:400
	s_wait_dscnt 0x0
	s_barrier_signal -1
	s_barrier_wait -1
	ds_load_2addr_b64 v[114:117], v98 offset1:1
	ds_load_2addr_b64 v[118:121], v98 offset0:2 offset1:3
	s_wait_dscnt 0x0
	s_barrier_signal -1
	s_barrier_wait -1
	v_pk_add_f32 v[114:115], v[114:115], 0 op_sel_hi:[1,0]
	s_delay_alu instid0(VALU_DEP_1) | instskip(NEXT) | instid1(VALU_DEP_1)
	v_pk_add_f32 v[114:115], v[114:115], v[116:117]
	v_pk_add_f32 v[112:113], v[114:115], v[118:119]
	s_delay_alu instid0(VALU_DEP_1)
	v_pk_add_f32 v[112:113], v[112:113], v[120:121]
	ds_store_2addr_b64 v107, v[122:123], v[124:125] offset1:16
	ds_store_2addr_b64 v107, v[110:111], v[112:113] offset0:32 offset1:48
	s_wait_dscnt 0x0
	s_barrier_signal -1
	s_barrier_wait -1
	s_and_saveexec_b32 s99, s18
	s_cbranch_execz .LBB119_69
; %bb.73:                               ;   in Loop: Header=BB119_70 Depth=2
	ds_load_b64 v[122:123], v99
	ds_load_2addr_b64 v[110:113], v99 offset0:1 offset1:2
	ds_load_2addr_b64 v[114:117], v99 offset0:3 offset1:4
	;; [unrolled: 1-line block ×3, first 2 shown]
	s_wait_dscnt 0x2
	v_dual_add_f32 v109, v110, v122 :: v_dual_add_f32 v110, v111, v123
	s_delay_alu instid0(VALU_DEP_1) | instskip(SKIP_3) | instid1(VALU_DEP_1)
	v_dual_add_f32 v109, v112, v109 :: v_dual_add_f32 v122, v113, v110
	ds_load_2addr_b64 v[110:113], v99 offset0:7 offset1:8
	s_wait_dscnt 0x2
	v_dual_add_f32 v109, v109, v114 :: v_dual_add_f32 v114, v122, v115
	v_dual_add_f32 v122, v109, v116 :: v_dual_add_f32 v123, v114, v117
	ds_load_2addr_b64 v[114:117], v99 offset0:9 offset1:10
	s_wait_dscnt 0x2
	v_pk_add_f32 v[118:119], v[122:123], v[118:119]
	s_delay_alu instid0(VALU_DEP_1) | instskip(SKIP_3) | instid1(VALU_DEP_1)
	v_pk_add_f32 v[122:123], v[118:119], v[120:121]
	ds_load_2addr_b64 v[118:121], v99 offset0:11 offset1:12
	s_wait_dscnt 0x2
	v_pk_add_f32 v[110:111], v[122:123], v[110:111]
	v_pk_add_f32 v[110:111], v[110:111], v[112:113]
	s_wait_dscnt 0x1
	s_delay_alu instid0(VALU_DEP_1)
	v_pk_add_f32 v[114:115], v[110:111], v[114:115]
	ds_load_2addr_b64 v[110:113], v99 offset0:13 offset1:14
	v_pk_add_f32 v[114:115], v[114:115], v[116:117]
	ds_load_b64 v[116:117], v100
	s_wait_dscnt 0x2
	v_pk_add_f32 v[114:115], v[114:115], v[118:119]
	s_delay_alu instid0(VALU_DEP_1) | instskip(SKIP_1) | instid1(VALU_DEP_1)
	v_pk_add_f32 v[114:115], v[114:115], v[120:121]
	s_wait_dscnt 0x1
	v_pk_add_f32 v[110:111], v[114:115], v[110:111]
	s_delay_alu instid0(VALU_DEP_1) | instskip(SKIP_1) | instid1(VALU_DEP_1)
	v_pk_add_f32 v[110:111], v[110:111], v[112:113]
	s_wait_dscnt 0x0
	v_pk_add_f32 v[110:111], v[110:111], v[116:117]
	global_store_b64 v108, v[110:111], s[20:21] scale_offset
	s_branch .LBB119_69
.LBB119_74:                             ;   in Loop: Header=BB119_4 Depth=1
	ds_store_b64 v101, v[52:53]
	s_wait_dscnt 0x0
	s_barrier_signal -1
	s_barrier_wait -1
	s_and_saveexec_b32 s19, s104
	s_cbranch_execz .LBB119_2
; %bb.75:                               ;   in Loop: Header=BB119_4 Depth=1
	ds_load_2addr_b64 v[0:3], v90 offset1:67
	ds_load_2addr_b64 v[4:7], v90 offset0:134 offset1:201
	s_wait_dscnt 0x1
	v_pk_add_f32 v[0:1], v[2:3], v[0:1]
	v_lshl_add_u64 v[2:3], v[36:37], 3, s[20:21]
	s_wait_dscnt 0x0
	s_delay_alu instid0(VALU_DEP_2) | instskip(NEXT) | instid1(VALU_DEP_1)
	v_pk_add_f32 v[0:1], v[4:5], v[0:1]
	v_pk_add_f32 v[0:1], v[0:1], v[6:7]
	global_store_b64 v[2:3], v[0:1], off
	s_branch .LBB119_2
.LBB119_76:                             ;   in Loop: Header=BB119_4 Depth=1
	ds_load_b64 v[2:3], v104
	s_wait_dscnt 0x0
	ds_store_b64 v93, v[2:3]
	s_or_b32 exec_lo, exec_lo, s19
	s_and_saveexec_b32 s19, s8
	s_cbranch_execz .LBB119_27
.LBB119_77:                             ;   in Loop: Header=BB119_4 Depth=1
	ds_load_b64 v[2:3], v105
	s_wait_dscnt 0x0
	ds_store_b64 v93, v[2:3] offset:8
	s_or_b32 exec_lo, exec_lo, s19
	s_and_saveexec_b32 s19, s9
	s_cbranch_execz .LBB119_28
.LBB119_78:                             ;   in Loop: Header=BB119_4 Depth=1
	ds_load_b64 v[2:3], v105 offset:264
	s_wait_dscnt 0x0
	ds_store_b64 v93, v[2:3] offset:16
	s_or_b32 exec_lo, exec_lo, s19
	s_and_saveexec_b32 s19, s10
	s_cbranch_execnz .LBB119_29
	s_branch .LBB119_30
.LBB119_79:                             ;   in Loop: Header=BB119_4 Depth=1
	ds_load_b64 v[2:3], v104
	s_wait_dscnt 0x0
	ds_store_b64 v93, v[2:3]
	s_or_b32 exec_lo, exec_lo, s19
	s_and_saveexec_b32 s19, s8
	s_cbranch_execz .LBB119_46
.LBB119_80:                             ;   in Loop: Header=BB119_4 Depth=1
	ds_load_b64 v[2:3], v105
	s_wait_dscnt 0x0
	ds_store_b64 v93, v[2:3] offset:8
	s_or_b32 exec_lo, exec_lo, s19
	s_and_saveexec_b32 s19, s9
	s_cbranch_execz .LBB119_47
.LBB119_81:                             ;   in Loop: Header=BB119_4 Depth=1
	ds_load_b64 v[2:3], v105 offset:264
	s_wait_dscnt 0x0
	ds_store_b64 v93, v[2:3] offset:16
	s_or_b32 exec_lo, exec_lo, s19
	s_and_saveexec_b32 s19, s10
	s_cbranch_execnz .LBB119_48
	s_branch .LBB119_49
.LBB119_82:
	s_sendmsg sendmsg(MSG_DEALLOC_VGPRS)
	s_endpgm
	.section	.rodata,"a",@progbits
	.p2align	6, 0x0
	.amdhsa_kernel _ZL26rocblas_hemvn_kernel_lowerILb0ELi64ELi4ELi33ELi32ELi16EiPK19rocblas_complex_numIfES3_PS1_EviT6_lT7_lT5_lS6_lS7_lS5_lT8_i
		.amdhsa_group_segment_fixed_size 9600
		.amdhsa_private_segment_fixed_size 0
		.amdhsa_kernarg_size 376
		.amdhsa_user_sgpr_count 2
		.amdhsa_user_sgpr_dispatch_ptr 0
		.amdhsa_user_sgpr_queue_ptr 0
		.amdhsa_user_sgpr_kernarg_segment_ptr 1
		.amdhsa_user_sgpr_dispatch_id 0
		.amdhsa_user_sgpr_kernarg_preload_length 0
		.amdhsa_user_sgpr_kernarg_preload_offset 0
		.amdhsa_user_sgpr_private_segment_size 0
		.amdhsa_wavefront_size32 1
		.amdhsa_uses_dynamic_stack 0
		.amdhsa_enable_private_segment 0
		.amdhsa_system_sgpr_workgroup_id_x 1
		.amdhsa_system_sgpr_workgroup_id_y 0
		.amdhsa_system_sgpr_workgroup_id_z 1
		.amdhsa_system_sgpr_workgroup_info 0
		.amdhsa_system_vgpr_workitem_id 1
		.amdhsa_next_free_vgpr 128
		.amdhsa_next_free_sgpr 105
		.amdhsa_named_barrier_count 0
		.amdhsa_reserve_vcc 1
		.amdhsa_float_round_mode_32 0
		.amdhsa_float_round_mode_16_64 0
		.amdhsa_float_denorm_mode_32 3
		.amdhsa_float_denorm_mode_16_64 3
		.amdhsa_fp16_overflow 0
		.amdhsa_memory_ordered 1
		.amdhsa_forward_progress 1
		.amdhsa_inst_pref_size 58
		.amdhsa_round_robin_scheduling 0
		.amdhsa_exception_fp_ieee_invalid_op 0
		.amdhsa_exception_fp_denorm_src 0
		.amdhsa_exception_fp_ieee_div_zero 0
		.amdhsa_exception_fp_ieee_overflow 0
		.amdhsa_exception_fp_ieee_underflow 0
		.amdhsa_exception_fp_ieee_inexact 0
		.amdhsa_exception_int_div_zero 0
	.end_amdhsa_kernel
	.section	.text._ZL26rocblas_hemvn_kernel_lowerILb0ELi64ELi4ELi33ELi32ELi16EiPK19rocblas_complex_numIfES3_PS1_EviT6_lT7_lT5_lS6_lS7_lS5_lT8_i,"axG",@progbits,_ZL26rocblas_hemvn_kernel_lowerILb0ELi64ELi4ELi33ELi32ELi16EiPK19rocblas_complex_numIfES3_PS1_EviT6_lT7_lT5_lS6_lS7_lS5_lT8_i,comdat
.Lfunc_end119:
	.size	_ZL26rocblas_hemvn_kernel_lowerILb0ELi64ELi4ELi33ELi32ELi16EiPK19rocblas_complex_numIfES3_PS1_EviT6_lT7_lT5_lS6_lS7_lS5_lT8_i, .Lfunc_end119-_ZL26rocblas_hemvn_kernel_lowerILb0ELi64ELi4ELi33ELi32ELi16EiPK19rocblas_complex_numIfES3_PS1_EviT6_lT7_lT5_lS6_lS7_lS5_lT8_i
                                        ; -- End function
	.set _ZL26rocblas_hemvn_kernel_lowerILb0ELi64ELi4ELi33ELi32ELi16EiPK19rocblas_complex_numIfES3_PS1_EviT6_lT7_lT5_lS6_lS7_lS5_lT8_i.num_vgpr, 128
	.set _ZL26rocblas_hemvn_kernel_lowerILb0ELi64ELi4ELi33ELi32ELi16EiPK19rocblas_complex_numIfES3_PS1_EviT6_lT7_lT5_lS6_lS7_lS5_lT8_i.num_agpr, 0
	.set _ZL26rocblas_hemvn_kernel_lowerILb0ELi64ELi4ELi33ELi32ELi16EiPK19rocblas_complex_numIfES3_PS1_EviT6_lT7_lT5_lS6_lS7_lS5_lT8_i.numbered_sgpr, 105
	.set _ZL26rocblas_hemvn_kernel_lowerILb0ELi64ELi4ELi33ELi32ELi16EiPK19rocblas_complex_numIfES3_PS1_EviT6_lT7_lT5_lS6_lS7_lS5_lT8_i.num_named_barrier, 0
	.set _ZL26rocblas_hemvn_kernel_lowerILb0ELi64ELi4ELi33ELi32ELi16EiPK19rocblas_complex_numIfES3_PS1_EviT6_lT7_lT5_lS6_lS7_lS5_lT8_i.private_seg_size, 0
	.set _ZL26rocblas_hemvn_kernel_lowerILb0ELi64ELi4ELi33ELi32ELi16EiPK19rocblas_complex_numIfES3_PS1_EviT6_lT7_lT5_lS6_lS7_lS5_lT8_i.uses_vcc, 1
	.set _ZL26rocblas_hemvn_kernel_lowerILb0ELi64ELi4ELi33ELi32ELi16EiPK19rocblas_complex_numIfES3_PS1_EviT6_lT7_lT5_lS6_lS7_lS5_lT8_i.uses_flat_scratch, 0
	.set _ZL26rocblas_hemvn_kernel_lowerILb0ELi64ELi4ELi33ELi32ELi16EiPK19rocblas_complex_numIfES3_PS1_EviT6_lT7_lT5_lS6_lS7_lS5_lT8_i.has_dyn_sized_stack, 0
	.set _ZL26rocblas_hemvn_kernel_lowerILb0ELi64ELi4ELi33ELi32ELi16EiPK19rocblas_complex_numIfES3_PS1_EviT6_lT7_lT5_lS6_lS7_lS5_lT8_i.has_recursion, 0
	.set _ZL26rocblas_hemvn_kernel_lowerILb0ELi64ELi4ELi33ELi32ELi16EiPK19rocblas_complex_numIfES3_PS1_EviT6_lT7_lT5_lS6_lS7_lS5_lT8_i.has_indirect_call, 0
	.section	.AMDGPU.csdata,"",@progbits
; Kernel info:
; codeLenInByte = 7328
; TotalNumSgprs: 107
; NumVgprs: 128
; ScratchSize: 0
; MemoryBound: 1
; FloatMode: 240
; IeeeMode: 1
; LDSByteSize: 9600 bytes/workgroup (compile time only)
; SGPRBlocks: 0
; VGPRBlocks: 7
; NumSGPRsForWavesPerEU: 107
; NumVGPRsForWavesPerEU: 128
; NamedBarCnt: 0
; Occupancy: 8
; WaveLimiterHint : 0
; COMPUTE_PGM_RSRC2:SCRATCH_EN: 0
; COMPUTE_PGM_RSRC2:USER_SGPR: 2
; COMPUTE_PGM_RSRC2:TRAP_HANDLER: 0
; COMPUTE_PGM_RSRC2:TGID_X_EN: 1
; COMPUTE_PGM_RSRC2:TGID_Y_EN: 0
; COMPUTE_PGM_RSRC2:TGID_Z_EN: 1
; COMPUTE_PGM_RSRC2:TIDIG_COMP_CNT: 1
	.section	.text._ZL26rocblas_hemvn_kernel_lowerILb0ELi64ELi4ELi33ELi32ELi16El19rocblas_complex_numIfEPKS1_PS1_EviT6_lT7_lT5_lS6_lS7_lS5_lT8_i,"axG",@progbits,_ZL26rocblas_hemvn_kernel_lowerILb0ELi64ELi4ELi33ELi32ELi16El19rocblas_complex_numIfEPKS1_PS1_EviT6_lT7_lT5_lS6_lS7_lS5_lT8_i,comdat
	.globl	_ZL26rocblas_hemvn_kernel_lowerILb0ELi64ELi4ELi33ELi32ELi16El19rocblas_complex_numIfEPKS1_PS1_EviT6_lT7_lT5_lS6_lS7_lS5_lT8_i ; -- Begin function _ZL26rocblas_hemvn_kernel_lowerILb0ELi64ELi4ELi33ELi32ELi16El19rocblas_complex_numIfEPKS1_PS1_EviT6_lT7_lT5_lS6_lS7_lS5_lT8_i
	.p2align	8
	.type	_ZL26rocblas_hemvn_kernel_lowerILb0ELi64ELi4ELi33ELi32ELi16El19rocblas_complex_numIfEPKS1_PS1_EviT6_lT7_lT5_lS6_lS7_lS5_lT8_i,@function
_ZL26rocblas_hemvn_kernel_lowerILb0ELi64ELi4ELi33ELi32ELi16El19rocblas_complex_numIfEPKS1_PS1_EviT6_lT7_lT5_lS6_lS7_lS5_lT8_i: ; @_ZL26rocblas_hemvn_kernel_lowerILb0ELi64ELi4ELi33ELi32ELi16El19rocblas_complex_numIfEPKS1_PS1_EviT6_lT7_lT5_lS6_lS7_lS5_lT8_i
; %bb.0:
	s_clause 0x1
	s_load_b64 s[2:3], s[0:1], 0x84
	s_load_b32 s33, s[0:1], 0x70
	s_bfe_u32 s4, ttmp6, 0x40014
	s_lshr_b32 s5, ttmp7, 16
	s_add_co_i32 s4, s4, 1
	s_bfe_u32 s6, ttmp6, 0x40008
	s_mul_i32 s7, s5, s4
	s_getreg_b32 s4, hwreg(HW_REG_IB_STS2, 6, 4)
	s_add_co_i32 s6, s6, s7
	s_mov_b32 s37, 0
	s_wait_kmcnt 0x0
	s_lshr_b32 s7, s2, 16
	s_and_b32 s2, s2, 0xffff
	s_and_b32 s3, s3, 0xffff
	s_mul_i32 s2, s7, s2
	s_cmp_eq_u32 s4, 0
	s_mul_i32 s2, s2, s3
	s_cselect_b32 s34, s5, s6
	s_cmp_lg_u32 s2, 0x100
	s_cselect_b32 s2, -1, 0
	s_cmp_ge_u32 s34, s33
	s_cselect_b32 s3, -1, 0
	s_delay_alu instid0(SALU_CYCLE_1) | instskip(NEXT) | instid1(SALU_CYCLE_1)
	s_or_b32 s2, s2, s3
	s_and_b32 vcc_lo, exec_lo, s2
	s_cbranch_vccnz .LBB120_80
; %bb.1:
	s_clause 0x4
	s_load_b32 s2, s[0:1], 0x0
	s_load_b64 s[8:9], s[0:1], 0x4
	s_load_b512 s[16:31], s[0:1], 0x18
	s_load_b64 s[6:7], s[0:1], 0x68
	s_load_b64 s[12:13], s[0:1], 0x58
	s_bfe_u32 s5, ttmp6, 0x4000c
	s_add_nc_u64 s[10:11], s[0:1], 0x78
	s_add_co_i32 s5, s5, 1
	s_and_b32 s3, ttmp6, 15
	s_wait_xcnt 0x0
	s_mul_i32 s0, ttmp9, s5
	v_and_b32_e32 v32, 0x3ff, v0
	s_add_co_i32 s0, s3, s0
	v_bfe_u32 v1, v0, 10, 10
	s_load_b32 s36, s[10:11], 0x0
	v_dual_mov_b32 v35, 0 :: v_dual_bitop2_b32 v34, 31, v0 bitop3:0x40
	v_lshlrev_b32_e32 v33, 3, v32
	s_delay_alu instid0(VALU_DEP_3) | instskip(SKIP_1) | instid1(VALU_DEP_4)
	v_lshl_add_u32 v8, v1, 6, v32
	v_mov_b64_e32 v[48:49], 0
	v_lshlrev_b32_e32 v9, 3, v34
	v_sub_nc_u64_e32 v[36:37], 0, v[34:35]
	s_wait_kmcnt 0x0
	s_ashr_i32 s3, s2, 31
	s_cmp_eq_u32 s4, 0
	v_add_nc_u32_e32 v88, 0x2380, v33
	s_cselect_b32 s90, ttmp9, s0
	s_or_b32 s0, s8, s9
	s_lshl_b64 s[4:5], s[26:27], 3
	s_bitset0_b32 s0, 31
	s_lshl_b64 s[8:9], s[18:19], 3
	s_cmp_lg_u32 s0, 0
	s_add_nc_u64 s[10:11], s[24:25], s[4:5]
	s_cselect_b32 s35, -1, 0
	s_cmp_neq_f32 s12, 1.0
	s_mul_u64 s[38:39], s[36:37], s[2:3]
	v_lshl_or_b32 v89, v34, 8, v9
	s_add_nc_u64 s[4:5], s[16:17], s[8:9]
	s_cselect_b32 s54, -1, 0
	s_cmp_neq_f32 s13, 0
	s_mul_i32 s8, s2, s90
	v_cmp_eq_u32_e64 s0, 0, v1
	v_add_nc_u32_e32 v94, 0x2180, v33
	s_cselect_b32 s55, -1, 0
	s_lshl_b32 s50, s90, 6
	s_lshr_b32 s1, s3, 26
	v_add_nc_u32_e32 v38, s50, v32
	v_lshrrev_b32_e32 v10, 5, v8
	s_add_co_i32 s1, s2, s1
	s_add_co_i32 s3, s36, -1
	s_and_not1_b32 s1, s1, 63
	v_ashrrev_i32_e32 v39, 31, v38
	v_add_nc_u32_e32 v12, 8, v10
	v_mad_nc_u64_u32 v[2:3], s20, v10, v[34:35]
	s_sub_co_i32 s1, s2, s1
	s_cmp_eq_u32 s90, s3
	v_mul_u64_e32 v[4:5], s[28:29], v[38:39]
	s_cselect_b32 s24, s1, 0
	v_mul_u32_u24_e32 v11, 0x108, v10
	s_cmp_eq_u32 s24, 0
	v_cmp_le_i32_e32 vcc_lo, s24, v32
	s_cselect_b32 s19, -1, 0
	s_cmp_lg_u32 s24, 0
	v_cmp_gt_i32_e64 s3, s24, v12
	v_mad_u32 v3, s21, v10, v3
	s_cselect_b32 s14, -1, 0
	s_ashr_i32 s51, s50, 31
	s_ashr_i32 s9, s8, 31
	s_lshl_b64 s[12:13], s[50:51], 3
	s_lshl_b64 s[8:9], s[8:9], 3
	s_add_nc_u64 s[4:5], s[4:5], s[12:13]
	s_sub_co_i32 s16, s24, 32
	s_add_nc_u64 s[44:45], s[6:7], s[8:9]
	v_add_nc_u32_e32 v103, v9, v11
	s_mul_u64 s[52:53], s[20:21], s[50:51]
	v_lshl_add_u64 v[6:7], v[2:3], 3, s[4:5]
	s_and_b32 s4, s14, vcc_lo
	v_cmp_gt_i32_e64 s14, s16, v12
	v_and_b32_e32 v12, 15, v0
	v_and_b32_e32 v0, 48, v0
	v_lshl_add_u64 v[40:41], s[52:53], 3, v[6:7]
	v_dual_add_nc_u32 v13, 16, v10 :: v_dual_add_nc_u32 v14, 24, v10
	v_cmp_gt_i32_e64 s2, s24, v10
	v_mul_u32_u24_e32 v6, 0x420, v10
	v_cmp_gt_i32_e64 s13, s16, v10
	v_cmp_eq_u32_e64 s17, 1, v10
	v_sub_nc_u64_e32 v[44:45], 0, v[2:3]
	v_lshl_add_u64 v[42:43], v[4:5], 3, s[10:11]
	v_and_b32_e32 v4, 0x7fe0, v8
	v_dual_lshlrev_b32 v15, 2, v10 :: v_dual_lshlrev_b32 v17, 3, v10
	v_lshlrev_b32_e32 v0, 3, v0
	v_or_b32_e32 v3, 0x78, v33
	s_delay_alu instid0(VALU_DEP_3)
	v_dual_add_nc_u32 v90, v89, v4 :: v_dual_bitop2_b32 v5, 1, v15 bitop3:0x54
	v_add_nc_u32_e32 v91, 0x2380, v4
	v_or_b32_e32 v4, 32, v34
	v_or_b32_e32 v7, 2, v15
	v_cmp_lt_u32_e64 s7, v15, v34
	v_cmp_lt_u32_e64 s8, v5, v34
	v_mul_u32_u24_e32 v16, 0x108, v5
	v_mul_u32_u24_e32 v5, 33, v34
	v_cmp_gt_i32_e64 s12, s24, v4
	v_dual_lshlrev_b32 v4, 2, v1 :: v_dual_bitop2_b32 v15, 3, v15 bitop3:0x54
	v_cmp_lt_u32_e64 s9, v7, v34
	s_delay_alu instid0(VALU_DEP_4)
	v_lshl_add_u32 v92, v5, 3, v17
	v_mov_b32_e32 v5, v35
	v_mul_i32_i24_e32 v7, 0xffffffe8, v10
	s_lshl_b64 s[40:41], s[20:21], 6
	s_lshl_b64 s[42:43], s[20:21], 7
	v_mad_u32_u24 v93, v10, 24, v92
	v_mul_u64_e32 v[46:47], s[20:21], v[4:5]
	v_lshrrev_b32_e32 v10, 4, v8
	s_ashr_i32 s25, s24, 31
	s_lshl_b64 s[46:47], s[20:21], 5
	s_xor_b32 s36, s4, -1
	s_cmp_gt_i32 s90, 0
	v_lshlrev_b32_e32 v2, 5, v10
	v_cmp_gt_i32_e64 s1, s24, v34
	v_cmp_gt_i32_e64 s5, s24, v13
	;; [unrolled: 1-line block ×3, first 2 shown]
	v_cmp_lt_u32_e64 s10, v15, v34
	v_mad_u32_u24 v97, 0x218, v12, v2
	v_mul_i32_i24_e32 v2, 0xffffffe8, v10
	v_cmp_gt_u32_e64 s11, 32, v8
	v_cmp_gt_i32_e64 s15, s16, v13
	v_cmp_gt_i32_e64 s16, s16, v14
	v_lshl_add_u32 v95, v1, 5, 0x2180
	v_mad_u32_u24 v96, 0x860, v1, v33
	v_cmp_gt_u32_e64 s18, 64, v8
	v_mad_u32_u24 v98, 0x218, v12, v0
	v_mad_u32_u24 v99, 0x218, v12, v3
	;; [unrolled: 1-line block ×3, first 2 shown]
	v_add_nc_u32_e32 v101, 0x2380, v17
	v_cndmask_b32_e64 v102, 0, 1, s35
	v_dual_add_nc_u32 v104, v9, v6 :: v_dual_add_nc_u32 v105, v9, v16
	v_dual_add_nc_u32 v106, v91, v7 :: v_dual_add_nc_u32 v107, v97, v2
	v_lshlrev_b32_e32 v34, 3, v34
	s_mul_u64 s[50:51], s[28:29], s[50:51]
	s_cselect_b32 s91, -1, 0
	s_and_b32 s92, s0, s36
	s_or_b32 s36, s54, s55
	s_mul_u64 s[26:27], s[20:21], 0xc0
	s_sub_nc_u64 s[48:49], 0, s[46:47]
	s_sub_nc_u64 s[50:51], 0, s[50:51]
	;; [unrolled: 1-line block ×4, first 2 shown]
	s_lshl_b64 s[56:57], s[20:21], 3
	s_lshl_b64 s[58:59], s[20:21], 9
	;; [unrolled: 1-line block ×3, first 2 shown]
	s_mul_u64 s[62:63], s[20:21], 24
	s_mul_u64 s[64:65], s[20:21], 0x90
	;; [unrolled: 1-line block ×9, first 2 shown]
	s_or_b32 s93, s36, s35
	s_mov_b64 s[80:81], 0xfffffffffffffef8
	s_mov_b64 s[82:83], 0xffffffffffffff00
	s_mul_u64 s[84:85], s[20:21], 0x108
	s_lshl_b64 s[86:87], s[20:21], 8
	s_mul_u64 s[20:21], s[20:21], 0x88
	s_branch .LBB120_4
.LBB120_2:                              ;   in Loop: Header=BB120_4 Depth=1
	s_wait_xcnt 0x0
	s_or_b32 exec_lo, exec_lo, s35
.LBB120_3:                              ;   in Loop: Header=BB120_4 Depth=1
	s_add_co_i32 s34, s34, 0x10000
	s_delay_alu instid0(SALU_CYCLE_1)
	s_cmp_lt_u32 s34, s33
	s_cbranch_scc0 .LBB120_80
.LBB120_4:                              ; =>This Loop Header: Depth=1
                                        ;     Child Loop BB120_68 Depth 2
	s_and_not1_b32 vcc_lo, exec_lo, s93
	s_cbranch_vccnz .LBB120_3
; %bb.5:                                ;   in Loop: Header=BB120_4 Depth=1
	v_cmp_ne_u32_e32 vcc_lo, 1, v102
	s_cbranch_vccnz .LBB120_3
; %bb.6:                                ;   in Loop: Header=BB120_4 Depth=1
	s_mov_b32 s35, s37
	s_delay_alu instid0(SALU_CYCLE_1) | instskip(NEXT) | instid1(SALU_CYCLE_1)
	s_mul_u64 s[88:89], s[30:31], s[34:35]
	v_lshl_add_u64 v[16:17], s[88:89], 3, v[42:43]
	s_and_saveexec_b32 s36, s0
	s_cbranch_execz .LBB120_11
; %bb.7:                                ;   in Loop: Header=BB120_4 Depth=1
	s_and_saveexec_b32 s88, s4
	s_delay_alu instid0(SALU_CYCLE_1)
	s_xor_b32 s88, exec_lo, s88
; %bb.8:                                ;   in Loop: Header=BB120_4 Depth=1
	ds_store_b64 v88, v[48:49]
; %bb.9:                                ;   in Loop: Header=BB120_4 Depth=1
	s_and_not1_saveexec_b32 s88, s88
	s_cbranch_execz .LBB120_11
; %bb.10:                               ;   in Loop: Header=BB120_4 Depth=1
	global_load_b64 v[0:1], v[16:17], off
	s_wait_loadcnt 0x0
	ds_store_b64 v88, v[0:1]
.LBB120_11:                             ;   in Loop: Header=BB120_4 Depth=1
	s_wait_xcnt 0x0
	s_or_b32 exec_lo, exec_lo, s36
	s_mul_u64 s[88:89], s[22:23], s[34:35]
	s_and_not1_b32 vcc_lo, exec_lo, s19
	v_lshl_add_u64 v[0:1], s[88:89], 3, v[40:41]
	s_mov_b32 s36, -1
	s_cbranch_vccnz .LBB120_13
; %bb.12:                               ;   in Loop: Header=BB120_4 Depth=1
	s_delay_alu instid0(VALU_DEP_1) | instskip(SKIP_1) | instid1(VALU_DEP_1)
	v_add_nc_u64_e32 v[2:3], s[40:41], v[0:1]
	s_mov_b32 s36, 0
	v_add_nc_u64_e32 v[4:5], s[40:41], v[2:3]
	s_delay_alu instid0(VALU_DEP_1)
	v_add_nc_u64_e32 v[6:7], s[40:41], v[4:5]
	s_clause 0x3
	global_load_b64 v[8:9], v[0:1], off
	global_load_b64 v[2:3], v[2:3], off
	;; [unrolled: 1-line block ×4, first 2 shown]
	s_wait_loadcnt 0x3
	ds_store_b64 v103, v[8:9]
	s_wait_loadcnt 0x2
	ds_store_b64 v103, v[2:3] offset:2112
	s_wait_loadcnt 0x1
	ds_store_b64 v103, v[4:5] offset:4224
	;; [unrolled: 2-line block ×3, first 2 shown]
.LBB120_13:                             ;   in Loop: Header=BB120_4 Depth=1
	s_and_not1_b32 vcc_lo, exec_lo, s36
	s_cbranch_vccnz .LBB120_23
; %bb.14:                               ;   in Loop: Header=BB120_4 Depth=1
	s_wait_xcnt 0x2
	v_lshl_add_u64 v[2:3], v[36:37], 3, v[0:1]
	s_wait_xcnt 0x0
	v_dual_mov_b32 v6, 0 :: v_dual_mov_b32 v4, 0
	v_mov_b32_e32 v5, 0
	s_delay_alu instid0(VALU_DEP_3) | instskip(NEXT) | instid1(VALU_DEP_1)
	v_lshl_add_u64 v[2:3], s[24:25], 3, v[2:3]
	v_add_nc_u64_e32 v[2:3], -8, v[2:3]
	s_delay_alu instid0(VALU_DEP_1)
	v_dual_cndmask_b32 v3, v3, v1, s1 :: v_dual_cndmask_b32 v2, v2, v0, s1
	s_and_saveexec_b32 s36, s2
	s_cbranch_execz .LBB120_16
; %bb.15:                               ;   in Loop: Header=BB120_4 Depth=1
	global_load_b64 v[4:5], v[2:3], off
.LBB120_16:                             ;   in Loop: Header=BB120_4 Depth=1
	s_wait_xcnt 0x0
	s_or_b32 exec_lo, exec_lo, s36
	v_mov_b32_e32 v7, 0
	s_wait_loadcnt 0x0
	ds_store_b64 v103, v[4:5]
	s_and_saveexec_b32 s36, s3
	s_cbranch_execz .LBB120_18
; %bb.17:                               ;   in Loop: Header=BB120_4 Depth=1
	v_add_nc_u64_e32 v[4:5], s[40:41], v[2:3]
	global_load_b64 v[6:7], v[4:5], off
.LBB120_18:                             ;   in Loop: Header=BB120_4 Depth=1
	s_wait_xcnt 0x0
	s_or_b32 exec_lo, exec_lo, s36
	v_dual_mov_b32 v4, 0 :: v_dual_mov_b32 v8, 0
	v_mov_b32_e32 v9, 0
	s_wait_loadcnt 0x0
	ds_store_b64 v103, v[6:7] offset:2112
	s_and_saveexec_b32 s36, s5
	s_cbranch_execz .LBB120_20
; %bb.19:                               ;   in Loop: Header=BB120_4 Depth=1
	v_add_nc_u64_e32 v[6:7], s[42:43], v[2:3]
	global_load_b64 v[8:9], v[6:7], off
.LBB120_20:                             ;   in Loop: Header=BB120_4 Depth=1
	s_wait_xcnt 0x0
	s_or_b32 exec_lo, exec_lo, s36
	v_mov_b32_e32 v5, 0
	s_wait_loadcnt 0x0
	ds_store_b64 v103, v[8:9] offset:4224
	s_and_saveexec_b32 s36, s6
	s_cbranch_execz .LBB120_22
; %bb.21:                               ;   in Loop: Header=BB120_4 Depth=1
	v_add_nc_u64_e32 v[4:5], s[26:27], v[2:3]
	global_load_b64 v[4:5], v[4:5], off
.LBB120_22:                             ;   in Loop: Header=BB120_4 Depth=1
	s_wait_xcnt 0x0
	s_or_b32 exec_lo, exec_lo, s36
	v_add_nc_u64_e32 v[2:3], v[2:3], v[34:35]
	s_wait_loadcnt 0x0
	ds_store_b64 v103, v[4:5] offset:6336
	v_lshl_add_u64 v[2:3], s[54:55], 3, v[2:3]
	s_delay_alu instid0(VALU_DEP_1) | instskip(NEXT) | instid1(VALU_DEP_1)
	v_add_nc_u64_e32 v[2:3], 8, v[2:3]
	v_dual_cndmask_b32 v1, v3, v1, s1 :: v_dual_cndmask_b32 v0, v2, v0, s1
.LBB120_23:                             ;   in Loop: Header=BB120_4 Depth=1
	s_wait_dscnt 0x0
	s_barrier_signal -1
	s_barrier_wait -1
	s_wait_xcnt 0x0
	s_and_saveexec_b32 s36, s7
	s_cbranch_execnz .LBB120_74
; %bb.24:                               ;   in Loop: Header=BB120_4 Depth=1
	s_or_b32 exec_lo, exec_lo, s36
	s_and_saveexec_b32 s36, s8
	s_cbranch_execnz .LBB120_75
.LBB120_25:                             ;   in Loop: Header=BB120_4 Depth=1
	s_or_b32 exec_lo, exec_lo, s36
	s_and_saveexec_b32 s36, s9
	s_cbranch_execnz .LBB120_76
.LBB120_26:                             ;   in Loop: Header=BB120_4 Depth=1
	s_or_b32 exec_lo, exec_lo, s36
	s_and_saveexec_b32 s36, s10
	s_cbranch_execz .LBB120_28
.LBB120_27:                             ;   in Loop: Header=BB120_4 Depth=1
	ds_load_b64 v[2:3], v105 offset:528
	s_wait_dscnt 0x0
	ds_store_b64 v90, v[2:3] offset:24
.LBB120_28:                             ;   in Loop: Header=BB120_4 Depth=1
	s_or_b32 exec_lo, exec_lo, s36
	s_wait_dscnt 0x0
	s_barrier_signal -1
	s_barrier_wait -1
	ds_load_b64 v[14:15], v104
	ds_load_b128 v[2:5], v91
	ds_load_2addr_b64 v[6:9], v105 offset1:33
	ds_load_b128 v[10:13], v91 offset:16
	ds_load_b64 v[18:19], v105 offset:528
	v_mov_b64_e32 v[50:51], 0
	s_wait_dscnt 0x0
	s_barrier_signal -1
	s_barrier_wait -1
	v_pk_mul_f32 v[20:21], v[2:3], v[14:15] op_sel:[1,1] op_sel_hi:[0,1]
	v_dual_mov_b32 v22, v5 :: v_dual_mov_b32 v23, v4
	v_pk_mul_f32 v[24:25], v[10:11], v[8:9] op_sel:[1,1] op_sel_hi:[0,1]
	v_dual_mov_b32 v28, v13 :: v_dual_mov_b32 v29, v12
	s_delay_alu instid0(VALU_DEP_4) | instskip(NEXT) | instid1(VALU_DEP_4)
	v_pk_fma_f32 v[26:27], v[2:3], v[14:15], v[20:21] op_sel_hi:[1,0,1]
	v_pk_mul_f32 v[22:23], v[22:23], v[6:7] op_sel:[0,1]
	v_pk_fma_f32 v[2:3], v[2:3], v[14:15], v[20:21] neg_lo:[0,0,1] neg_hi:[0,0,1]
	v_pk_fma_f32 v[20:21], v[10:11], v[8:9], v[24:25] op_sel_hi:[1,0,1]
	s_delay_alu instid0(VALU_DEP_3)
	v_pk_fma_f32 v[14:15], v[4:5], v[6:7], v[22:23] op_sel_hi:[1,0,1]
	v_mov_b32_e32 v3, v27
	v_pk_fma_f32 v[4:5], v[4:5], v[6:7], v[22:23] neg_lo:[0,0,1] neg_hi:[0,0,1]
	v_pk_mul_f32 v[26:27], v[28:29], v[18:19] op_sel:[0,1]
	v_pk_fma_f32 v[6:7], v[10:11], v[8:9], v[24:25] neg_lo:[0,0,1] neg_hi:[0,0,1]
	v_mov_b32_e32 v5, v15
	v_pk_add_f32 v[2:3], v[2:3], 0 op_sel_hi:[1,0]
	s_delay_alu instid0(VALU_DEP_4) | instskip(SKIP_1) | instid1(VALU_DEP_3)
	v_pk_fma_f32 v[8:9], v[12:13], v[18:19], v[26:27] op_sel_hi:[1,0,1]
	v_mov_b32_e32 v7, v21
	v_pk_add_f32 v[2:3], v[2:3], v[4:5]
	v_pk_fma_f32 v[4:5], v[12:13], v[18:19], v[26:27] neg_lo:[0,0,1] neg_hi:[0,0,1]
	s_delay_alu instid0(VALU_DEP_4) | instskip(NEXT) | instid1(VALU_DEP_3)
	v_mov_b32_e32 v5, v9
	v_pk_add_f32 v[2:3], v[2:3], v[6:7]
	s_delay_alu instid0(VALU_DEP_1)
	v_pk_add_f32 v[2:3], v[2:3], v[4:5]
	ds_store_b64 v92, v[2:3]
	s_wait_dscnt 0x0
	s_barrier_signal -1
	s_barrier_wait -1
	s_and_saveexec_b32 s36, s11
	s_cbranch_execz .LBB120_30
; %bb.29:                               ;   in Loop: Header=BB120_4 Depth=1
	ds_load_2addr_b64 v[2:5], v89 offset1:7
	ds_load_2addr_b64 v[6:9], v89 offset0:1 offset1:2
	ds_load_2addr_b64 v[10:13], v89 offset0:3 offset1:4
	;; [unrolled: 1-line block ×3, first 2 shown]
	s_wait_dscnt 0x2
	v_dual_add_f32 v2, v6, v2 :: v_dual_add_f32 v3, v7, v3
	s_delay_alu instid0(VALU_DEP_1) | instskip(SKIP_1) | instid1(VALU_DEP_1)
	v_dual_add_f32 v2, v8, v2 :: v_dual_add_f32 v3, v9, v3
	s_wait_dscnt 0x1
	v_dual_add_f32 v2, v2, v10 :: v_dual_add_f32 v3, v3, v11
	s_delay_alu instid0(VALU_DEP_1) | instskip(SKIP_1) | instid1(VALU_DEP_1)
	v_dual_add_f32 v2, v2, v12 :: v_dual_add_f32 v3, v3, v13
	s_wait_dscnt 0x0
	v_dual_add_f32 v2, v2, v18 :: v_dual_add_f32 v3, v3, v19
	s_delay_alu instid0(VALU_DEP_1) | instskip(NEXT) | instid1(VALU_DEP_1)
	v_dual_add_f32 v2, v2, v20 :: v_dual_add_f32 v3, v3, v21
	v_pk_add_f32 v[50:51], v[2:3], v[4:5]
.LBB120_30:                             ;   in Loop: Header=BB120_4 Depth=1
	s_or_b32 exec_lo, exec_lo, s36
	v_lshl_add_u64 v[2:3], s[46:47], 3, v[0:1]
	s_and_not1_b32 vcc_lo, exec_lo, s19
	s_mov_b32 s36, -1
	s_barrier_signal -1
	s_barrier_wait -1
	s_cbranch_vccnz .LBB120_32
; %bb.31:                               ;   in Loop: Header=BB120_4 Depth=1
	v_add_nc_u64_e32 v[0:1], s[40:41], v[2:3]
	s_mov_b32 s36, 0
	s_delay_alu instid0(VALU_DEP_1) | instskip(NEXT) | instid1(VALU_DEP_1)
	v_add_nc_u64_e32 v[4:5], s[40:41], v[0:1]
	v_add_nc_u64_e32 v[6:7], s[40:41], v[4:5]
	s_clause 0x3
	global_load_b64 v[8:9], v[2:3], off offset:256
	global_load_b64 v[0:1], v[0:1], off offset:256
	;; [unrolled: 1-line block ×4, first 2 shown]
	s_wait_loadcnt 0x3
	ds_store_b64 v103, v[8:9]
	s_wait_loadcnt 0x2
	ds_store_b64 v103, v[0:1] offset:2112
	s_wait_loadcnt 0x1
	ds_store_b64 v103, v[4:5] offset:4224
	s_wait_loadcnt 0x0
	ds_store_b64 v103, v[6:7] offset:6336
.LBB120_32:                             ;   in Loop: Header=BB120_4 Depth=1
	s_wait_xcnt 0x2
	v_add_nc_u64_e32 v[0:1], 0x100, v[2:3]
	s_and_not1_b32 vcc_lo, exec_lo, s36
	s_cbranch_vccnz .LBB120_42
; %bb.33:                               ;   in Loop: Header=BB120_4 Depth=1
	v_lshl_add_u64 v[2:3], v[36:37], 3, v[2:3]
	s_wait_xcnt 0x0
	v_dual_mov_b32 v6, 0 :: v_dual_mov_b32 v4, 0
	v_mov_b32_e32 v5, 0
	s_delay_alu instid0(VALU_DEP_3) | instskip(NEXT) | instid1(VALU_DEP_1)
	v_lshl_add_u64 v[2:3], s[24:25], 3, v[2:3]
	v_add_nc_u64_e32 v[2:3], -8, v[2:3]
	s_delay_alu instid0(VALU_DEP_1)
	v_dual_cndmask_b32 v3, v3, v1, s12 :: v_dual_cndmask_b32 v2, v2, v0, s12
	s_and_saveexec_b32 s36, s13
	s_cbranch_execz .LBB120_35
; %bb.34:                               ;   in Loop: Header=BB120_4 Depth=1
	global_load_b64 v[4:5], v[2:3], off
.LBB120_35:                             ;   in Loop: Header=BB120_4 Depth=1
	s_wait_xcnt 0x0
	s_or_b32 exec_lo, exec_lo, s36
	v_mov_b32_e32 v7, 0
	s_wait_loadcnt 0x0
	ds_store_b64 v103, v[4:5]
	s_and_saveexec_b32 s36, s14
	s_cbranch_execz .LBB120_37
; %bb.36:                               ;   in Loop: Header=BB120_4 Depth=1
	v_add_nc_u64_e32 v[4:5], s[40:41], v[2:3]
	global_load_b64 v[6:7], v[4:5], off
.LBB120_37:                             ;   in Loop: Header=BB120_4 Depth=1
	s_wait_xcnt 0x0
	s_or_b32 exec_lo, exec_lo, s36
	v_dual_mov_b32 v4, 0 :: v_dual_mov_b32 v8, 0
	v_mov_b32_e32 v9, 0
	s_wait_loadcnt 0x0
	ds_store_b64 v103, v[6:7] offset:2112
	s_and_saveexec_b32 s36, s15
	s_cbranch_execz .LBB120_39
; %bb.38:                               ;   in Loop: Header=BB120_4 Depth=1
	v_add_nc_u64_e32 v[6:7], s[42:43], v[2:3]
	global_load_b64 v[8:9], v[6:7], off
.LBB120_39:                             ;   in Loop: Header=BB120_4 Depth=1
	s_wait_xcnt 0x0
	s_or_b32 exec_lo, exec_lo, s36
	v_mov_b32_e32 v5, 0
	s_wait_loadcnt 0x0
	ds_store_b64 v103, v[8:9] offset:4224
	s_and_saveexec_b32 s36, s16
	s_cbranch_execz .LBB120_41
; %bb.40:                               ;   in Loop: Header=BB120_4 Depth=1
	v_add_nc_u64_e32 v[4:5], s[26:27], v[2:3]
	global_load_b64 v[4:5], v[4:5], off
.LBB120_41:                             ;   in Loop: Header=BB120_4 Depth=1
	s_wait_xcnt 0x0
	s_or_b32 exec_lo, exec_lo, s36
	v_add_nc_u64_e32 v[2:3], v[2:3], v[34:35]
	s_wait_loadcnt 0x0
	ds_store_b64 v103, v[4:5] offset:6336
	v_lshl_add_u64 v[2:3], s[54:55], 3, v[2:3]
	s_delay_alu instid0(VALU_DEP_1) | instskip(NEXT) | instid1(VALU_DEP_1)
	v_add_nc_u64_e32 v[2:3], 0x108, v[2:3]
	v_dual_cndmask_b32 v1, v3, v1, s12 :: v_dual_cndmask_b32 v0, v2, v0, s12
.LBB120_42:                             ;   in Loop: Header=BB120_4 Depth=1
	s_wait_dscnt 0x0
	s_barrier_signal -1
	s_barrier_wait -1
	s_wait_xcnt 0x0
	s_and_saveexec_b32 s36, s7
	s_cbranch_execnz .LBB120_77
; %bb.43:                               ;   in Loop: Header=BB120_4 Depth=1
	s_or_b32 exec_lo, exec_lo, s36
	s_and_saveexec_b32 s36, s8
	s_cbranch_execnz .LBB120_78
.LBB120_44:                             ;   in Loop: Header=BB120_4 Depth=1
	s_or_b32 exec_lo, exec_lo, s36
	s_and_saveexec_b32 s36, s9
	s_cbranch_execnz .LBB120_79
.LBB120_45:                             ;   in Loop: Header=BB120_4 Depth=1
	s_or_b32 exec_lo, exec_lo, s36
	s_and_saveexec_b32 s36, s10
	s_cbranch_execz .LBB120_47
.LBB120_46:                             ;   in Loop: Header=BB120_4 Depth=1
	ds_load_b64 v[2:3], v105 offset:528
	s_wait_dscnt 0x0
	ds_store_b64 v90, v[2:3] offset:24
.LBB120_47:                             ;   in Loop: Header=BB120_4 Depth=1
	s_or_b32 exec_lo, exec_lo, s36
	s_wait_dscnt 0x0
	s_barrier_signal -1
	s_barrier_wait -1
	ds_load_b64 v[14:15], v104
	ds_load_b128 v[2:5], v91 offset:256
	ds_load_2addr_b64 v[6:9], v105 offset1:33
	ds_load_b128 v[10:13], v91 offset:272
	ds_load_b64 v[18:19], v105 offset:528
	s_wait_dscnt 0x0
	s_barrier_signal -1
	s_barrier_wait -1
	v_pk_mul_f32 v[20:21], v[2:3], v[14:15] op_sel:[1,1] op_sel_hi:[0,1]
	v_dual_mov_b32 v22, v5 :: v_dual_mov_b32 v23, v4
	v_pk_mul_f32 v[24:25], v[10:11], v[8:9] op_sel:[1,1] op_sel_hi:[0,1]
	v_dual_mov_b32 v28, v13 :: v_dual_mov_b32 v29, v12
	s_delay_alu instid0(VALU_DEP_4) | instskip(NEXT) | instid1(VALU_DEP_4)
	v_pk_fma_f32 v[26:27], v[2:3], v[14:15], v[20:21] op_sel_hi:[1,0,1]
	v_pk_mul_f32 v[22:23], v[22:23], v[6:7] op_sel:[0,1]
	v_pk_fma_f32 v[2:3], v[2:3], v[14:15], v[20:21] neg_lo:[0,0,1] neg_hi:[0,0,1]
	v_pk_fma_f32 v[20:21], v[10:11], v[8:9], v[24:25] op_sel_hi:[1,0,1]
	s_delay_alu instid0(VALU_DEP_3)
	v_pk_fma_f32 v[14:15], v[4:5], v[6:7], v[22:23] op_sel_hi:[1,0,1]
	v_mov_b32_e32 v3, v27
	v_pk_fma_f32 v[4:5], v[4:5], v[6:7], v[22:23] neg_lo:[0,0,1] neg_hi:[0,0,1]
	v_pk_mul_f32 v[26:27], v[28:29], v[18:19] op_sel:[0,1]
	v_pk_fma_f32 v[6:7], v[10:11], v[8:9], v[24:25] neg_lo:[0,0,1] neg_hi:[0,0,1]
	v_mov_b32_e32 v5, v15
	v_pk_add_f32 v[2:3], v[2:3], 0 op_sel_hi:[1,0]
	s_delay_alu instid0(VALU_DEP_4) | instskip(SKIP_1) | instid1(VALU_DEP_3)
	v_pk_fma_f32 v[8:9], v[12:13], v[18:19], v[26:27] op_sel_hi:[1,0,1]
	v_mov_b32_e32 v7, v21
	v_pk_add_f32 v[2:3], v[2:3], v[4:5]
	v_pk_fma_f32 v[4:5], v[12:13], v[18:19], v[26:27] neg_lo:[0,0,1] neg_hi:[0,0,1]
	s_delay_alu instid0(VALU_DEP_4) | instskip(NEXT) | instid1(VALU_DEP_3)
	v_mov_b32_e32 v5, v9
	v_pk_add_f32 v[2:3], v[2:3], v[6:7]
	s_delay_alu instid0(VALU_DEP_1)
	v_pk_add_f32 v[2:3], v[2:3], v[4:5]
	ds_store_b64 v92, v[2:3]
	s_wait_dscnt 0x0
	s_barrier_signal -1
	s_barrier_wait -1
	s_and_saveexec_b32 s36, s17
	s_cbranch_execz .LBB120_49
; %bb.48:                               ;   in Loop: Header=BB120_4 Depth=1
	ds_load_2addr_b64 v[2:5], v89 offset1:7
	ds_load_2addr_b64 v[6:9], v89 offset0:1 offset1:2
	ds_load_2addr_b64 v[10:13], v89 offset0:3 offset1:4
	;; [unrolled: 1-line block ×3, first 2 shown]
	s_wait_dscnt 0x2
	v_dual_add_f32 v2, v6, v2 :: v_dual_add_f32 v3, v7, v3
	s_delay_alu instid0(VALU_DEP_1) | instskip(SKIP_1) | instid1(VALU_DEP_1)
	v_dual_add_f32 v2, v8, v2 :: v_dual_add_f32 v3, v9, v3
	s_wait_dscnt 0x1
	v_dual_add_f32 v2, v2, v10 :: v_dual_add_f32 v3, v3, v11
	s_delay_alu instid0(VALU_DEP_1) | instskip(SKIP_1) | instid1(VALU_DEP_1)
	v_dual_add_f32 v2, v2, v12 :: v_dual_add_f32 v3, v3, v13
	s_wait_dscnt 0x0
	v_dual_add_f32 v2, v2, v18 :: v_dual_add_f32 v3, v3, v19
	s_delay_alu instid0(VALU_DEP_1) | instskip(NEXT) | instid1(VALU_DEP_1)
	v_pk_add_f32 v[2:3], v[2:3], v[20:21]
	v_pk_add_f32 v[50:51], v[2:3], v[4:5]
.LBB120_49:                             ;   in Loop: Header=BB120_4 Depth=1
	s_or_b32 exec_lo, exec_lo, s36
	v_lshl_add_u64 v[18:19], s[48:49], 3, v[0:1]
	s_and_not1_b32 vcc_lo, exec_lo, s19
	s_mov_b32 s36, -1
	s_barrier_signal -1
	s_barrier_wait -1
	s_cbranch_vccnz .LBB120_51
; %bb.50:                               ;   in Loop: Header=BB120_4 Depth=1
	v_add_nc_u64_e32 v[0:1], s[40:41], v[18:19]
	s_mov_b32 s36, 0
	s_delay_alu instid0(VALU_DEP_1) | instskip(NEXT) | instid1(VALU_DEP_1)
	v_add_nc_u64_e32 v[2:3], s[40:41], v[0:1]
	v_add_nc_u64_e32 v[4:5], s[40:41], v[2:3]
	s_clause 0x3
	global_load_b64 v[6:7], v[18:19], off
	global_load_b64 v[0:1], v[0:1], off
	;; [unrolled: 1-line block ×4, first 2 shown]
	s_wait_loadcnt 0x3
	ds_store_b64 v103, v[6:7]
	s_wait_loadcnt 0x2
	ds_store_b64 v103, v[0:1] offset:2112
	s_wait_loadcnt 0x1
	ds_store_b64 v103, v[2:3] offset:4224
	s_wait_loadcnt 0x0
	ds_store_b64 v103, v[4:5] offset:6336
.LBB120_51:                             ;   in Loop: Header=BB120_4 Depth=1
	s_and_not1_b32 vcc_lo, exec_lo, s36
	s_cbranch_vccnz .LBB120_61
; %bb.52:                               ;   in Loop: Header=BB120_4 Depth=1
	s_wait_xcnt 0x2
	v_lshl_add_u64 v[0:1], v[36:37], 3, v[18:19]
	s_wait_xcnt 0x0
	v_dual_mov_b32 v4, 0 :: v_dual_mov_b32 v2, 0
	v_mov_b32_e32 v3, 0
	s_delay_alu instid0(VALU_DEP_3) | instskip(NEXT) | instid1(VALU_DEP_1)
	v_lshl_add_u64 v[0:1], s[24:25], 3, v[0:1]
	v_add_nc_u64_e32 v[0:1], s[80:81], v[0:1]
	s_delay_alu instid0(VALU_DEP_1)
	v_dual_cndmask_b32 v1, v1, v19, s12 :: v_dual_cndmask_b32 v0, v0, v18, s12
	s_and_saveexec_b32 s36, s2
	s_cbranch_execz .LBB120_54
; %bb.53:                               ;   in Loop: Header=BB120_4 Depth=1
	global_load_b64 v[2:3], v[0:1], off
.LBB120_54:                             ;   in Loop: Header=BB120_4 Depth=1
	s_wait_xcnt 0x0
	s_or_b32 exec_lo, exec_lo, s36
	v_mov_b32_e32 v5, 0
	s_wait_loadcnt 0x0
	ds_store_b64 v103, v[2:3]
	s_and_saveexec_b32 s36, s3
	s_cbranch_execz .LBB120_56
; %bb.55:                               ;   in Loop: Header=BB120_4 Depth=1
	v_add_nc_u64_e32 v[2:3], s[40:41], v[0:1]
	global_load_b64 v[4:5], v[2:3], off
.LBB120_56:                             ;   in Loop: Header=BB120_4 Depth=1
	s_wait_xcnt 0x0
	s_or_b32 exec_lo, exec_lo, s36
	v_dual_mov_b32 v2, 0 :: v_dual_mov_b32 v6, 0
	v_mov_b32_e32 v7, 0
	s_wait_loadcnt 0x0
	ds_store_b64 v103, v[4:5] offset:2112
	s_and_saveexec_b32 s36, s5
	s_cbranch_execz .LBB120_58
; %bb.57:                               ;   in Loop: Header=BB120_4 Depth=1
	v_add_nc_u64_e32 v[4:5], s[42:43], v[0:1]
	global_load_b64 v[6:7], v[4:5], off
.LBB120_58:                             ;   in Loop: Header=BB120_4 Depth=1
	s_wait_xcnt 0x0
	s_or_b32 exec_lo, exec_lo, s36
	v_mov_b32_e32 v3, 0
	s_wait_loadcnt 0x0
	ds_store_b64 v103, v[6:7] offset:4224
	s_and_saveexec_b32 s36, s6
	s_cbranch_execz .LBB120_60
; %bb.59:                               ;   in Loop: Header=BB120_4 Depth=1
	v_add_nc_u64_e32 v[2:3], s[26:27], v[0:1]
	global_load_b64 v[2:3], v[2:3], off
.LBB120_60:                             ;   in Loop: Header=BB120_4 Depth=1
	s_wait_xcnt 0x0
	s_or_b32 exec_lo, exec_lo, s36
	v_add_nc_u64_e32 v[0:1], v[0:1], v[34:35]
	s_wait_loadcnt 0x0
	ds_store_b64 v103, v[2:3] offset:6336
	v_lshl_add_u64 v[0:1], s[54:55], 3, v[0:1]
	s_delay_alu instid0(VALU_DEP_1) | instskip(NEXT) | instid1(VALU_DEP_1)
	v_add_nc_u64_e32 v[0:1], 0x108, v[0:1]
	v_dual_cndmask_b32 v19, v1, v19, s12 :: v_dual_cndmask_b32 v18, v0, v18, s12
.LBB120_61:                             ;   in Loop: Header=BB120_4 Depth=1
	s_wait_dscnt 0x0
	s_barrier_signal -1
	s_barrier_wait -1
	ds_load_b64 v[8:9], v103
	ds_load_b64 v[10:11], v106
	ds_load_2addr_b64 v[20:23], v101 offset0:8 offset1:16
	ds_load_b64 v[12:13], v103 offset:2112
	ds_load_b64 v[24:25], v103 offset:4224
	;; [unrolled: 1-line block ×4, first 2 shown]
	s_wait_xcnt 0x0
	ds_load_2addr_b64 v[4:7], v93 offset1:1
	ds_load_2addr_b64 v[0:3], v93 offset0:2 offset1:3
	s_wait_dscnt 0x7
	v_pk_mul_f32 v[14:15], v[10:11], v[8:9] op_sel:[1,1] op_sel_hi:[0,1]
	s_wait_dscnt 0x5
	v_pk_mul_f32 v[30:31], v[20:21], v[12:13] op_sel:[1,1] op_sel_hi:[0,1]
	;; [unrolled: 2-line block ×3, first 2 shown]
	v_pk_fma_f32 v[52:53], v[10:11], v[8:9], v[14:15] op_sel_hi:[1,0,1]
	v_pk_fma_f32 v[8:9], v[10:11], v[8:9], v[14:15] neg_lo:[0,0,1] neg_hi:[0,0,1]
	v_pk_fma_f32 v[10:11], v[20:21], v[12:13], v[30:31] op_sel_hi:[1,0,1]
	v_pk_fma_f32 v[20:21], v[20:21], v[12:13], v[30:31] neg_lo:[0,0,1] neg_hi:[0,0,1]
	v_pk_fma_f32 v[30:31], v[22:23], v[24:25], v[54:55] op_sel_hi:[1,0,1]
	v_mov_b32_e32 v9, v53
	s_wait_dscnt 0x2
	v_pk_mul_f32 v[52:53], v[28:29], v[26:27] op_sel:[1,1] op_sel_hi:[0,1]
	v_mov_b32_e32 v21, v11
	v_pk_fma_f32 v[22:23], v[22:23], v[24:25], v[54:55] neg_lo:[0,0,1] neg_hi:[0,0,1]
	v_pk_add_f32 v[56:57], v[8:9], 0 op_sel_hi:[1,0]
	ds_load_b128 v[12:15], v91 offset:256
	ds_load_b128 v[8:11], v91 offset:272
	v_pk_fma_f32 v[24:25], v[28:29], v[26:27], v[52:53] op_sel_hi:[1,0,1]
	v_mov_b32_e32 v23, v31
	v_pk_fma_f32 v[26:27], v[28:29], v[26:27], v[52:53] neg_lo:[0,0,1] neg_hi:[0,0,1]
	v_pk_add_f32 v[20:21], v[56:57], v[20:21]
	s_wait_dscnt 0x0
	v_mov_b32_e32 v27, v25
	s_barrier_signal -1
	s_barrier_wait -1
	v_pk_add_f32 v[20:21], v[20:21], v[22:23]
	s_delay_alu instid0(VALU_DEP_1)
	v_pk_add_f32 v[20:21], v[20:21], v[26:27]
	ds_store_b64 v92, v[20:21]
	s_wait_dscnt 0x0
	s_barrier_signal -1
	s_barrier_wait -1
	s_and_saveexec_b32 s36, s17
	s_cbranch_execz .LBB120_63
; %bb.62:                               ;   in Loop: Header=BB120_4 Depth=1
	ds_load_2addr_b64 v[20:23], v89 offset1:1
	ds_load_2addr_b64 v[24:27], v89 offset0:2 offset1:3
	ds_load_2addr_b64 v[28:31], v89 offset0:4 offset1:5
	s_wait_dscnt 0x2
	v_pk_add_f32 v[20:21], v[50:51], v[20:21]
	s_delay_alu instid0(VALU_DEP_1) | instskip(SKIP_1) | instid1(VALU_DEP_1)
	v_pk_add_f32 v[20:21], v[20:21], v[22:23]
	s_wait_dscnt 0x1
	v_pk_add_f32 v[24:25], v[20:21], v[24:25]
	ds_load_2addr_b64 v[20:23], v89 offset0:6 offset1:7
	v_pk_add_f32 v[24:25], v[24:25], v[26:27]
	s_wait_dscnt 0x1
	s_delay_alu instid0(VALU_DEP_1) | instskip(NEXT) | instid1(VALU_DEP_1)
	v_pk_add_f32 v[24:25], v[24:25], v[28:29]
	v_pk_add_f32 v[24:25], v[24:25], v[30:31]
	s_wait_dscnt 0x0
	s_delay_alu instid0(VALU_DEP_1) | instskip(NEXT) | instid1(VALU_DEP_1)
	v_pk_add_f32 v[20:21], v[24:25], v[20:21]
	v_pk_add_f32 v[50:51], v[20:21], v[22:23]
.LBB120_63:                             ;   in Loop: Header=BB120_4 Depth=1
	s_or_b32 exec_lo, exec_lo, s36
	v_pk_mul_f32 v[20:21], v[12:13], v[4:5] op_sel:[1,1] op_sel_hi:[0,1]
	v_dual_mov_b32 v22, v15 :: v_dual_mov_b32 v23, v14
	v_dual_mov_b32 v24, v7 :: v_dual_mov_b32 v30, v11
	s_delay_alu instid0(VALU_DEP_3) | instskip(SKIP_2) | instid1(VALU_DEP_4)
	v_pk_fma_f32 v[28:29], v[12:13], v[4:5], v[20:21] op_sel_hi:[1,0,1]
	v_pk_fma_f32 v[4:5], v[12:13], v[4:5], v[20:21] neg_lo:[0,0,1] neg_hi:[0,0,1]
	v_pk_mul_f32 v[26:27], v[8:9], v[0:1] op_sel:[1,1] op_sel_hi:[0,1]
	v_pk_mul_f32 v[22:23], v[22:23], v[24:25] op_sel_hi:[1,0]
	s_delay_alu instid0(VALU_DEP_4) | instskip(NEXT) | instid1(VALU_DEP_3)
	v_dual_mov_b32 v31, v10 :: v_dual_mov_b32 v5, v29
	v_pk_fma_f32 v[24:25], v[8:9], v[0:1], v[26:27] op_sel_hi:[1,0,1]
	s_delay_alu instid0(VALU_DEP_3)
	v_pk_fma_f32 v[20:21], v[14:15], v[6:7], v[22:23] op_sel_hi:[1,0,1]
	v_mov_b32_e32 v12, v3
	v_pk_fma_f32 v[6:7], v[14:15], v[6:7], v[22:23] neg_lo:[0,0,1] neg_hi:[0,0,1]
	v_pk_add_f32 v[4:5], v[4:5], 0 op_sel_hi:[1,0]
	v_pk_fma_f32 v[0:1], v[8:9], v[0:1], v[26:27] neg_lo:[0,0,1] neg_hi:[0,0,1]
	v_mov_b32_e32 v7, v21
	v_pk_mul_f32 v[12:13], v[30:31], v[12:13] op_sel_hi:[1,0]
	s_barrier_signal -1
	s_barrier_wait -1
	s_delay_alu instid0(VALU_DEP_2) | instskip(NEXT) | instid1(VALU_DEP_2)
	v_pk_add_f32 v[4:5], v[4:5], v[6:7]
	v_pk_fma_f32 v[8:9], v[10:11], v[2:3], v[12:13] op_sel_hi:[1,0,1]
	v_mov_b32_e32 v1, v25
	v_pk_fma_f32 v[2:3], v[10:11], v[2:3], v[12:13] neg_lo:[0,0,1] neg_hi:[0,0,1]
	s_delay_alu instid0(VALU_DEP_3) | instskip(NEXT) | instid1(VALU_DEP_3)
	v_mov_b32_e32 v3, v9
	v_pk_add_f32 v[0:1], v[4:5], v[0:1]
	s_delay_alu instid0(VALU_DEP_1)
	v_pk_add_f32 v[0:1], v[0:1], v[2:3]
	ds_store_b64 v92, v[0:1]
	s_wait_dscnt 0x0
	s_barrier_signal -1
	s_barrier_wait -1
	s_and_saveexec_b32 s36, s11
	s_cbranch_execz .LBB120_65
; %bb.64:                               ;   in Loop: Header=BB120_4 Depth=1
	ds_load_2addr_b64 v[0:3], v89 offset1:1
	ds_load_2addr_b64 v[4:7], v89 offset0:2 offset1:3
	ds_load_2addr_b64 v[8:11], v89 offset0:4 offset1:5
	s_wait_dscnt 0x2
	v_pk_add_f32 v[0:1], v[50:51], v[0:1]
	s_delay_alu instid0(VALU_DEP_1) | instskip(SKIP_1) | instid1(VALU_DEP_1)
	v_pk_add_f32 v[0:1], v[0:1], v[2:3]
	s_wait_dscnt 0x1
	v_pk_add_f32 v[4:5], v[0:1], v[4:5]
	ds_load_2addr_b64 v[0:3], v89 offset0:6 offset1:7
	v_pk_add_f32 v[4:5], v[4:5], v[6:7]
	s_wait_dscnt 0x1
	s_delay_alu instid0(VALU_DEP_1) | instskip(NEXT) | instid1(VALU_DEP_1)
	v_pk_add_f32 v[4:5], v[4:5], v[8:9]
	v_pk_add_f32 v[4:5], v[4:5], v[10:11]
	s_wait_dscnt 0x0
	s_delay_alu instid0(VALU_DEP_1) | instskip(NEXT) | instid1(VALU_DEP_1)
	v_pk_add_f32 v[0:1], v[4:5], v[0:1]
	v_pk_add_f32 v[50:51], v[0:1], v[2:3]
.LBB120_65:                             ;   in Loop: Header=BB120_4 Depth=1
	s_or_b32 exec_lo, exec_lo, s36
	s_mul_u64 s[88:89], s[38:39], s[34:35]
	s_and_not1_b32 vcc_lo, exec_lo, s91
	s_lshl_b64 s[88:89], s[88:89], 3
	s_delay_alu instid0(SALU_CYCLE_1)
	s_add_nc_u64 s[88:89], s[44:45], s[88:89]
	s_barrier_signal -1
	s_barrier_wait -1
	s_cbranch_vccnz .LBB120_72
; %bb.66:                               ;   in Loop: Header=BB120_4 Depth=1
	v_lshl_add_u64 v[0:1], s[52:53], 3, v[18:19]
	v_dual_mov_b32 v3, v35 :: v_dual_lshlrev_b32 v2, 3, v32
	v_lshl_add_u64 v[52:53], s[50:51], 3, v[16:17]
	s_mov_b32 s36, 0
	s_delay_alu instid0(VALU_DEP_3) | instskip(SKIP_1) | instid1(VALU_DEP_1)
	v_lshl_add_u64 v[0:1], v[44:45], 3, v[0:1]
	s_mov_b32 s35, s90
	v_lshl_add_u64 v[0:1], v[46:47], 3, v[0:1]
	s_delay_alu instid0(VALU_DEP_1) | instskip(SKIP_1) | instid1(VALU_DEP_1)
	v_add_nc_u64_e32 v[2:3], v[0:1], v[2:3]
	v_lshl_add_u64 v[0:1], s[24:25], 3, v[0:1]
	v_add_nc_u64_e32 v[0:1], s[80:81], v[0:1]
	s_delay_alu instid0(VALU_DEP_3) | instskip(NEXT) | instid1(VALU_DEP_1)
	v_add_nc_u64_e32 v[2:3], s[82:83], v[2:3]
	v_dual_cndmask_b32 v55, v3, v1, s4 :: v_dual_cndmask_b32 v54, v2, v0, s4
	s_branch .LBB120_68
.LBB120_67:                             ;   in Loop: Header=BB120_68 Depth=2
	s_wait_xcnt 0x0
	s_or_b32 exec_lo, exec_lo, s94
	v_dual_mul_f32 v108, v5, v61 :: v_dual_mul_f32 v5, v5, v60
	v_dual_mul_f32 v109, v7, v63 :: v_dual_mul_f32 v7, v7, v62
	s_delay_alu instid0(VALU_DEP_2) | instskip(NEXT) | instid1(VALU_DEP_3)
	v_dual_mul_f32 v110, v1, v59 :: v_dual_fma_f32 v60, v4, v60, -v108
	v_dual_mul_f32 v1, v1, v58 :: v_dual_fmac_f32 v5, v4, v61
	s_delay_alu instid0(VALU_DEP_3) | instskip(NEXT) | instid1(VALU_DEP_3)
	v_dual_mul_f32 v4, v3, v57 :: v_dual_fma_f32 v61, v6, v62, -v109
	v_add_f32_e32 v50, v50, v60
	v_dual_fmac_f32 v7, v6, v63 :: v_dual_mul_f32 v3, v3, v56
	s_delay_alu instid0(VALU_DEP_4) | instskip(NEXT) | instid1(VALU_DEP_3)
	v_dual_add_f32 v5, v51, v5 :: v_dual_fma_f32 v6, v0, v58, -v110
	v_dual_add_f32 v50, v50, v61 :: v_dual_fmac_f32 v1, v0, v59
	s_delay_alu instid0(VALU_DEP_2) | instskip(NEXT) | instid1(VALU_DEP_2)
	v_dual_fma_f32 v4, v2, v56, -v4 :: v_dual_add_f32 v0, v5, v7
	v_dual_mul_f32 v5, v13, v73 :: v_dual_add_f32 v6, v50, v6
	v_dual_fmac_f32 v3, v2, v57 :: v_dual_mul_f32 v2, v13, v72
	s_delay_alu instid0(VALU_DEP_3) | instskip(NEXT) | instid1(VALU_DEP_3)
	v_add_f32_e32 v0, v0, v1
	v_dual_mul_f32 v1, v15, v69 :: v_dual_add_f32 v4, v6, v4
	s_delay_alu instid0(VALU_DEP_3) | instskip(NEXT) | instid1(VALU_DEP_2)
	v_dual_fma_f32 v5, v12, v72, -v5 :: v_dual_fmac_f32 v2, v12, v73
	v_dual_add_f32 v0, v0, v3 :: v_dual_fma_f32 v1, v14, v68, -v1
	s_delay_alu instid0(VALU_DEP_2) | instskip(NEXT) | instid1(VALU_DEP_2)
	v_dual_mul_f32 v6, v15, v68 :: v_dual_add_f32 v3, v4, v5
	v_dual_mul_f32 v4, v9, v67 :: v_dual_add_f32 v7, v0, v2
	v_mov_b32_e32 v13, v30
	s_delay_alu instid0(VALU_DEP_3) | instskip(NEXT) | instid1(VALU_DEP_4)
	v_fmac_f32_e32 v6, v14, v69
	v_dual_add_f32 v0, v3, v1 :: v_dual_mul_f32 v3, v9, v66
	s_delay_alu instid0(VALU_DEP_4) | instskip(SKIP_1) | instid1(VALU_DEP_3)
	v_dual_fma_f32 v2, v8, v66, -v4 :: v_dual_mul_f32 v4, v11, v65
	v_mul_f32_e32 v5, v11, v64
	v_dual_add_f32 v1, v7, v6 :: v_dual_fmac_f32 v3, v8, v67
	s_delay_alu instid0(VALU_DEP_3) | instskip(NEXT) | instid1(VALU_DEP_3)
	v_dual_mov_b32 v6, v79 :: v_dual_fma_f32 v4, v10, v64, -v4
	v_dual_fmac_f32 v5, v10, v65 :: v_dual_mov_b32 v8, v77
	s_delay_alu instid0(VALU_DEP_3) | instskip(NEXT) | instid1(VALU_DEP_3)
	v_pk_add_f32 v[0:1], v[0:1], v[2:3]
	v_pk_mul_f32 v[2:3], v[20:21], v[6:7] op_sel:[1,0] op_sel_hi:[0,0]
	v_dual_mov_b32 v6, v23 :: v_dual_mov_b32 v7, v22
	v_add_nc_u64_e32 v[54:55], s[58:59], v[54:55]
	s_delay_alu instid0(VALU_DEP_4) | instskip(NEXT) | instid1(VALU_DEP_4)
	v_pk_add_f32 v[0:1], v[0:1], v[4:5]
	v_pk_fma_f32 v[10:11], v[20:21], v[78:79], v[2:3] op_sel_hi:[1,0,1]
	v_pk_fma_f32 v[2:3], v[20:21], v[78:79], v[2:3] neg_lo:[0,0,1] neg_hi:[0,0,1]
	v_pk_mul_f32 v[4:5], v[6:7], v[8:9] op_sel_hi:[1,0]
	v_mov_b32_e32 v6, v75
	s_add_co_i32 s35, s35, -1
	v_mov_b32_e32 v3, v11
	s_add_co_i32 s36, s36, 64
	v_pk_fma_f32 v[8:9], v[22:23], v[76:77], v[4:5] op_sel_hi:[1,0,1]
	v_pk_mul_f32 v[6:7], v[16:17], v[6:7] op_sel:[1,0] op_sel_hi:[0,0]
	v_mov_b32_e32 v8, v19
	v_pk_add_f32 v[0:1], v[0:1], v[2:3]
	v_pk_fma_f32 v[2:3], v[22:23], v[76:77], v[4:5] neg_lo:[0,0,1] neg_hi:[0,0,1]
	v_mov_b32_e32 v3, v9
	v_pk_fma_f32 v[4:5], v[16:17], v[74:75], v[6:7] op_sel_hi:[1,0,1]
	v_dual_mov_b32 v9, v18 :: v_dual_mov_b32 v4, v71
	s_cmp_eq_u32 s35, 0
	s_delay_alu instid0(VALU_DEP_3)
	v_pk_add_f32 v[0:1], v[0:1], v[2:3]
	v_pk_fma_f32 v[2:3], v[16:17], v[74:75], v[6:7] neg_lo:[0,0,1] neg_hi:[0,0,1]
	v_mov_b32_e32 v3, v5
	v_pk_mul_f32 v[4:5], v[8:9], v[4:5] op_sel_hi:[1,0]
	v_dual_mov_b32 v6, v27 :: v_dual_mov_b32 v7, v26
	s_wait_storecnt 0x0
	s_delay_alu instid0(VALU_DEP_3) | instskip(NEXT) | instid1(VALU_DEP_3)
	v_pk_add_f32 v[0:1], v[0:1], v[2:3]
	v_pk_fma_f32 v[2:3], v[18:19], v[70:71], v[4:5] op_sel_hi:[1,0,1]
	v_mov_b32_e32 v2, v87
	v_pk_fma_f32 v[4:5], v[18:19], v[70:71], v[4:5] neg_lo:[0,0,1] neg_hi:[0,0,1]
	v_dual_mov_b32 v8, v85 :: v_dual_mov_b32 v12, v31
	s_delay_alu instid0(VALU_DEP_4) | instskip(NEXT) | instid1(VALU_DEP_4)
	v_mov_b32_e32 v5, v3
	v_pk_mul_f32 v[2:3], v[24:25], v[2:3] op_sel:[1,0] op_sel_hi:[0,0]
	s_barrier_signal -1
	s_delay_alu instid0(VALU_DEP_3)
	v_pk_mul_f32 v[6:7], v[6:7], v[8:9] op_sel_hi:[1,0]
	v_mov_b32_e32 v8, v83
	v_pk_add_f32 v[0:1], v[0:1], v[4:5]
	v_pk_fma_f32 v[4:5], v[24:25], v[86:87], v[2:3] neg_lo:[0,0,1] neg_hi:[0,0,1]
	v_pk_fma_f32 v[2:3], v[24:25], v[86:87], v[2:3] op_sel_hi:[1,0,1]
	v_pk_fma_f32 v[10:11], v[26:27], v[84:85], v[6:7] op_sel_hi:[1,0,1]
	v_pk_mul_f32 v[8:9], v[28:29], v[8:9] op_sel:[1,0] op_sel_hi:[0,0]
	v_mov_b32_e32 v2, v81
	v_pk_fma_f32 v[6:7], v[26:27], v[84:85], v[6:7] neg_lo:[0,0,1] neg_hi:[0,0,1]
	s_delay_alu instid0(VALU_DEP_4) | instskip(NEXT) | instid1(VALU_DEP_4)
	v_dual_mov_b32 v5, v3 :: v_dual_mov_b32 v7, v11
	v_pk_fma_f32 v[10:11], v[28:29], v[82:83], v[8:9] op_sel_hi:[1,0,1]
	s_delay_alu instid0(VALU_DEP_4) | instskip(SKIP_1) | instid1(VALU_DEP_3)
	v_pk_mul_f32 v[2:3], v[12:13], v[2:3] op_sel_hi:[1,0]
	s_barrier_wait -1
	v_pk_add_f32 v[0:1], v[0:1], v[4:5]
	v_pk_fma_f32 v[4:5], v[28:29], v[82:83], v[8:9] neg_lo:[0,0,1] neg_hi:[0,0,1]
	s_delay_alu instid0(VALU_DEP_3) | instskip(SKIP_1) | instid1(VALU_DEP_4)
	v_pk_fma_f32 v[8:9], v[30:31], v[80:81], v[2:3] op_sel_hi:[1,0,1]
	v_mov_b32_e32 v5, v11
	v_pk_add_f32 v[0:1], v[0:1], v[6:7]
	v_pk_fma_f32 v[2:3], v[30:31], v[80:81], v[2:3] neg_lo:[0,0,1] neg_hi:[0,0,1]
	s_delay_alu instid0(VALU_DEP_4) | instskip(NEXT) | instid1(VALU_DEP_3)
	v_mov_b32_e32 v3, v9
	v_pk_add_f32 v[0:1], v[0:1], v[4:5]
	s_delay_alu instid0(VALU_DEP_1)
	v_pk_add_f32 v[50:51], v[0:1], v[2:3]
	s_cbranch_scc1 .LBB120_72
.LBB120_68:                             ;   Parent Loop BB120_4 Depth=1
                                        ; =>  This Inner Loop Header: Depth=2
	s_and_saveexec_b32 s94, s0
	s_cbranch_execz .LBB120_70
; %bb.69:                               ;   in Loop: Header=BB120_68 Depth=2
	s_mul_u64 s[96:97], s[28:29], s[36:37]
	s_delay_alu instid0(SALU_CYCLE_1)
	v_lshl_add_u64 v[0:1], s[96:97], 3, v[52:53]
	global_load_b64 v[0:1], v[0:1], off
	s_wait_loadcnt 0x0
	ds_store_b64 v94, v[0:1]
.LBB120_70:                             ;   in Loop: Header=BB120_68 Depth=2
	s_wait_xcnt 0x0
	s_or_b32 exec_lo, exec_lo, s94
	v_add_nc_u64_e32 v[0:1], s[56:57], v[54:55]
	v_add_nc_u64_e32 v[2:3], s[60:61], v[54:55]
	;; [unrolled: 1-line block ×3, first 2 shown]
	s_wait_dscnt 0x0
	s_barrier_signal -1
	s_barrier_wait -1
	s_clause 0x3
	global_load_b64 v[60:61], v[54:55], off
	global_load_b64 v[62:63], v[0:1], off
	;; [unrolled: 1-line block ×4, first 2 shown]
	ds_load_b64 v[8:9], v88
	s_wait_xcnt 0x0
	ds_load_b128 v[4:7], v95
	v_add_nc_u64_e32 v[12:13], s[42:43], v[54:55]
	v_add_nc_u64_e32 v[20:21], s[64:65], v[54:55]
	;; [unrolled: 1-line block ×3, first 2 shown]
	ds_load_b128 v[0:3], v95 offset:16
	v_add_nc_u64_e32 v[28:29], s[68:69], v[54:55]
	v_add_nc_u64_e32 v[30:31], s[70:71], v[54:55]
	;; [unrolled: 1-line block ×4, first 2 shown]
	s_wait_loadcnt_dscnt 0x202
	v_dual_mul_f32 v14, v9, v63 :: v_dual_mul_f32 v15, v9, v62
	v_dual_mul_f32 v10, v9, v61 :: v_dual_mul_f32 v11, v9, v60
	s_wait_loadcnt 0x1
	v_dual_mul_f32 v16, v9, v59 :: v_dual_mul_f32 v17, v9, v58
	s_wait_loadcnt 0x0
	v_dual_mul_f32 v18, v9, v57 :: v_dual_mul_f32 v19, v8, v57
	v_dual_fma_f32 v10, v8, v60, -v10 :: v_dual_fmac_f32 v11, v8, v61
	v_dual_fma_f32 v14, v8, v62, -v14 :: v_dual_fmac_f32 v15, v8, v63
	;; [unrolled: 1-line block ×3, first 2 shown]
	s_delay_alu instid0(VALU_DEP_4)
	v_dual_fma_f32 v18, v8, v56, -v18 :: v_dual_fmac_f32 v19, v9, v56
	v_add_nc_u64_e32 v[8:9], s[20:21], v[54:55]
	ds_store_2addr_b64 v96, v[10:11], v[14:15] offset1:67
	ds_store_2addr_b64 v96, v[16:17], v[18:19] offset0:134 offset1:201
	s_wait_dscnt 0x0
	s_barrier_signal -1
	s_barrier_wait -1
	ds_load_2addr_b64 v[108:111], v97 offset1:1
	ds_load_2addr_b64 v[112:115], v97 offset0:2 offset1:3
	s_wait_dscnt 0x0
	s_barrier_signal -1
	s_barrier_wait -1
	s_clause 0x3
	global_load_b64 v[72:73], v[12:13], off
	global_load_b64 v[68:69], v[8:9], off
	;; [unrolled: 1-line block ×4, first 2 shown]
	s_wait_xcnt 0x2
	ds_load_b64 v[8:9], v88
	ds_load_b128 v[12:15], v95 offset:128
	v_add_nc_u64_e32 v[16:17], s[86:87], v[54:55]
	v_add_nc_u64_e32 v[18:19], s[84:85], v[54:55]
	v_pk_add_f32 v[108:109], v[108:109], 0 op_sel_hi:[1,0]
	s_delay_alu instid0(VALU_DEP_1) | instskip(NEXT) | instid1(VALU_DEP_1)
	v_pk_add_f32 v[108:109], v[108:109], v[110:111]
	v_pk_add_f32 v[108:109], v[108:109], v[112:113]
	s_delay_alu instid0(VALU_DEP_1)
	v_pk_add_f32 v[108:109], v[108:109], v[114:115]
	s_wait_loadcnt_dscnt 0x301
	s_wait_xcnt 0x1
	v_dual_mul_f32 v10, v9, v73 :: v_dual_mul_f32 v21, v9, v72
	s_wait_loadcnt 0x2
	s_wait_xcnt 0x0
	v_dual_mul_f32 v11, v9, v69 :: v_dual_mul_f32 v23, v9, v68
	s_wait_loadcnt 0x1
	v_dual_mul_f32 v24, v9, v67 :: v_dual_mul_f32 v25, v9, v66
	s_wait_loadcnt 0x0
	v_dual_mul_f32 v26, v9, v65 :: v_dual_mul_f32 v27, v8, v65
	v_dual_fma_f32 v20, v8, v72, -v10 :: v_dual_fmac_f32 v21, v8, v73
	s_delay_alu instid0(VALU_DEP_3) | instskip(SKIP_1) | instid1(VALU_DEP_4)
	v_dual_fma_f32 v22, v8, v68, -v11 :: v_dual_fma_f32 v24, v8, v66, -v24
	v_dual_fmac_f32 v23, v8, v69 :: v_dual_fmac_f32 v25, v8, v67
	v_dual_fma_f32 v26, v8, v64, -v26 :: v_dual_fmac_f32 v27, v9, v64
	ds_load_b128 v[8:11], v95 offset:144
	ds_store_2addr_b64 v96, v[20:21], v[22:23] offset1:67
	ds_store_2addr_b64 v96, v[24:25], v[26:27] offset0:134 offset1:201
	s_wait_dscnt 0x0
	s_barrier_signal -1
	s_barrier_wait -1
	ds_load_2addr_b64 v[116:119], v97 offset1:1
	ds_load_2addr_b64 v[120:123], v97 offset0:2 offset1:3
	s_wait_dscnt 0x0
	s_barrier_signal -1
	s_barrier_wait -1
	s_clause 0x3
	global_load_b64 v[78:79], v[16:17], off
	global_load_b64 v[76:77], v[18:19], off
	global_load_b64 v[74:75], v[28:29], off
	global_load_b64 v[70:71], v[30:31], off
	s_wait_xcnt 0x3
	ds_load_b64 v[16:17], v88
	ds_load_b128 v[20:23], v95 offset:256
	v_add_nc_u64_e32 v[24:25], s[78:79], v[54:55]
	v_add_nc_u64_e32 v[26:27], s[76:77], v[54:55]
	v_pk_add_f32 v[116:117], v[116:117], 0 op_sel_hi:[1,0]
	s_delay_alu instid0(VALU_DEP_1) | instskip(NEXT) | instid1(VALU_DEP_1)
	v_pk_add_f32 v[110:111], v[116:117], v[118:119]
	v_pk_add_f32 v[110:111], v[110:111], v[120:121]
	s_delay_alu instid0(VALU_DEP_1)
	v_pk_add_f32 v[110:111], v[110:111], v[122:123]
	s_wait_loadcnt_dscnt 0x301
	s_wait_xcnt 0x1
	v_dual_mul_f32 v18, v17, v79 :: v_dual_mul_f32 v29, v17, v78
	s_wait_loadcnt 0x2
	s_wait_xcnt 0x0
	v_dual_mul_f32 v19, v17, v77 :: v_dual_mul_f32 v31, v17, v76
	s_wait_loadcnt 0x1
	v_dual_mul_f32 v80, v17, v75 :: v_dual_mul_f32 v81, v17, v74
	s_wait_loadcnt 0x0
	v_dual_mul_f32 v82, v17, v71 :: v_dual_mul_f32 v83, v16, v71
	v_dual_fma_f32 v28, v16, v78, -v18 :: v_dual_fmac_f32 v29, v16, v79
	s_delay_alu instid0(VALU_DEP_3) | instskip(SKIP_1) | instid1(VALU_DEP_4)
	v_dual_fma_f32 v30, v16, v76, -v19 :: v_dual_fma_f32 v80, v16, v74, -v80
	v_dual_fmac_f32 v31, v16, v77 :: v_dual_fmac_f32 v81, v16, v75
	v_dual_fma_f32 v82, v16, v70, -v82 :: v_dual_fmac_f32 v83, v17, v70
	ds_load_b128 v[16:19], v95 offset:272
	ds_store_2addr_b64 v96, v[28:29], v[30:31] offset1:67
	ds_store_2addr_b64 v96, v[80:81], v[82:83] offset0:134 offset1:201
	s_wait_dscnt 0x0
	s_barrier_signal -1
	s_barrier_wait -1
	ds_load_2addr_b64 v[124:127], v97 offset1:1
	ds_load_2addr_b64 v[128:131], v97 offset0:2 offset1:3
	s_wait_dscnt 0x0
	s_barrier_signal -1
	s_barrier_wait -1
	s_clause 0x3
	global_load_b64 v[86:87], v[24:25], off
	global_load_b64 v[84:85], v[26:27], off
	;; [unrolled: 1-line block ×4, first 2 shown]
	ds_load_b64 v[28:29], v88
	s_wait_xcnt 0x2
	ds_load_b128 v[24:27], v95 offset:384
	v_pk_add_f32 v[124:125], v[124:125], 0 op_sel_hi:[1,0]
	s_delay_alu instid0(VALU_DEP_1) | instskip(NEXT) | instid1(VALU_DEP_1)
	v_pk_add_f32 v[116:117], v[124:125], v[126:127]
	v_pk_add_f32 v[112:113], v[116:117], v[128:129]
	s_delay_alu instid0(VALU_DEP_1)
	v_pk_add_f32 v[112:113], v[112:113], v[130:131]
	s_wait_loadcnt_dscnt 0x301
	s_wait_xcnt 0x1
	v_dual_mul_f32 v30, v29, v87 :: v_dual_mul_f32 v133, v29, v86
	s_wait_loadcnt 0x2
	s_wait_xcnt 0x0
	v_dual_mul_f32 v31, v29, v85 :: v_dual_mul_f32 v135, v29, v84
	s_wait_loadcnt 0x1
	v_dual_mul_f32 v136, v29, v83 :: v_dual_mul_f32 v137, v29, v82
	s_wait_loadcnt 0x0
	v_dual_mul_f32 v138, v29, v81 :: v_dual_mul_f32 v139, v28, v81
	v_dual_fma_f32 v132, v28, v86, -v30 :: v_dual_fmac_f32 v133, v28, v87
	s_delay_alu instid0(VALU_DEP_3) | instskip(SKIP_1) | instid1(VALU_DEP_4)
	v_dual_fma_f32 v134, v28, v84, -v31 :: v_dual_fma_f32 v136, v28, v82, -v136
	v_dual_fmac_f32 v135, v28, v85 :: v_dual_fmac_f32 v137, v28, v83
	v_dual_fma_f32 v138, v28, v80, -v138 :: v_dual_fmac_f32 v139, v29, v80
	ds_load_b128 v[28:31], v95 offset:400
	ds_store_2addr_b64 v96, v[132:133], v[134:135] offset1:67
	ds_store_2addr_b64 v96, v[136:137], v[138:139] offset0:134 offset1:201
	s_wait_dscnt 0x0
	s_barrier_signal -1
	s_barrier_wait -1
	ds_load_2addr_b64 v[132:135], v97 offset1:1
	ds_load_2addr_b64 v[136:139], v97 offset0:2 offset1:3
	s_wait_dscnt 0x0
	s_barrier_signal -1
	s_barrier_wait -1
	v_pk_add_f32 v[132:133], v[132:133], 0 op_sel_hi:[1,0]
	s_delay_alu instid0(VALU_DEP_1) | instskip(NEXT) | instid1(VALU_DEP_1)
	v_pk_add_f32 v[118:119], v[132:133], v[134:135]
	v_pk_add_f32 v[116:117], v[118:119], v[136:137]
	s_delay_alu instid0(VALU_DEP_1)
	v_pk_add_f32 v[114:115], v[116:117], v[138:139]
	ds_store_2addr_b64 v107, v[108:109], v[110:111] offset1:16
	ds_store_2addr_b64 v107, v[112:113], v[114:115] offset0:32 offset1:48
	s_wait_dscnt 0x0
	s_barrier_signal -1
	s_barrier_wait -1
	s_and_saveexec_b32 s94, s18
	s_cbranch_execz .LBB120_67
; %bb.71:                               ;   in Loop: Header=BB120_68 Depth=2
	ds_load_b64 v[120:121], v98
	ds_load_2addr_b64 v[108:111], v98 offset0:1 offset1:2
	ds_load_2addr_b64 v[112:115], v98 offset0:3 offset1:4
	;; [unrolled: 1-line block ×3, first 2 shown]
	s_wait_dscnt 0x2
	v_dual_add_f32 v108, v108, v120 :: v_dual_add_f32 v109, v109, v121
	s_delay_alu instid0(VALU_DEP_1) | instskip(SKIP_3) | instid1(VALU_DEP_1)
	v_dual_add_f32 v120, v110, v108 :: v_dual_add_f32 v121, v111, v109
	ds_load_2addr_b64 v[108:111], v98 offset0:7 offset1:8
	s_wait_dscnt 0x2
	v_dual_add_f32 v112, v120, v112 :: v_dual_add_f32 v113, v121, v113
	v_dual_add_f32 v120, v112, v114 :: v_dual_add_f32 v121, v113, v115
	ds_load_2addr_b64 v[112:115], v98 offset0:9 offset1:10
	s_wait_dscnt 0x2
	v_pk_add_f32 v[116:117], v[120:121], v[116:117]
	s_delay_alu instid0(VALU_DEP_1) | instskip(SKIP_3) | instid1(VALU_DEP_1)
	v_pk_add_f32 v[120:121], v[116:117], v[118:119]
	ds_load_2addr_b64 v[116:119], v98 offset0:11 offset1:12
	s_wait_dscnt 0x2
	v_pk_add_f32 v[108:109], v[120:121], v[108:109]
	v_pk_add_f32 v[108:109], v[108:109], v[110:111]
	s_wait_dscnt 0x1
	s_delay_alu instid0(VALU_DEP_1)
	v_pk_add_f32 v[112:113], v[108:109], v[112:113]
	ds_load_2addr_b64 v[108:111], v98 offset0:13 offset1:14
	v_pk_add_f32 v[112:113], v[112:113], v[114:115]
	ds_load_b64 v[114:115], v99
	s_wait_dscnt 0x2
	v_pk_add_f32 v[112:113], v[112:113], v[116:117]
	s_delay_alu instid0(VALU_DEP_1) | instskip(SKIP_1) | instid1(VALU_DEP_1)
	v_pk_add_f32 v[112:113], v[112:113], v[118:119]
	s_wait_dscnt 0x1
	v_pk_add_f32 v[108:109], v[112:113], v[108:109]
	s_delay_alu instid0(VALU_DEP_1) | instskip(SKIP_2) | instid1(VALU_DEP_2)
	v_pk_add_f32 v[108:109], v[108:109], v[110:111]
	v_add_nc_u32_e32 v110, s36, v32
	s_wait_dscnt 0x0
	v_pk_add_f32 v[108:109], v[108:109], v[114:115]
	global_store_b64 v110, v[108:109], s[88:89] scale_offset
	s_branch .LBB120_67
.LBB120_72:                             ;   in Loop: Header=BB120_4 Depth=1
	ds_store_b64 v100, v[50:51]
	s_wait_dscnt 0x0
	s_barrier_signal -1
	s_barrier_wait -1
	s_and_saveexec_b32 s35, s92
	s_cbranch_execz .LBB120_2
; %bb.73:                               ;   in Loop: Header=BB120_4 Depth=1
	ds_load_2addr_b64 v[0:3], v33 offset1:67
	ds_load_2addr_b64 v[4:7], v33 offset0:134 offset1:201
	s_wait_dscnt 0x1
	v_pk_add_f32 v[0:1], v[2:3], v[0:1]
	v_lshl_add_u64 v[2:3], v[38:39], 3, s[88:89]
	s_wait_dscnt 0x0
	s_delay_alu instid0(VALU_DEP_2) | instskip(NEXT) | instid1(VALU_DEP_1)
	v_pk_add_f32 v[0:1], v[4:5], v[0:1]
	v_pk_add_f32 v[0:1], v[0:1], v[6:7]
	global_store_b64 v[2:3], v[0:1], off
	s_branch .LBB120_2
.LBB120_74:                             ;   in Loop: Header=BB120_4 Depth=1
	ds_load_b64 v[2:3], v104
	s_wait_dscnt 0x0
	ds_store_b64 v90, v[2:3]
	s_or_b32 exec_lo, exec_lo, s36
	s_and_saveexec_b32 s36, s8
	s_cbranch_execz .LBB120_25
.LBB120_75:                             ;   in Loop: Header=BB120_4 Depth=1
	ds_load_b64 v[2:3], v105
	s_wait_dscnt 0x0
	ds_store_b64 v90, v[2:3] offset:8
	s_or_b32 exec_lo, exec_lo, s36
	s_and_saveexec_b32 s36, s9
	s_cbranch_execz .LBB120_26
.LBB120_76:                             ;   in Loop: Header=BB120_4 Depth=1
	ds_load_b64 v[2:3], v105 offset:264
	s_wait_dscnt 0x0
	ds_store_b64 v90, v[2:3] offset:16
	s_or_b32 exec_lo, exec_lo, s36
	s_and_saveexec_b32 s36, s10
	s_cbranch_execnz .LBB120_27
	s_branch .LBB120_28
.LBB120_77:                             ;   in Loop: Header=BB120_4 Depth=1
	ds_load_b64 v[2:3], v104
	s_wait_dscnt 0x0
	ds_store_b64 v90, v[2:3]
	s_or_b32 exec_lo, exec_lo, s36
	s_and_saveexec_b32 s36, s8
	s_cbranch_execz .LBB120_44
.LBB120_78:                             ;   in Loop: Header=BB120_4 Depth=1
	ds_load_b64 v[2:3], v105
	s_wait_dscnt 0x0
	ds_store_b64 v90, v[2:3] offset:8
	s_or_b32 exec_lo, exec_lo, s36
	s_and_saveexec_b32 s36, s9
	s_cbranch_execz .LBB120_45
.LBB120_79:                             ;   in Loop: Header=BB120_4 Depth=1
	ds_load_b64 v[2:3], v105 offset:264
	s_wait_dscnt 0x0
	ds_store_b64 v90, v[2:3] offset:16
	s_or_b32 exec_lo, exec_lo, s36
	s_and_saveexec_b32 s36, s10
	s_cbranch_execnz .LBB120_46
	s_branch .LBB120_47
.LBB120_80:
	s_sendmsg sendmsg(MSG_DEALLOC_VGPRS)
	s_endpgm
	.section	.rodata,"a",@progbits
	.p2align	6, 0x0
	.amdhsa_kernel _ZL26rocblas_hemvn_kernel_lowerILb0ELi64ELi4ELi33ELi32ELi16El19rocblas_complex_numIfEPKS1_PS1_EviT6_lT7_lT5_lS6_lS7_lS5_lT8_i
		.amdhsa_group_segment_fixed_size 9600
		.amdhsa_private_segment_fixed_size 0
		.amdhsa_kernarg_size 376
		.amdhsa_user_sgpr_count 2
		.amdhsa_user_sgpr_dispatch_ptr 0
		.amdhsa_user_sgpr_queue_ptr 0
		.amdhsa_user_sgpr_kernarg_segment_ptr 1
		.amdhsa_user_sgpr_dispatch_id 0
		.amdhsa_user_sgpr_kernarg_preload_length 0
		.amdhsa_user_sgpr_kernarg_preload_offset 0
		.amdhsa_user_sgpr_private_segment_size 0
		.amdhsa_wavefront_size32 1
		.amdhsa_uses_dynamic_stack 0
		.amdhsa_enable_private_segment 0
		.amdhsa_system_sgpr_workgroup_id_x 1
		.amdhsa_system_sgpr_workgroup_id_y 0
		.amdhsa_system_sgpr_workgroup_id_z 1
		.amdhsa_system_sgpr_workgroup_info 0
		.amdhsa_system_vgpr_workitem_id 1
		.amdhsa_next_free_vgpr 140
		.amdhsa_next_free_sgpr 98
		.amdhsa_named_barrier_count 0
		.amdhsa_reserve_vcc 1
		.amdhsa_float_round_mode_32 0
		.amdhsa_float_round_mode_16_64 0
		.amdhsa_float_denorm_mode_32 3
		.amdhsa_float_denorm_mode_16_64 3
		.amdhsa_fp16_overflow 0
		.amdhsa_memory_ordered 1
		.amdhsa_forward_progress 1
		.amdhsa_inst_pref_size 56
		.amdhsa_round_robin_scheduling 0
		.amdhsa_exception_fp_ieee_invalid_op 0
		.amdhsa_exception_fp_denorm_src 0
		.amdhsa_exception_fp_ieee_div_zero 0
		.amdhsa_exception_fp_ieee_overflow 0
		.amdhsa_exception_fp_ieee_underflow 0
		.amdhsa_exception_fp_ieee_inexact 0
		.amdhsa_exception_int_div_zero 0
	.end_amdhsa_kernel
	.section	.text._ZL26rocblas_hemvn_kernel_lowerILb0ELi64ELi4ELi33ELi32ELi16El19rocblas_complex_numIfEPKS1_PS1_EviT6_lT7_lT5_lS6_lS7_lS5_lT8_i,"axG",@progbits,_ZL26rocblas_hemvn_kernel_lowerILb0ELi64ELi4ELi33ELi32ELi16El19rocblas_complex_numIfEPKS1_PS1_EviT6_lT7_lT5_lS6_lS7_lS5_lT8_i,comdat
.Lfunc_end120:
	.size	_ZL26rocblas_hemvn_kernel_lowerILb0ELi64ELi4ELi33ELi32ELi16El19rocblas_complex_numIfEPKS1_PS1_EviT6_lT7_lT5_lS6_lS7_lS5_lT8_i, .Lfunc_end120-_ZL26rocblas_hemvn_kernel_lowerILb0ELi64ELi4ELi33ELi32ELi16El19rocblas_complex_numIfEPKS1_PS1_EviT6_lT7_lT5_lS6_lS7_lS5_lT8_i
                                        ; -- End function
	.set _ZL26rocblas_hemvn_kernel_lowerILb0ELi64ELi4ELi33ELi32ELi16El19rocblas_complex_numIfEPKS1_PS1_EviT6_lT7_lT5_lS6_lS7_lS5_lT8_i.num_vgpr, 140
	.set _ZL26rocblas_hemvn_kernel_lowerILb0ELi64ELi4ELi33ELi32ELi16El19rocblas_complex_numIfEPKS1_PS1_EviT6_lT7_lT5_lS6_lS7_lS5_lT8_i.num_agpr, 0
	.set _ZL26rocblas_hemvn_kernel_lowerILb0ELi64ELi4ELi33ELi32ELi16El19rocblas_complex_numIfEPKS1_PS1_EviT6_lT7_lT5_lS6_lS7_lS5_lT8_i.numbered_sgpr, 98
	.set _ZL26rocblas_hemvn_kernel_lowerILb0ELi64ELi4ELi33ELi32ELi16El19rocblas_complex_numIfEPKS1_PS1_EviT6_lT7_lT5_lS6_lS7_lS5_lT8_i.num_named_barrier, 0
	.set _ZL26rocblas_hemvn_kernel_lowerILb0ELi64ELi4ELi33ELi32ELi16El19rocblas_complex_numIfEPKS1_PS1_EviT6_lT7_lT5_lS6_lS7_lS5_lT8_i.private_seg_size, 0
	.set _ZL26rocblas_hemvn_kernel_lowerILb0ELi64ELi4ELi33ELi32ELi16El19rocblas_complex_numIfEPKS1_PS1_EviT6_lT7_lT5_lS6_lS7_lS5_lT8_i.uses_vcc, 1
	.set _ZL26rocblas_hemvn_kernel_lowerILb0ELi64ELi4ELi33ELi32ELi16El19rocblas_complex_numIfEPKS1_PS1_EviT6_lT7_lT5_lS6_lS7_lS5_lT8_i.uses_flat_scratch, 0
	.set _ZL26rocblas_hemvn_kernel_lowerILb0ELi64ELi4ELi33ELi32ELi16El19rocblas_complex_numIfEPKS1_PS1_EviT6_lT7_lT5_lS6_lS7_lS5_lT8_i.has_dyn_sized_stack, 0
	.set _ZL26rocblas_hemvn_kernel_lowerILb0ELi64ELi4ELi33ELi32ELi16El19rocblas_complex_numIfEPKS1_PS1_EviT6_lT7_lT5_lS6_lS7_lS5_lT8_i.has_recursion, 0
	.set _ZL26rocblas_hemvn_kernel_lowerILb0ELi64ELi4ELi33ELi32ELi16El19rocblas_complex_numIfEPKS1_PS1_EviT6_lT7_lT5_lS6_lS7_lS5_lT8_i.has_indirect_call, 0
	.section	.AMDGPU.csdata,"",@progbits
; Kernel info:
; codeLenInByte = 7124
; TotalNumSgprs: 100
; NumVgprs: 140
; ScratchSize: 0
; MemoryBound: 1
; FloatMode: 240
; IeeeMode: 1
; LDSByteSize: 9600 bytes/workgroup (compile time only)
; SGPRBlocks: 0
; VGPRBlocks: 8
; NumSGPRsForWavesPerEU: 100
; NumVGPRsForWavesPerEU: 140
; NamedBarCnt: 0
; Occupancy: 7
; WaveLimiterHint : 1
; COMPUTE_PGM_RSRC2:SCRATCH_EN: 0
; COMPUTE_PGM_RSRC2:USER_SGPR: 2
; COMPUTE_PGM_RSRC2:TRAP_HANDLER: 0
; COMPUTE_PGM_RSRC2:TGID_X_EN: 1
; COMPUTE_PGM_RSRC2:TGID_Y_EN: 0
; COMPUTE_PGM_RSRC2:TGID_Z_EN: 1
; COMPUTE_PGM_RSRC2:TIDIG_COMP_CNT: 1
	.section	.text._ZL26rocblas_hemvn_kernel_lowerILb0ELi64ELi4ELi33ELi32ELi16Ei19rocblas_complex_numIfEPKS1_PS1_EviT6_lT7_lT5_lS6_lS7_lS5_lT8_i,"axG",@progbits,_ZL26rocblas_hemvn_kernel_lowerILb0ELi64ELi4ELi33ELi32ELi16Ei19rocblas_complex_numIfEPKS1_PS1_EviT6_lT7_lT5_lS6_lS7_lS5_lT8_i,comdat
	.globl	_ZL26rocblas_hemvn_kernel_lowerILb0ELi64ELi4ELi33ELi32ELi16Ei19rocblas_complex_numIfEPKS1_PS1_EviT6_lT7_lT5_lS6_lS7_lS5_lT8_i ; -- Begin function _ZL26rocblas_hemvn_kernel_lowerILb0ELi64ELi4ELi33ELi32ELi16Ei19rocblas_complex_numIfEPKS1_PS1_EviT6_lT7_lT5_lS6_lS7_lS5_lT8_i
	.p2align	8
	.type	_ZL26rocblas_hemvn_kernel_lowerILb0ELi64ELi4ELi33ELi32ELi16Ei19rocblas_complex_numIfEPKS1_PS1_EviT6_lT7_lT5_lS6_lS7_lS5_lT8_i,@function
_ZL26rocblas_hemvn_kernel_lowerILb0ELi64ELi4ELi33ELi32ELi16Ei19rocblas_complex_numIfEPKS1_PS1_EviT6_lT7_lT5_lS6_lS7_lS5_lT8_i: ; @_ZL26rocblas_hemvn_kernel_lowerILb0ELi64ELi4ELi33ELi32ELi16Ei19rocblas_complex_numIfEPKS1_PS1_EviT6_lT7_lT5_lS6_lS7_lS5_lT8_i
; %bb.0:
	s_clause 0x1
	s_load_b64 s[2:3], s[0:1], 0x84
	s_load_b32 s19, s[0:1], 0x70
	s_bfe_u32 s4, ttmp6, 0x40014
	s_lshr_b32 s5, ttmp7, 16
	s_add_co_i32 s4, s4, 1
	s_bfe_u32 s6, ttmp6, 0x40008
	s_mul_i32 s4, s5, s4
	s_getreg_b32 s10, hwreg(HW_REG_IB_STS2, 6, 4)
	s_add_co_i32 s6, s6, s4
	s_mov_b32 s29, 0
	s_wait_kmcnt 0x0
	s_lshr_b32 s4, s2, 16
	s_and_b32 s2, s2, 0xffff
	s_and_b32 s3, s3, 0xffff
	s_mul_i32 s2, s4, s2
	s_cmp_eq_u32 s10, 0
	s_mul_i32 s2, s2, s3
	s_cselect_b32 s28, s5, s6
	s_cmp_lg_u32 s2, 0x100
	s_cselect_b32 s2, -1, 0
	s_cmp_ge_u32 s28, s19
	s_cselect_b32 s3, -1, 0
	s_delay_alu instid0(SALU_CYCLE_1) | instskip(NEXT) | instid1(SALU_CYCLE_1)
	s_or_b32 s2, s2, s3
	s_and_b32 vcc_lo, exec_lo, s2
	s_cbranch_vccnz .LBB121_80
; %bb.1:
	s_clause 0x7
	s_load_b32 s2, s[0:1], 0x0
	s_load_b32 s86, s[0:1], 0x28
	s_load_b64 s[12:13], s[0:1], 0x4
	s_load_b96 s[16:18], s[0:1], 0x40
	s_load_b128 s[4:7], s[0:1], 0x18
	s_load_b128 s[20:23], s[0:1], 0x30
	;; [unrolled: 1-line block ×3, first 2 shown]
	s_load_b64 s[8:9], s[0:1], 0x68
	s_bfe_u32 s3, ttmp6, 0x4000c
	s_add_nc_u64 s[14:15], s[0:1], 0x78
	s_add_co_i32 s3, s3, 1
	s_wait_xcnt 0x0
	s_and_b32 s0, ttmp6, 15
	s_mul_i32 s1, ttmp9, s3
	v_and_b32_e32 v32, 0x3ff, v0
	s_add_co_i32 s0, s0, s1
	v_bfe_u32 v1, v0, 10, 10
	s_mov_b64 s[80:81], 0xffffffffffffff00
	v_mov_b32_e32 v35, 0
	s_wait_kmcnt 0x0
	s_ashr_i32 s3, s2, 31
	s_ashr_i32 s87, s86, 31
	s_cmp_eq_u32 s10, 0
	v_lshl_add_u32 v6, v1, 6, v32
	s_cselect_b32 s33, ttmp9, s0
	s_or_b32 s0, s12, s13
	s_load_b32 s12, s[14:15], 0x0
	s_bitset0_b32 s0, 31
	s_lshl_b64 s[10:11], s[16:17], 3
	s_lshl_b64 s[6:7], s[6:7], 3
	s_cmp_lg_u32 s0, 0
	v_dual_lshrrev_b32 v7, 5, v6 :: v_dual_bitop2_b32 v34, 31, v0 bitop3:0x40
	s_cselect_b32 s78, -1, 0
	s_cmp_neq_f32 s26, 1.0
	s_add_nc_u64 s[4:5], s[4:5], s[6:7]
	s_delay_alu instid0(VALU_DEP_1)
	v_mul_u32_u24_e32 v16, 33, v34
	v_mad_u32 v2, s86, v7, v34
	s_cselect_b32 s48, -1, 0
	s_cmp_neq_f32 s27, 0
	v_dual_lshlrev_b32 v10, 2, v7 :: v_dual_add_nc_u32 v11, 24, v7
	v_dual_add_nc_u32 v8, 8, v7 :: v_dual_add_nc_u32 v9, 16, v7
	s_cselect_b32 s49, -1, 0
	s_lshl_b32 s44, s33, 6
	s_delay_alu instid0(SALU_CYCLE_1)
	v_dual_lshlrev_b32 v88, 3, v32 :: v_dual_add_nc_u32 v36, s44, v32
	s_lshr_b32 s1, s3, 26
	s_wait_kmcnt 0x0
	s_add_co_i32 s14, s12, -1
	s_add_co_i32 s1, s2, s1
	v_ashrrev_i32_e32 v3, 31, v2
	s_and_not1_b32 s1, s1, 63
	v_mul_lo_u32 v4, s18, v36
	s_sub_co_i32 s1, s2, s1
	s_cmp_eq_u32 s33, s14
	v_dual_lshlrev_b32 v17, 3, v7 :: v_dual_bitop2_b32 v15, 2, v10 bitop3:0x54
	s_cselect_b32 s30, s1, 0
	s_mov_b32 s13, s29
	s_cmp_eq_u32 s30, 0
	s_add_nc_u64 s[10:11], s[22:23], s[10:11]
	s_cselect_b32 s92, -1, 0
	s_cmp_lg_u32 s30, 0
	s_delay_alu instid0(VALU_DEP_2)
	v_ashrrev_i32_e32 v5, 31, v4
	s_cselect_b32 s1, -1, 0
	s_ashr_i32 s45, s44, 31
	s_sub_co_i32 s16, s30, 32
	s_lshl_b64 s[6:7], s[44:45], 3
	s_mul_u64 s[26:27], s[12:13], s[2:3]
	s_add_nc_u64 s[4:5], s[4:5], s[6:7]
	v_lshl_add_u64 v[38:39], v[4:5], 3, s[10:11]
	s_mul_i32 s2, s2, s33
	v_lshl_add_u64 v[4:5], v[2:3], 3, s[4:5]
	v_cmp_gt_i32_e64 s4, s30, v8
	v_cmp_gt_i32_e64 s14, s16, v8
	v_mul_lo_u32 v8, v1, s86
	v_lshl_add_u32 v93, v16, 3, v17
	s_ashr_i32 s3, s2, 31
	s_mul_i32 s46, s86, s44
	s_lshl_b64 s[2:3], s[2:3], 3
	s_ashr_i32 s47, s46, 31
	s_add_nc_u64 s[22:23], s[8:9], s[2:3]
	v_lshl_add_u64 v[40:41], s[46:47], 3, v[4:5]
	v_lshlrev_b32_e32 v4, 3, v34
	v_mul_u32_u24_e32 v5, 0x108, v7
	v_cmp_gt_i32_e64 s3, s30, v7
	v_cmp_gt_i32_e64 s5, s30, v9
	v_mul_u32_u24_e32 v14, 0x420, v7
	v_cmp_gt_i32_e64 s13, s16, v7
	v_cmp_gt_i32_e64 s15, s16, v9
	v_cmp_eq_u32_e64 s17, 1, v7
	v_mul_i32_i24_e32 v9, 0xffffffe8, v7
	v_mad_u32_u24 v94, v7, 24, v93
	v_lshrrev_b32_e32 v7, 4, v6
	v_cmp_le_i32_e32 vcc_lo, s30, v32
	v_lshl_or_b32 v90, v34, 8, v4
	v_and_b32_e32 v12, 0x7fe0, v6
	v_or_b32_e32 v13, 1, v10
	v_cmp_lt_u32_e64 s7, v10, v34
	v_dual_mov_b32 v33, v35 :: v_dual_bitop2_b32 v10, 3, v10 bitop3:0x54
	v_lshl_add_u32 v44, v8, 2, v32
	v_and_b32_e32 v8, 15, v0
	v_sub_nc_u64_e32 v[46:47], 0, v[2:3]
	v_dual_lshlrev_b32 v2, 5, v7 :: v_dual_bitop2_b32 v0, 48, v0 bitop3:0x40
	s_and_b32 s1, s1, vcc_lo
	s_lshl_b32 s34, s86, 3
	s_lshl_b32 s36, s86, 4
	s_mul_i32 s38, s86, 24
	v_add_nc_u32_e32 v91, v90, v12
	v_cmp_lt_u32_e64 s8, v13, v34
	v_mul_u32_u24_e32 v13, 0x108, v13
	v_cmp_lt_u32_e64 s10, v10, v34
	v_add_nc_u32_e32 v92, 0x2380, v12
	v_dual_ashrrev_i32 v45, 31, v44 :: v_dual_bitop2_b32 v10, 32, v34 bitop3:0x54
	s_lshl_b32 s40, s86, 5
	s_mul_i32 s44, s18, s44
	v_dual_lshlrev_b32 v0, 3, v0 :: v_dual_add_nc_u32 v102, v4, v5
	v_or_b32_e32 v3, 0x78, v88
	v_mad_u32_u24 v96, 0x218, v8, v2
	v_mul_i32_i24_e32 v2, 0xffffffe8, v7
	s_ashr_i32 s35, s34, 31
	s_ashr_i32 s37, s36, 31
	;; [unrolled: 1-line block ×5, first 2 shown]
	s_xor_b32 s50, s1, -1
	s_ashr_i32 s45, s44, 31
	v_cmp_eq_u32_e64 s0, 0, v1
	v_sub_nc_u64_e32 v[42:43], 0, v[34:35]
	s_cmp_gt_i32 s33, 0
	v_sub_nc_u64_e32 v[48:49], 0, v[32:33]
	v_add_nc_u32_e32 v89, 0x2380, v88
	v_cmp_gt_i32_e64 s2, s30, v34
	v_cmp_gt_i32_e64 s6, s30, v11
	v_cmp_lt_u32_e64 s9, v15, v34
	v_cmp_gt_u32_e64 s11, 32, v6
	v_cmp_gt_i32_e64 s12, s30, v10
	v_cmp_gt_i32_e64 s16, s16, v11
	s_cselect_b32 s93, -1, 0
	s_lshl_b32 s94, s18, 6
	v_lshl_add_u32 v33, v1, 5, 0x2180
	v_mad_u32_u24 v95, 0x860, v1, v88
	v_cmp_gt_u32_e64 s18, 64, v6
	v_mad_u32_u24 v97, 0x218, v8, v0
	v_mad_u32_u24 v98, 0x218, v8, v3
	;; [unrolled: 1-line block ×3, first 2 shown]
	v_dual_ashrrev_i32 v37, 31, v36 :: v_dual_add_nc_u32 v103, v4, v14
	v_add_nc_u32_e32 v100, 0x2380, v17
	v_cndmask_b32_e64 v101, 0, 1, s78
	v_dual_add_nc_u32 v104, v4, v13 :: v_dual_lshlrev_b32 v34, 3, v34
	v_add_nc_u32_e32 v105, v92, v9
	v_add_nc_u32_e32 v106, v96, v2
	s_or_b32 s79, s48, s49
	s_sub_nc_u64 s[42:43], 0, s[40:41]
	s_sub_nc_u64 s[44:45], 0, s[44:45]
	;; [unrolled: 1-line block ×3, first 2 shown]
	s_and_b32 s95, s0, s50
	s_lshl_b64 s[48:49], s[86:87], 6
	s_sub_nc_u64 s[50:51], 0, s[30:31]
	s_lshl_b64 s[52:53], s[86:87], 3
	s_lshl_b64 s[54:55], s[86:87], 9
	;; [unrolled: 1-line block ×3, first 2 shown]
	s_mul_u64 s[58:59], s[86:87], 24
	s_mul_u64 s[60:61], s[86:87], 0x90
	;; [unrolled: 1-line block ×10, first 2 shown]
	s_or_b32 s96, s79, s78
	s_mov_b64 s[78:79], 0xfffffffffffffef8
	s_lshl_b64 s[82:83], s[86:87], 8
	s_mul_u64 s[84:85], s[86:87], 0x88
	s_lshl_b64 s[86:87], s[86:87], 7
	s_branch .LBB121_4
.LBB121_2:                              ;   in Loop: Header=BB121_4 Depth=1
	s_wait_xcnt 0x0
	s_or_b32 exec_lo, exec_lo, s90
.LBB121_3:                              ;   in Loop: Header=BB121_4 Depth=1
	s_add_co_i32 s28, s28, 0x10000
	s_delay_alu instid0(SALU_CYCLE_1)
	s_cmp_lt_u32 s28, s19
	s_cbranch_scc0 .LBB121_80
.LBB121_4:                              ; =>This Loop Header: Depth=1
                                        ;     Child Loop BB121_68 Depth 2
	s_and_not1_b32 vcc_lo, exec_lo, s96
	s_cbranch_vccnz .LBB121_3
; %bb.5:                                ;   in Loop: Header=BB121_4 Depth=1
	v_cmp_ne_u32_e32 vcc_lo, 1, v101
	s_cbranch_vccnz .LBB121_3
; %bb.6:                                ;   in Loop: Header=BB121_4 Depth=1
	s_mul_u64 s[88:89], s[24:25], s[28:29]
	s_delay_alu instid0(SALU_CYCLE_1)
	v_lshl_add_u64 v[16:17], s[88:89], 3, v[38:39]
	s_and_saveexec_b32 s88, s0
	s_cbranch_execz .LBB121_11
; %bb.7:                                ;   in Loop: Header=BB121_4 Depth=1
	s_and_saveexec_b32 s89, s1
	s_delay_alu instid0(SALU_CYCLE_1)
	s_xor_b32 s89, exec_lo, s89
; %bb.8:                                ;   in Loop: Header=BB121_4 Depth=1
	v_mov_b64_e32 v[0:1], 0
	ds_store_b64 v89, v[0:1]
; %bb.9:                                ;   in Loop: Header=BB121_4 Depth=1
	s_and_not1_saveexec_b32 s89, s89
	s_cbranch_execz .LBB121_11
; %bb.10:                               ;   in Loop: Header=BB121_4 Depth=1
	global_load_b64 v[0:1], v[16:17], off
	s_wait_loadcnt 0x0
	ds_store_b64 v89, v[0:1]
.LBB121_11:                             ;   in Loop: Header=BB121_4 Depth=1
	s_wait_xcnt 0x0
	s_or_b32 exec_lo, exec_lo, s88
	s_mul_u64 s[88:89], s[20:21], s[28:29]
	s_and_not1_b32 vcc_lo, exec_lo, s92
	v_lshl_add_u64 v[0:1], s[88:89], 3, v[40:41]
	s_mov_b32 s88, -1
	s_cbranch_vccnz .LBB121_13
; %bb.12:                               ;   in Loop: Header=BB121_4 Depth=1
	s_delay_alu instid0(VALU_DEP_1) | instskip(SKIP_1) | instid1(VALU_DEP_1)
	v_lshl_add_u64 v[2:3], s[34:35], 3, v[0:1]
	s_mov_b32 s88, 0
	v_add_nc_u64_e32 v[4:5], s[48:49], v[2:3]
	s_delay_alu instid0(VALU_DEP_1)
	v_add_nc_u64_e32 v[6:7], s[48:49], v[4:5]
	s_clause 0x3
	global_load_b64 v[8:9], v[0:1], off
	global_load_b64 v[2:3], v[2:3], off
	;; [unrolled: 1-line block ×4, first 2 shown]
	s_wait_loadcnt 0x3
	ds_store_b64 v102, v[8:9]
	s_wait_loadcnt 0x2
	ds_store_b64 v102, v[2:3] offset:2112
	s_wait_loadcnt 0x1
	ds_store_b64 v102, v[4:5] offset:4224
	;; [unrolled: 2-line block ×3, first 2 shown]
.LBB121_13:                             ;   in Loop: Header=BB121_4 Depth=1
	s_and_not1_b32 vcc_lo, exec_lo, s88
	s_cbranch_vccnz .LBB121_23
; %bb.14:                               ;   in Loop: Header=BB121_4 Depth=1
	s_wait_xcnt 0x2
	v_lshl_add_u64 v[2:3], v[42:43], 3, v[0:1]
	s_wait_xcnt 0x0
	v_dual_mov_b32 v6, 0 :: v_dual_mov_b32 v4, 0
	v_mov_b32_e32 v5, 0
	s_delay_alu instid0(VALU_DEP_3) | instskip(NEXT) | instid1(VALU_DEP_1)
	v_lshl_add_u64 v[2:3], s[30:31], 3, v[2:3]
	v_add_nc_u64_e32 v[2:3], -8, v[2:3]
	s_delay_alu instid0(VALU_DEP_1)
	v_dual_cndmask_b32 v3, v3, v1, s2 :: v_dual_cndmask_b32 v2, v2, v0, s2
	s_and_saveexec_b32 s88, s3
	s_cbranch_execz .LBB121_16
; %bb.15:                               ;   in Loop: Header=BB121_4 Depth=1
	global_load_b64 v[4:5], v[2:3], off
.LBB121_16:                             ;   in Loop: Header=BB121_4 Depth=1
	s_wait_xcnt 0x0
	s_or_b32 exec_lo, exec_lo, s88
	v_mov_b32_e32 v7, 0
	s_wait_loadcnt 0x0
	ds_store_b64 v102, v[4:5]
	s_and_saveexec_b32 s88, s4
	s_cbranch_execz .LBB121_18
; %bb.17:                               ;   in Loop: Header=BB121_4 Depth=1
	v_lshl_add_u64 v[4:5], s[34:35], 3, v[2:3]
	global_load_b64 v[6:7], v[4:5], off
.LBB121_18:                             ;   in Loop: Header=BB121_4 Depth=1
	s_wait_xcnt 0x0
	s_or_b32 exec_lo, exec_lo, s88
	v_dual_mov_b32 v4, 0 :: v_dual_mov_b32 v8, 0
	v_mov_b32_e32 v9, 0
	s_wait_loadcnt 0x0
	ds_store_b64 v102, v[6:7] offset:2112
	s_and_saveexec_b32 s88, s5
	s_cbranch_execz .LBB121_20
; %bb.19:                               ;   in Loop: Header=BB121_4 Depth=1
	v_lshl_add_u64 v[6:7], s[36:37], 3, v[2:3]
	global_load_b64 v[8:9], v[6:7], off
.LBB121_20:                             ;   in Loop: Header=BB121_4 Depth=1
	s_wait_xcnt 0x0
	s_or_b32 exec_lo, exec_lo, s88
	v_mov_b32_e32 v5, 0
	s_wait_loadcnt 0x0
	ds_store_b64 v102, v[8:9] offset:4224
	s_and_saveexec_b32 s88, s6
	s_cbranch_execz .LBB121_22
; %bb.21:                               ;   in Loop: Header=BB121_4 Depth=1
	v_lshl_add_u64 v[4:5], s[38:39], 3, v[2:3]
	global_load_b64 v[4:5], v[4:5], off
.LBB121_22:                             ;   in Loop: Header=BB121_4 Depth=1
	s_wait_xcnt 0x0
	s_or_b32 exec_lo, exec_lo, s88
	v_add_nc_u64_e32 v[2:3], v[2:3], v[34:35]
	s_wait_loadcnt 0x0
	ds_store_b64 v102, v[4:5] offset:6336
	v_lshl_add_u64 v[2:3], s[50:51], 3, v[2:3]
	s_delay_alu instid0(VALU_DEP_1) | instskip(NEXT) | instid1(VALU_DEP_1)
	v_add_nc_u64_e32 v[2:3], 8, v[2:3]
	v_dual_cndmask_b32 v1, v3, v1, s2 :: v_dual_cndmask_b32 v0, v2, v0, s2
.LBB121_23:                             ;   in Loop: Header=BB121_4 Depth=1
	s_wait_dscnt 0x0
	s_barrier_signal -1
	s_barrier_wait -1
	s_wait_xcnt 0x0
	s_and_saveexec_b32 s88, s7
	s_cbranch_execnz .LBB121_74
; %bb.24:                               ;   in Loop: Header=BB121_4 Depth=1
	s_or_b32 exec_lo, exec_lo, s88
	s_and_saveexec_b32 s88, s8
	s_cbranch_execnz .LBB121_75
.LBB121_25:                             ;   in Loop: Header=BB121_4 Depth=1
	s_or_b32 exec_lo, exec_lo, s88
	s_and_saveexec_b32 s88, s9
	s_cbranch_execnz .LBB121_76
.LBB121_26:                             ;   in Loop: Header=BB121_4 Depth=1
	s_or_b32 exec_lo, exec_lo, s88
	s_and_saveexec_b32 s88, s10
	s_cbranch_execz .LBB121_28
.LBB121_27:                             ;   in Loop: Header=BB121_4 Depth=1
	ds_load_b64 v[2:3], v104 offset:528
	s_wait_dscnt 0x0
	ds_store_b64 v91, v[2:3] offset:24
.LBB121_28:                             ;   in Loop: Header=BB121_4 Depth=1
	s_or_b32 exec_lo, exec_lo, s88
	s_wait_dscnt 0x0
	s_barrier_signal -1
	s_barrier_wait -1
	ds_load_b64 v[14:15], v103
	ds_load_b128 v[2:5], v92
	ds_load_2addr_b64 v[6:9], v104 offset1:33
	ds_load_b128 v[10:13], v92 offset:16
	ds_load_b64 v[18:19], v104 offset:528
	v_mov_b64_e32 v[50:51], 0
	s_wait_dscnt 0x0
	s_barrier_signal -1
	s_barrier_wait -1
	v_pk_mul_f32 v[20:21], v[2:3], v[14:15] op_sel:[1,1] op_sel_hi:[0,1]
	v_dual_mov_b32 v22, v5 :: v_dual_mov_b32 v23, v4
	v_pk_mul_f32 v[24:25], v[10:11], v[8:9] op_sel:[1,1] op_sel_hi:[0,1]
	v_dual_mov_b32 v28, v13 :: v_dual_mov_b32 v29, v12
	s_delay_alu instid0(VALU_DEP_4) | instskip(NEXT) | instid1(VALU_DEP_4)
	v_pk_fma_f32 v[26:27], v[2:3], v[14:15], v[20:21] op_sel_hi:[1,0,1]
	v_pk_mul_f32 v[22:23], v[22:23], v[6:7] op_sel:[0,1]
	v_pk_fma_f32 v[2:3], v[2:3], v[14:15], v[20:21] neg_lo:[0,0,1] neg_hi:[0,0,1]
	v_pk_fma_f32 v[20:21], v[10:11], v[8:9], v[24:25] op_sel_hi:[1,0,1]
	s_delay_alu instid0(VALU_DEP_3)
	v_pk_fma_f32 v[14:15], v[4:5], v[6:7], v[22:23] op_sel_hi:[1,0,1]
	v_mov_b32_e32 v3, v27
	v_pk_fma_f32 v[4:5], v[4:5], v[6:7], v[22:23] neg_lo:[0,0,1] neg_hi:[0,0,1]
	v_pk_mul_f32 v[26:27], v[28:29], v[18:19] op_sel:[0,1]
	v_pk_fma_f32 v[6:7], v[10:11], v[8:9], v[24:25] neg_lo:[0,0,1] neg_hi:[0,0,1]
	v_mov_b32_e32 v5, v15
	v_pk_add_f32 v[2:3], v[2:3], 0 op_sel_hi:[1,0]
	s_delay_alu instid0(VALU_DEP_4) | instskip(SKIP_1) | instid1(VALU_DEP_3)
	v_pk_fma_f32 v[8:9], v[12:13], v[18:19], v[26:27] op_sel_hi:[1,0,1]
	v_mov_b32_e32 v7, v21
	v_pk_add_f32 v[2:3], v[2:3], v[4:5]
	v_pk_fma_f32 v[4:5], v[12:13], v[18:19], v[26:27] neg_lo:[0,0,1] neg_hi:[0,0,1]
	s_delay_alu instid0(VALU_DEP_4) | instskip(NEXT) | instid1(VALU_DEP_3)
	v_mov_b32_e32 v5, v9
	v_pk_add_f32 v[2:3], v[2:3], v[6:7]
	s_delay_alu instid0(VALU_DEP_1)
	v_pk_add_f32 v[2:3], v[2:3], v[4:5]
	ds_store_b64 v93, v[2:3]
	s_wait_dscnt 0x0
	s_barrier_signal -1
	s_barrier_wait -1
	s_and_saveexec_b32 s88, s11
	s_cbranch_execz .LBB121_30
; %bb.29:                               ;   in Loop: Header=BB121_4 Depth=1
	ds_load_2addr_b64 v[2:5], v90 offset1:7
	ds_load_2addr_b64 v[6:9], v90 offset0:1 offset1:2
	ds_load_2addr_b64 v[10:13], v90 offset0:3 offset1:4
	;; [unrolled: 1-line block ×3, first 2 shown]
	s_wait_dscnt 0x2
	v_dual_add_f32 v2, v6, v2 :: v_dual_add_f32 v3, v7, v3
	s_delay_alu instid0(VALU_DEP_1) | instskip(SKIP_1) | instid1(VALU_DEP_1)
	v_dual_add_f32 v2, v8, v2 :: v_dual_add_f32 v3, v9, v3
	s_wait_dscnt 0x1
	v_dual_add_f32 v2, v2, v10 :: v_dual_add_f32 v3, v3, v11
	s_delay_alu instid0(VALU_DEP_1) | instskip(SKIP_1) | instid1(VALU_DEP_1)
	v_dual_add_f32 v2, v2, v12 :: v_dual_add_f32 v3, v3, v13
	s_wait_dscnt 0x0
	v_dual_add_f32 v2, v2, v18 :: v_dual_add_f32 v3, v3, v19
	s_delay_alu instid0(VALU_DEP_1) | instskip(NEXT) | instid1(VALU_DEP_1)
	v_dual_add_f32 v2, v2, v20 :: v_dual_add_f32 v3, v3, v21
	v_pk_add_f32 v[50:51], v[2:3], v[4:5]
.LBB121_30:                             ;   in Loop: Header=BB121_4 Depth=1
	s_or_b32 exec_lo, exec_lo, s88
	v_lshl_add_u64 v[2:3], s[40:41], 3, v[0:1]
	s_and_not1_b32 vcc_lo, exec_lo, s92
	s_mov_b32 s88, -1
	s_barrier_signal -1
	s_barrier_wait -1
	s_cbranch_vccnz .LBB121_32
; %bb.31:                               ;   in Loop: Header=BB121_4 Depth=1
	v_lshl_add_u64 v[0:1], s[34:35], 3, v[2:3]
	s_mov_b32 s88, 0
	s_delay_alu instid0(VALU_DEP_1) | instskip(NEXT) | instid1(VALU_DEP_1)
	v_add_nc_u64_e32 v[4:5], s[48:49], v[0:1]
	v_add_nc_u64_e32 v[6:7], s[48:49], v[4:5]
	s_clause 0x3
	global_load_b64 v[8:9], v[2:3], off offset:256
	global_load_b64 v[0:1], v[0:1], off offset:256
	;; [unrolled: 1-line block ×4, first 2 shown]
	s_wait_loadcnt 0x3
	ds_store_b64 v102, v[8:9]
	s_wait_loadcnt 0x2
	ds_store_b64 v102, v[0:1] offset:2112
	s_wait_loadcnt 0x1
	ds_store_b64 v102, v[4:5] offset:4224
	;; [unrolled: 2-line block ×3, first 2 shown]
.LBB121_32:                             ;   in Loop: Header=BB121_4 Depth=1
	s_wait_xcnt 0x2
	v_add_nc_u64_e32 v[0:1], 0x100, v[2:3]
	s_and_not1_b32 vcc_lo, exec_lo, s88
	s_cbranch_vccnz .LBB121_42
; %bb.33:                               ;   in Loop: Header=BB121_4 Depth=1
	v_lshl_add_u64 v[2:3], v[42:43], 3, v[2:3]
	s_wait_xcnt 0x0
	v_dual_mov_b32 v6, 0 :: v_dual_mov_b32 v4, 0
	v_mov_b32_e32 v5, 0
	s_delay_alu instid0(VALU_DEP_3) | instskip(NEXT) | instid1(VALU_DEP_1)
	v_lshl_add_u64 v[2:3], s[30:31], 3, v[2:3]
	v_add_nc_u64_e32 v[2:3], -8, v[2:3]
	s_delay_alu instid0(VALU_DEP_1)
	v_dual_cndmask_b32 v3, v3, v1, s12 :: v_dual_cndmask_b32 v2, v2, v0, s12
	s_and_saveexec_b32 s88, s13
	s_cbranch_execz .LBB121_35
; %bb.34:                               ;   in Loop: Header=BB121_4 Depth=1
	global_load_b64 v[4:5], v[2:3], off
.LBB121_35:                             ;   in Loop: Header=BB121_4 Depth=1
	s_wait_xcnt 0x0
	s_or_b32 exec_lo, exec_lo, s88
	v_mov_b32_e32 v7, 0
	s_wait_loadcnt 0x0
	ds_store_b64 v102, v[4:5]
	s_and_saveexec_b32 s88, s14
	s_cbranch_execz .LBB121_37
; %bb.36:                               ;   in Loop: Header=BB121_4 Depth=1
	v_lshl_add_u64 v[4:5], s[34:35], 3, v[2:3]
	global_load_b64 v[6:7], v[4:5], off
.LBB121_37:                             ;   in Loop: Header=BB121_4 Depth=1
	s_wait_xcnt 0x0
	s_or_b32 exec_lo, exec_lo, s88
	v_dual_mov_b32 v4, 0 :: v_dual_mov_b32 v8, 0
	v_mov_b32_e32 v9, 0
	s_wait_loadcnt 0x0
	ds_store_b64 v102, v[6:7] offset:2112
	s_and_saveexec_b32 s88, s15
	s_cbranch_execz .LBB121_39
; %bb.38:                               ;   in Loop: Header=BB121_4 Depth=1
	v_lshl_add_u64 v[6:7], s[36:37], 3, v[2:3]
	global_load_b64 v[8:9], v[6:7], off
.LBB121_39:                             ;   in Loop: Header=BB121_4 Depth=1
	s_wait_xcnt 0x0
	s_or_b32 exec_lo, exec_lo, s88
	v_mov_b32_e32 v5, 0
	s_wait_loadcnt 0x0
	ds_store_b64 v102, v[8:9] offset:4224
	s_and_saveexec_b32 s88, s16
	s_cbranch_execz .LBB121_41
; %bb.40:                               ;   in Loop: Header=BB121_4 Depth=1
	v_lshl_add_u64 v[4:5], s[38:39], 3, v[2:3]
	global_load_b64 v[4:5], v[4:5], off
.LBB121_41:                             ;   in Loop: Header=BB121_4 Depth=1
	s_wait_xcnt 0x0
	s_or_b32 exec_lo, exec_lo, s88
	v_add_nc_u64_e32 v[2:3], v[2:3], v[34:35]
	s_wait_loadcnt 0x0
	ds_store_b64 v102, v[4:5] offset:6336
	v_lshl_add_u64 v[2:3], s[50:51], 3, v[2:3]
	s_delay_alu instid0(VALU_DEP_1) | instskip(NEXT) | instid1(VALU_DEP_1)
	v_add_nc_u64_e32 v[2:3], 0x108, v[2:3]
	v_dual_cndmask_b32 v1, v3, v1, s12 :: v_dual_cndmask_b32 v0, v2, v0, s12
.LBB121_42:                             ;   in Loop: Header=BB121_4 Depth=1
	s_wait_dscnt 0x0
	s_barrier_signal -1
	s_barrier_wait -1
	s_wait_xcnt 0x0
	s_and_saveexec_b32 s88, s7
	s_cbranch_execnz .LBB121_77
; %bb.43:                               ;   in Loop: Header=BB121_4 Depth=1
	s_or_b32 exec_lo, exec_lo, s88
	s_and_saveexec_b32 s88, s8
	s_cbranch_execnz .LBB121_78
.LBB121_44:                             ;   in Loop: Header=BB121_4 Depth=1
	s_or_b32 exec_lo, exec_lo, s88
	s_and_saveexec_b32 s88, s9
	s_cbranch_execnz .LBB121_79
.LBB121_45:                             ;   in Loop: Header=BB121_4 Depth=1
	s_or_b32 exec_lo, exec_lo, s88
	s_and_saveexec_b32 s88, s10
	s_cbranch_execz .LBB121_47
.LBB121_46:                             ;   in Loop: Header=BB121_4 Depth=1
	ds_load_b64 v[2:3], v104 offset:528
	s_wait_dscnt 0x0
	ds_store_b64 v91, v[2:3] offset:24
.LBB121_47:                             ;   in Loop: Header=BB121_4 Depth=1
	s_or_b32 exec_lo, exec_lo, s88
	s_wait_dscnt 0x0
	s_barrier_signal -1
	s_barrier_wait -1
	ds_load_b64 v[14:15], v103
	ds_load_b128 v[2:5], v92 offset:256
	ds_load_2addr_b64 v[6:9], v104 offset1:33
	ds_load_b128 v[10:13], v92 offset:272
	ds_load_b64 v[18:19], v104 offset:528
	s_wait_dscnt 0x0
	s_barrier_signal -1
	s_barrier_wait -1
	v_pk_mul_f32 v[20:21], v[2:3], v[14:15] op_sel:[1,1] op_sel_hi:[0,1]
	v_dual_mov_b32 v22, v5 :: v_dual_mov_b32 v23, v4
	v_pk_mul_f32 v[24:25], v[10:11], v[8:9] op_sel:[1,1] op_sel_hi:[0,1]
	v_dual_mov_b32 v28, v13 :: v_dual_mov_b32 v29, v12
	s_delay_alu instid0(VALU_DEP_4) | instskip(NEXT) | instid1(VALU_DEP_4)
	v_pk_fma_f32 v[26:27], v[2:3], v[14:15], v[20:21] op_sel_hi:[1,0,1]
	v_pk_mul_f32 v[22:23], v[22:23], v[6:7] op_sel:[0,1]
	v_pk_fma_f32 v[2:3], v[2:3], v[14:15], v[20:21] neg_lo:[0,0,1] neg_hi:[0,0,1]
	v_pk_fma_f32 v[20:21], v[10:11], v[8:9], v[24:25] op_sel_hi:[1,0,1]
	s_delay_alu instid0(VALU_DEP_3)
	v_pk_fma_f32 v[14:15], v[4:5], v[6:7], v[22:23] op_sel_hi:[1,0,1]
	v_mov_b32_e32 v3, v27
	v_pk_fma_f32 v[4:5], v[4:5], v[6:7], v[22:23] neg_lo:[0,0,1] neg_hi:[0,0,1]
	v_pk_mul_f32 v[26:27], v[28:29], v[18:19] op_sel:[0,1]
	v_pk_fma_f32 v[6:7], v[10:11], v[8:9], v[24:25] neg_lo:[0,0,1] neg_hi:[0,0,1]
	v_mov_b32_e32 v5, v15
	v_pk_add_f32 v[2:3], v[2:3], 0 op_sel_hi:[1,0]
	s_delay_alu instid0(VALU_DEP_4) | instskip(SKIP_1) | instid1(VALU_DEP_3)
	v_pk_fma_f32 v[8:9], v[12:13], v[18:19], v[26:27] op_sel_hi:[1,0,1]
	v_mov_b32_e32 v7, v21
	v_pk_add_f32 v[2:3], v[2:3], v[4:5]
	v_pk_fma_f32 v[4:5], v[12:13], v[18:19], v[26:27] neg_lo:[0,0,1] neg_hi:[0,0,1]
	s_delay_alu instid0(VALU_DEP_4) | instskip(NEXT) | instid1(VALU_DEP_3)
	v_mov_b32_e32 v5, v9
	v_pk_add_f32 v[2:3], v[2:3], v[6:7]
	s_delay_alu instid0(VALU_DEP_1)
	v_pk_add_f32 v[2:3], v[2:3], v[4:5]
	ds_store_b64 v93, v[2:3]
	s_wait_dscnt 0x0
	s_barrier_signal -1
	s_barrier_wait -1
	s_and_saveexec_b32 s88, s17
	s_cbranch_execz .LBB121_49
; %bb.48:                               ;   in Loop: Header=BB121_4 Depth=1
	ds_load_2addr_b64 v[2:5], v90 offset1:7
	ds_load_2addr_b64 v[6:9], v90 offset0:1 offset1:2
	ds_load_2addr_b64 v[10:13], v90 offset0:3 offset1:4
	;; [unrolled: 1-line block ×3, first 2 shown]
	s_wait_dscnt 0x2
	v_dual_add_f32 v2, v6, v2 :: v_dual_add_f32 v3, v7, v3
	s_delay_alu instid0(VALU_DEP_1) | instskip(SKIP_1) | instid1(VALU_DEP_1)
	v_dual_add_f32 v2, v8, v2 :: v_dual_add_f32 v3, v9, v3
	s_wait_dscnt 0x1
	v_dual_add_f32 v2, v2, v10 :: v_dual_add_f32 v3, v3, v11
	s_delay_alu instid0(VALU_DEP_1) | instskip(SKIP_1) | instid1(VALU_DEP_1)
	v_dual_add_f32 v2, v2, v12 :: v_dual_add_f32 v3, v3, v13
	s_wait_dscnt 0x0
	v_dual_add_f32 v2, v2, v18 :: v_dual_add_f32 v3, v3, v19
	s_delay_alu instid0(VALU_DEP_1) | instskip(NEXT) | instid1(VALU_DEP_1)
	v_pk_add_f32 v[2:3], v[2:3], v[20:21]
	v_pk_add_f32 v[50:51], v[2:3], v[4:5]
.LBB121_49:                             ;   in Loop: Header=BB121_4 Depth=1
	s_or_b32 exec_lo, exec_lo, s88
	v_lshl_add_u64 v[18:19], s[42:43], 3, v[0:1]
	s_and_not1_b32 vcc_lo, exec_lo, s92
	s_mov_b32 s88, -1
	s_barrier_signal -1
	s_barrier_wait -1
	s_cbranch_vccnz .LBB121_51
; %bb.50:                               ;   in Loop: Header=BB121_4 Depth=1
	v_lshl_add_u64 v[0:1], s[34:35], 3, v[18:19]
	s_mov_b32 s88, 0
	s_delay_alu instid0(VALU_DEP_1) | instskip(NEXT) | instid1(VALU_DEP_1)
	v_add_nc_u64_e32 v[2:3], s[48:49], v[0:1]
	v_add_nc_u64_e32 v[4:5], s[48:49], v[2:3]
	s_clause 0x3
	global_load_b64 v[6:7], v[18:19], off
	global_load_b64 v[0:1], v[0:1], off
	;; [unrolled: 1-line block ×4, first 2 shown]
	s_wait_loadcnt 0x3
	ds_store_b64 v102, v[6:7]
	s_wait_loadcnt 0x2
	ds_store_b64 v102, v[0:1] offset:2112
	s_wait_loadcnt 0x1
	ds_store_b64 v102, v[2:3] offset:4224
	;; [unrolled: 2-line block ×3, first 2 shown]
.LBB121_51:                             ;   in Loop: Header=BB121_4 Depth=1
	s_and_not1_b32 vcc_lo, exec_lo, s88
	s_cbranch_vccnz .LBB121_61
; %bb.52:                               ;   in Loop: Header=BB121_4 Depth=1
	s_wait_xcnt 0x2
	v_lshl_add_u64 v[0:1], v[42:43], 3, v[18:19]
	s_wait_xcnt 0x0
	v_dual_mov_b32 v4, 0 :: v_dual_mov_b32 v2, 0
	v_mov_b32_e32 v3, 0
	s_delay_alu instid0(VALU_DEP_3) | instskip(NEXT) | instid1(VALU_DEP_1)
	v_lshl_add_u64 v[0:1], s[30:31], 3, v[0:1]
	v_add_nc_u64_e32 v[0:1], s[78:79], v[0:1]
	s_delay_alu instid0(VALU_DEP_1)
	v_dual_cndmask_b32 v1, v1, v19, s12 :: v_dual_cndmask_b32 v0, v0, v18, s12
	s_and_saveexec_b32 s88, s3
	s_cbranch_execz .LBB121_54
; %bb.53:                               ;   in Loop: Header=BB121_4 Depth=1
	global_load_b64 v[2:3], v[0:1], off
.LBB121_54:                             ;   in Loop: Header=BB121_4 Depth=1
	s_wait_xcnt 0x0
	s_or_b32 exec_lo, exec_lo, s88
	v_mov_b32_e32 v5, 0
	s_wait_loadcnt 0x0
	ds_store_b64 v102, v[2:3]
	s_and_saveexec_b32 s88, s4
	s_cbranch_execz .LBB121_56
; %bb.55:                               ;   in Loop: Header=BB121_4 Depth=1
	v_lshl_add_u64 v[2:3], s[34:35], 3, v[0:1]
	global_load_b64 v[4:5], v[2:3], off
.LBB121_56:                             ;   in Loop: Header=BB121_4 Depth=1
	s_wait_xcnt 0x0
	s_or_b32 exec_lo, exec_lo, s88
	v_dual_mov_b32 v2, 0 :: v_dual_mov_b32 v6, 0
	v_mov_b32_e32 v7, 0
	s_wait_loadcnt 0x0
	ds_store_b64 v102, v[4:5] offset:2112
	s_and_saveexec_b32 s88, s5
	s_cbranch_execz .LBB121_58
; %bb.57:                               ;   in Loop: Header=BB121_4 Depth=1
	v_lshl_add_u64 v[4:5], s[36:37], 3, v[0:1]
	global_load_b64 v[6:7], v[4:5], off
.LBB121_58:                             ;   in Loop: Header=BB121_4 Depth=1
	s_wait_xcnt 0x0
	s_or_b32 exec_lo, exec_lo, s88
	v_mov_b32_e32 v3, 0
	s_wait_loadcnt 0x0
	ds_store_b64 v102, v[6:7] offset:4224
	s_and_saveexec_b32 s88, s6
	s_cbranch_execz .LBB121_60
; %bb.59:                               ;   in Loop: Header=BB121_4 Depth=1
	v_lshl_add_u64 v[2:3], s[38:39], 3, v[0:1]
	global_load_b64 v[2:3], v[2:3], off
.LBB121_60:                             ;   in Loop: Header=BB121_4 Depth=1
	s_wait_xcnt 0x0
	s_or_b32 exec_lo, exec_lo, s88
	v_add_nc_u64_e32 v[0:1], v[0:1], v[34:35]
	s_wait_loadcnt 0x0
	ds_store_b64 v102, v[2:3] offset:6336
	v_lshl_add_u64 v[0:1], s[50:51], 3, v[0:1]
	s_delay_alu instid0(VALU_DEP_1) | instskip(NEXT) | instid1(VALU_DEP_1)
	v_add_nc_u64_e32 v[0:1], 0x108, v[0:1]
	v_dual_cndmask_b32 v19, v1, v19, s12 :: v_dual_cndmask_b32 v18, v0, v18, s12
.LBB121_61:                             ;   in Loop: Header=BB121_4 Depth=1
	s_wait_dscnt 0x0
	s_barrier_signal -1
	s_barrier_wait -1
	ds_load_b64 v[8:9], v102
	ds_load_b64 v[10:11], v105
	ds_load_2addr_b64 v[20:23], v100 offset0:8 offset1:16
	ds_load_b64 v[12:13], v102 offset:2112
	ds_load_b64 v[24:25], v102 offset:4224
	;; [unrolled: 1-line block ×4, first 2 shown]
	s_wait_xcnt 0x0
	ds_load_2addr_b64 v[4:7], v94 offset1:1
	ds_load_2addr_b64 v[0:3], v94 offset0:2 offset1:3
	s_wait_dscnt 0x7
	v_pk_mul_f32 v[14:15], v[10:11], v[8:9] op_sel:[1,1] op_sel_hi:[0,1]
	s_wait_dscnt 0x5
	v_pk_mul_f32 v[30:31], v[20:21], v[12:13] op_sel:[1,1] op_sel_hi:[0,1]
	;; [unrolled: 2-line block ×3, first 2 shown]
	v_pk_fma_f32 v[52:53], v[10:11], v[8:9], v[14:15] op_sel_hi:[1,0,1]
	v_pk_fma_f32 v[8:9], v[10:11], v[8:9], v[14:15] neg_lo:[0,0,1] neg_hi:[0,0,1]
	v_pk_fma_f32 v[10:11], v[20:21], v[12:13], v[30:31] op_sel_hi:[1,0,1]
	v_pk_fma_f32 v[20:21], v[20:21], v[12:13], v[30:31] neg_lo:[0,0,1] neg_hi:[0,0,1]
	v_pk_fma_f32 v[30:31], v[22:23], v[24:25], v[54:55] op_sel_hi:[1,0,1]
	v_mov_b32_e32 v9, v53
	s_wait_dscnt 0x2
	v_pk_mul_f32 v[52:53], v[28:29], v[26:27] op_sel:[1,1] op_sel_hi:[0,1]
	v_mov_b32_e32 v21, v11
	v_pk_fma_f32 v[22:23], v[22:23], v[24:25], v[54:55] neg_lo:[0,0,1] neg_hi:[0,0,1]
	v_pk_add_f32 v[56:57], v[8:9], 0 op_sel_hi:[1,0]
	ds_load_b128 v[12:15], v92 offset:256
	ds_load_b128 v[8:11], v92 offset:272
	v_pk_fma_f32 v[24:25], v[28:29], v[26:27], v[52:53] op_sel_hi:[1,0,1]
	v_mov_b32_e32 v23, v31
	v_pk_fma_f32 v[26:27], v[28:29], v[26:27], v[52:53] neg_lo:[0,0,1] neg_hi:[0,0,1]
	v_pk_add_f32 v[20:21], v[56:57], v[20:21]
	s_wait_dscnt 0x0
	v_mov_b32_e32 v27, v25
	s_barrier_signal -1
	s_barrier_wait -1
	v_pk_add_f32 v[20:21], v[20:21], v[22:23]
	s_delay_alu instid0(VALU_DEP_1)
	v_pk_add_f32 v[20:21], v[20:21], v[26:27]
	ds_store_b64 v93, v[20:21]
	s_wait_dscnt 0x0
	s_barrier_signal -1
	s_barrier_wait -1
	s_and_saveexec_b32 s88, s17
	s_cbranch_execz .LBB121_63
; %bb.62:                               ;   in Loop: Header=BB121_4 Depth=1
	ds_load_2addr_b64 v[20:23], v90 offset1:1
	ds_load_2addr_b64 v[24:27], v90 offset0:2 offset1:3
	ds_load_2addr_b64 v[28:31], v90 offset0:4 offset1:5
	s_wait_dscnt 0x2
	v_pk_add_f32 v[20:21], v[50:51], v[20:21]
	s_delay_alu instid0(VALU_DEP_1) | instskip(SKIP_1) | instid1(VALU_DEP_1)
	v_pk_add_f32 v[20:21], v[20:21], v[22:23]
	s_wait_dscnt 0x1
	v_pk_add_f32 v[24:25], v[20:21], v[24:25]
	ds_load_2addr_b64 v[20:23], v90 offset0:6 offset1:7
	v_pk_add_f32 v[24:25], v[24:25], v[26:27]
	s_wait_dscnt 0x1
	s_delay_alu instid0(VALU_DEP_1) | instskip(NEXT) | instid1(VALU_DEP_1)
	v_pk_add_f32 v[24:25], v[24:25], v[28:29]
	v_pk_add_f32 v[24:25], v[24:25], v[30:31]
	s_wait_dscnt 0x0
	s_delay_alu instid0(VALU_DEP_1) | instskip(NEXT) | instid1(VALU_DEP_1)
	v_pk_add_f32 v[20:21], v[24:25], v[20:21]
	v_pk_add_f32 v[50:51], v[20:21], v[22:23]
.LBB121_63:                             ;   in Loop: Header=BB121_4 Depth=1
	s_or_b32 exec_lo, exec_lo, s88
	v_pk_mul_f32 v[20:21], v[12:13], v[4:5] op_sel:[1,1] op_sel_hi:[0,1]
	v_dual_mov_b32 v22, v15 :: v_dual_mov_b32 v23, v14
	v_dual_mov_b32 v24, v7 :: v_dual_mov_b32 v30, v11
	s_delay_alu instid0(VALU_DEP_3) | instskip(SKIP_2) | instid1(VALU_DEP_4)
	v_pk_fma_f32 v[28:29], v[12:13], v[4:5], v[20:21] op_sel_hi:[1,0,1]
	v_pk_fma_f32 v[4:5], v[12:13], v[4:5], v[20:21] neg_lo:[0,0,1] neg_hi:[0,0,1]
	v_pk_mul_f32 v[26:27], v[8:9], v[0:1] op_sel:[1,1] op_sel_hi:[0,1]
	v_pk_mul_f32 v[22:23], v[22:23], v[24:25] op_sel_hi:[1,0]
	s_delay_alu instid0(VALU_DEP_4) | instskip(NEXT) | instid1(VALU_DEP_3)
	v_dual_mov_b32 v31, v10 :: v_dual_mov_b32 v5, v29
	v_pk_fma_f32 v[24:25], v[8:9], v[0:1], v[26:27] op_sel_hi:[1,0,1]
	s_delay_alu instid0(VALU_DEP_3)
	v_pk_fma_f32 v[20:21], v[14:15], v[6:7], v[22:23] op_sel_hi:[1,0,1]
	v_mov_b32_e32 v12, v3
	v_pk_fma_f32 v[6:7], v[14:15], v[6:7], v[22:23] neg_lo:[0,0,1] neg_hi:[0,0,1]
	v_pk_add_f32 v[4:5], v[4:5], 0 op_sel_hi:[1,0]
	v_pk_fma_f32 v[0:1], v[8:9], v[0:1], v[26:27] neg_lo:[0,0,1] neg_hi:[0,0,1]
	v_mov_b32_e32 v7, v21
	v_pk_mul_f32 v[12:13], v[30:31], v[12:13] op_sel_hi:[1,0]
	s_barrier_signal -1
	s_barrier_wait -1
	s_delay_alu instid0(VALU_DEP_2) | instskip(NEXT) | instid1(VALU_DEP_2)
	v_pk_add_f32 v[4:5], v[4:5], v[6:7]
	v_pk_fma_f32 v[8:9], v[10:11], v[2:3], v[12:13] op_sel_hi:[1,0,1]
	v_mov_b32_e32 v1, v25
	v_pk_fma_f32 v[2:3], v[10:11], v[2:3], v[12:13] neg_lo:[0,0,1] neg_hi:[0,0,1]
	s_delay_alu instid0(VALU_DEP_3) | instskip(NEXT) | instid1(VALU_DEP_3)
	v_mov_b32_e32 v3, v9
	v_pk_add_f32 v[0:1], v[4:5], v[0:1]
	s_delay_alu instid0(VALU_DEP_1)
	v_pk_add_f32 v[0:1], v[0:1], v[2:3]
	ds_store_b64 v93, v[0:1]
	s_wait_dscnt 0x0
	s_barrier_signal -1
	s_barrier_wait -1
	s_and_saveexec_b32 s88, s11
	s_cbranch_execz .LBB121_65
; %bb.64:                               ;   in Loop: Header=BB121_4 Depth=1
	ds_load_2addr_b64 v[0:3], v90 offset1:1
	ds_load_2addr_b64 v[4:7], v90 offset0:2 offset1:3
	ds_load_2addr_b64 v[8:11], v90 offset0:4 offset1:5
	s_wait_dscnt 0x2
	v_pk_add_f32 v[0:1], v[50:51], v[0:1]
	s_delay_alu instid0(VALU_DEP_1) | instskip(SKIP_1) | instid1(VALU_DEP_1)
	v_pk_add_f32 v[0:1], v[0:1], v[2:3]
	s_wait_dscnt 0x1
	v_pk_add_f32 v[4:5], v[0:1], v[4:5]
	ds_load_2addr_b64 v[0:3], v90 offset0:6 offset1:7
	v_pk_add_f32 v[4:5], v[4:5], v[6:7]
	s_wait_dscnt 0x1
	s_delay_alu instid0(VALU_DEP_1) | instskip(NEXT) | instid1(VALU_DEP_1)
	v_pk_add_f32 v[4:5], v[4:5], v[8:9]
	v_pk_add_f32 v[4:5], v[4:5], v[10:11]
	s_wait_dscnt 0x0
	s_delay_alu instid0(VALU_DEP_1) | instskip(NEXT) | instid1(VALU_DEP_1)
	v_pk_add_f32 v[0:1], v[4:5], v[0:1]
	v_pk_add_f32 v[50:51], v[0:1], v[2:3]
.LBB121_65:                             ;   in Loop: Header=BB121_4 Depth=1
	s_or_b32 exec_lo, exec_lo, s88
	s_mul_u64 s[88:89], s[26:27], s[28:29]
	s_and_not1_b32 vcc_lo, exec_lo, s93
	s_lshl_b64 s[88:89], s[88:89], 3
	s_delay_alu instid0(SALU_CYCLE_1)
	s_add_nc_u64 s[88:89], s[22:23], s[88:89]
	s_barrier_signal -1
	s_barrier_wait -1
	s_cbranch_vccnz .LBB121_72
; %bb.66:                               ;   in Loop: Header=BB121_4 Depth=1
	v_lshl_add_u64 v[0:1], s[46:47], 3, v[18:19]
	v_lshl_add_u64 v[52:53], s[44:45], 3, v[16:17]
	v_mov_b32_e32 v107, v32
	s_mov_b32 s90, 0
	s_mov_b32 s97, s33
	v_lshl_add_u64 v[0:1], v[46:47], 3, v[0:1]
	s_delay_alu instid0(VALU_DEP_1) | instskip(NEXT) | instid1(VALU_DEP_1)
	v_lshl_add_u64 v[0:1], v[44:45], 3, v[0:1]
	v_lshl_add_u64 v[2:3], v[48:49], 3, v[0:1]
	v_add_nc_u64_e32 v[0:1], s[80:81], v[0:1]
	s_delay_alu instid0(VALU_DEP_2) | instskip(NEXT) | instid1(VALU_DEP_1)
	v_lshl_add_u64 v[2:3], s[30:31], 3, v[2:3]
	v_add_nc_u64_e32 v[2:3], s[78:79], v[2:3]
	s_delay_alu instid0(VALU_DEP_1)
	v_dual_cndmask_b32 v55, v1, v3, s1 :: v_dual_cndmask_b32 v54, v0, v2, s1
	s_branch .LBB121_68
.LBB121_67:                             ;   in Loop: Header=BB121_68 Depth=2
	s_wait_xcnt 0x0
	s_or_b32 exec_lo, exec_lo, s91
	v_dual_mul_f32 v108, v5, v61 :: v_dual_mul_f32 v5, v5, v60
	v_dual_mul_f32 v109, v7, v63 :: v_dual_mul_f32 v7, v7, v62
	s_delay_alu instid0(VALU_DEP_2) | instskip(NEXT) | instid1(VALU_DEP_3)
	v_dual_mul_f32 v110, v1, v59 :: v_dual_fma_f32 v60, v4, v60, -v108
	v_dual_mul_f32 v1, v1, v58 :: v_dual_fmac_f32 v5, v4, v61
	s_delay_alu instid0(VALU_DEP_3) | instskip(NEXT) | instid1(VALU_DEP_3)
	v_dual_mul_f32 v4, v3, v57 :: v_dual_fma_f32 v61, v6, v62, -v109
	v_add_f32_e32 v50, v50, v60
	v_dual_fmac_f32 v7, v6, v63 :: v_dual_mul_f32 v3, v3, v56
	s_delay_alu instid0(VALU_DEP_4) | instskip(NEXT) | instid1(VALU_DEP_3)
	v_dual_add_f32 v5, v51, v5 :: v_dual_fma_f32 v6, v0, v58, -v110
	v_dual_add_f32 v50, v50, v61 :: v_dual_fmac_f32 v1, v0, v59
	s_delay_alu instid0(VALU_DEP_2) | instskip(NEXT) | instid1(VALU_DEP_2)
	v_dual_fma_f32 v4, v2, v56, -v4 :: v_dual_add_f32 v0, v5, v7
	v_dual_mul_f32 v5, v9, v73 :: v_dual_add_f32 v6, v50, v6
	v_dual_fmac_f32 v3, v2, v57 :: v_dual_mul_f32 v2, v9, v72
	s_delay_alu instid0(VALU_DEP_3) | instskip(NEXT) | instid1(VALU_DEP_3)
	v_dual_add_f32 v0, v0, v1 :: v_dual_mul_f32 v1, v11, v71
	v_add_f32_e32 v4, v6, v4
	s_delay_alu instid0(VALU_DEP_4) | instskip(NEXT) | instid1(VALU_DEP_3)
	v_dual_fma_f32 v5, v8, v72, -v5 :: v_dual_mul_f32 v6, v11, v70
	v_dual_add_f32 v0, v0, v3 :: v_dual_fma_f32 v1, v10, v70, -v1
	v_fmac_f32_e32 v2, v8, v73
	s_delay_alu instid0(VALU_DEP_3) | instskip(SKIP_2) | instid1(VALU_DEP_3)
	v_dual_add_f32 v3, v4, v5 :: v_dual_fmac_f32 v6, v10, v71
	v_mul_f32_e32 v4, v13, v67
	v_add_nc_u64_e32 v[54:55], s[54:55], v[54:55]
	v_dual_add_f32 v7, v0, v2 :: v_dual_add_f32 v0, v3, v1
	s_delay_alu instid0(VALU_DEP_3) | instskip(SKIP_1) | instid1(VALU_DEP_2)
	v_dual_mul_f32 v3, v13, v66 :: v_dual_fma_f32 v2, v12, v66, -v4
	v_dual_mul_f32 v4, v15, v65 :: v_dual_mul_f32 v5, v15, v64
	v_dual_add_f32 v1, v7, v6 :: v_dual_fmac_f32 v3, v12, v67
	s_delay_alu instid0(VALU_DEP_2) | instskip(NEXT) | instid1(VALU_DEP_3)
	v_dual_mov_b32 v6, v79 :: v_dual_fma_f32 v4, v14, v64, -v4
	v_dual_fmac_f32 v5, v14, v65 :: v_dual_mov_b32 v8, v77
	s_delay_alu instid0(VALU_DEP_3) | instskip(NEXT) | instid1(VALU_DEP_3)
	v_pk_add_f32 v[0:1], v[0:1], v[2:3]
	v_pk_mul_f32 v[2:3], v[28:29], v[6:7] op_sel:[1,0] op_sel_hi:[0,0]
	v_dual_mov_b32 v6, v31 :: v_dual_mov_b32 v7, v30
	v_mov_b32_e32 v13, v26
	s_delay_alu instid0(VALU_DEP_4) | instskip(NEXT) | instid1(VALU_DEP_4)
	v_pk_add_f32 v[0:1], v[0:1], v[4:5]
	v_pk_fma_f32 v[10:11], v[28:29], v[78:79], v[2:3] op_sel_hi:[1,0,1]
	v_pk_fma_f32 v[2:3], v[28:29], v[78:79], v[2:3] neg_lo:[0,0,1] neg_hi:[0,0,1]
	v_pk_mul_f32 v[4:5], v[6:7], v[8:9] op_sel_hi:[1,0]
	v_dual_mov_b32 v6, v75 :: v_dual_add_nc_u32 v107, 64, v107
	s_delay_alu instid0(VALU_DEP_4) | instskip(SKIP_1) | instid1(VALU_DEP_3)
	v_mov_b32_e32 v3, v11
	s_add_co_i32 s97, s97, -1
	v_pk_fma_f32 v[8:9], v[30:31], v[76:77], v[4:5] op_sel_hi:[1,0,1]
	s_delay_alu instid0(VALU_DEP_3)
	v_pk_mul_f32 v[6:7], v[16:17], v[6:7] op_sel:[1,0] op_sel_hi:[0,0]
	v_mov_b32_e32 v8, v19
	v_pk_add_f32 v[0:1], v[0:1], v[2:3]
	v_pk_fma_f32 v[2:3], v[30:31], v[76:77], v[4:5] neg_lo:[0,0,1] neg_hi:[0,0,1]
	v_mov_b32_e32 v3, v9
	v_pk_fma_f32 v[4:5], v[16:17], v[74:75], v[6:7] op_sel_hi:[1,0,1]
	v_dual_mov_b32 v9, v18 :: v_dual_mov_b32 v4, v69
	s_add_co_i32 s90, s90, s94
	s_delay_alu instid0(VALU_DEP_3)
	v_pk_add_f32 v[0:1], v[0:1], v[2:3]
	v_pk_fma_f32 v[2:3], v[16:17], v[74:75], v[6:7] neg_lo:[0,0,1] neg_hi:[0,0,1]
	v_mov_b32_e32 v3, v5
	v_pk_mul_f32 v[4:5], v[8:9], v[4:5] op_sel_hi:[1,0]
	v_dual_mov_b32 v6, v23 :: v_dual_mov_b32 v7, v22
	s_cmp_eq_u32 s97, 0
	s_delay_alu instid0(VALU_DEP_3) | instskip(NEXT) | instid1(VALU_DEP_3)
	v_pk_add_f32 v[0:1], v[0:1], v[2:3]
	v_pk_fma_f32 v[2:3], v[18:19], v[68:69], v[4:5] op_sel_hi:[1,0,1]
	v_mov_b32_e32 v2, v87
	v_pk_fma_f32 v[4:5], v[18:19], v[68:69], v[4:5] neg_lo:[0,0,1] neg_hi:[0,0,1]
	v_dual_mov_b32 v8, v85 :: v_dual_mov_b32 v12, v27
	s_delay_alu instid0(VALU_DEP_4) | instskip(NEXT) | instid1(VALU_DEP_4)
	v_mov_b32_e32 v5, v3
	v_pk_mul_f32 v[2:3], v[20:21], v[2:3] op_sel:[1,0] op_sel_hi:[0,0]
	s_wait_storecnt 0x0
	s_delay_alu instid0(VALU_DEP_3)
	v_pk_mul_f32 v[6:7], v[6:7], v[8:9] op_sel_hi:[1,0]
	v_mov_b32_e32 v8, v83
	v_pk_add_f32 v[0:1], v[0:1], v[4:5]
	v_pk_fma_f32 v[4:5], v[20:21], v[86:87], v[2:3] neg_lo:[0,0,1] neg_hi:[0,0,1]
	v_pk_fma_f32 v[2:3], v[20:21], v[86:87], v[2:3] op_sel_hi:[1,0,1]
	v_pk_fma_f32 v[10:11], v[22:23], v[84:85], v[6:7] op_sel_hi:[1,0,1]
	v_pk_mul_f32 v[8:9], v[24:25], v[8:9] op_sel:[1,0] op_sel_hi:[0,0]
	v_mov_b32_e32 v2, v81
	v_pk_fma_f32 v[6:7], v[22:23], v[84:85], v[6:7] neg_lo:[0,0,1] neg_hi:[0,0,1]
	s_delay_alu instid0(VALU_DEP_4) | instskip(NEXT) | instid1(VALU_DEP_4)
	v_dual_mov_b32 v5, v3 :: v_dual_mov_b32 v7, v11
	v_pk_fma_f32 v[10:11], v[24:25], v[82:83], v[8:9] op_sel_hi:[1,0,1]
	s_delay_alu instid0(VALU_DEP_4) | instskip(SKIP_1) | instid1(VALU_DEP_3)
	v_pk_mul_f32 v[2:3], v[12:13], v[2:3] op_sel_hi:[1,0]
	s_barrier_signal -1
	v_pk_add_f32 v[0:1], v[0:1], v[4:5]
	v_pk_fma_f32 v[4:5], v[24:25], v[82:83], v[8:9] neg_lo:[0,0,1] neg_hi:[0,0,1]
	s_barrier_wait -1
	v_pk_fma_f32 v[8:9], v[26:27], v[80:81], v[2:3] op_sel_hi:[1,0,1]
	v_mov_b32_e32 v5, v11
	v_pk_add_f32 v[0:1], v[0:1], v[6:7]
	v_pk_fma_f32 v[2:3], v[26:27], v[80:81], v[2:3] neg_lo:[0,0,1] neg_hi:[0,0,1]
	s_delay_alu instid0(VALU_DEP_4) | instskip(NEXT) | instid1(VALU_DEP_3)
	v_mov_b32_e32 v3, v9
	v_pk_add_f32 v[0:1], v[0:1], v[4:5]
	s_delay_alu instid0(VALU_DEP_1)
	v_pk_add_f32 v[50:51], v[0:1], v[2:3]
	s_cbranch_scc1 .LBB121_72
.LBB121_68:                             ;   Parent Loop BB121_4 Depth=1
                                        ; =>  This Inner Loop Header: Depth=2
	s_and_saveexec_b32 s98, s0
	s_cbranch_execz .LBB121_70
; %bb.69:                               ;   in Loop: Header=BB121_68 Depth=2
	s_ashr_i32 s91, s90, 31
	v_add_nc_u32_e32 v2, 0x2180, v88
	v_lshl_add_u64 v[0:1], s[90:91], 3, v[52:53]
	global_load_b64 v[0:1], v[0:1], off
	s_wait_loadcnt 0x0
	ds_store_b64 v2, v[0:1]
.LBB121_70:                             ;   in Loop: Header=BB121_68 Depth=2
	s_wait_xcnt 0x0
	s_or_b32 exec_lo, exec_lo, s98
	v_add_nc_u64_e32 v[0:1], s[52:53], v[54:55]
	v_add_nc_u64_e32 v[2:3], s[56:57], v[54:55]
	;; [unrolled: 1-line block ×3, first 2 shown]
	s_wait_dscnt 0x0
	s_barrier_signal -1
	s_barrier_wait -1
	s_clause 0x3
	global_load_b64 v[60:61], v[54:55], off
	global_load_b64 v[62:63], v[0:1], off
	;; [unrolled: 1-line block ×4, first 2 shown]
	ds_load_b64 v[8:9], v89
	s_wait_xcnt 0x0
	ds_load_b128 v[4:7], v33
	v_add_nc_u64_e32 v[12:13], s[86:87], v[54:55]
	v_add_nc_u64_e32 v[24:25], s[60:61], v[54:55]
	;; [unrolled: 1-line block ×3, first 2 shown]
	ds_load_b128 v[0:3], v33 offset:16
	v_add_nc_u64_e32 v[28:29], s[82:83], v[54:55]
	v_add_nc_u64_e32 v[30:31], s[76:77], v[54:55]
	;; [unrolled: 1-line block ×4, first 2 shown]
	s_wait_loadcnt_dscnt 0x202
	v_dual_mul_f32 v14, v9, v63 :: v_dual_mul_f32 v15, v9, v62
	v_dual_mul_f32 v10, v9, v61 :: v_dual_mul_f32 v11, v9, v60
	s_wait_loadcnt 0x1
	v_dual_mul_f32 v16, v9, v59 :: v_dual_mul_f32 v17, v9, v58
	s_wait_loadcnt 0x0
	v_dual_mul_f32 v18, v9, v57 :: v_dual_mul_f32 v19, v8, v57
	v_dual_fma_f32 v10, v8, v60, -v10 :: v_dual_fmac_f32 v11, v8, v61
	v_dual_fma_f32 v14, v8, v62, -v14 :: v_dual_fmac_f32 v15, v8, v63
	;; [unrolled: 1-line block ×3, first 2 shown]
	s_delay_alu instid0(VALU_DEP_4)
	v_dual_fma_f32 v18, v8, v56, -v18 :: v_dual_fmac_f32 v19, v9, v56
	v_add_nc_u64_e32 v[8:9], s[84:85], v[54:55]
	ds_store_2addr_b64 v95, v[10:11], v[14:15] offset1:67
	ds_store_2addr_b64 v95, v[16:17], v[18:19] offset0:134 offset1:201
	s_wait_dscnt 0x0
	s_barrier_signal -1
	s_barrier_wait -1
	ds_load_2addr_b64 v[16:19], v96 offset1:1
	ds_load_2addr_b64 v[20:23], v96 offset0:2 offset1:3
	s_wait_dscnt 0x0
	s_barrier_signal -1
	s_barrier_wait -1
	s_clause 0x3
	global_load_b64 v[72:73], v[12:13], off
	global_load_b64 v[70:71], v[8:9], off
	;; [unrolled: 1-line block ×4, first 2 shown]
	s_wait_xcnt 0x3
	ds_load_b64 v[12:13], v89
	s_wait_xcnt 0x2
	ds_load_b128 v[8:11], v33 offset:128
	v_pk_add_f32 v[16:17], v[16:17], 0 op_sel_hi:[1,0]
	s_delay_alu instid0(VALU_DEP_1) | instskip(NEXT) | instid1(VALU_DEP_1)
	v_pk_add_f32 v[16:17], v[16:17], v[18:19]
	v_pk_add_f32 v[16:17], v[16:17], v[20:21]
	s_delay_alu instid0(VALU_DEP_1)
	v_pk_add_f32 v[120:121], v[16:17], v[22:23]
	s_wait_loadcnt_dscnt 0x301
	s_wait_xcnt 0x1
	v_dual_mul_f32 v14, v13, v73 :: v_dual_mul_f32 v25, v13, v72
	s_wait_loadcnt 0x2
	s_wait_xcnt 0x0
	v_dual_mul_f32 v15, v13, v71 :: v_dual_mul_f32 v27, v13, v70
	s_wait_loadcnt 0x1
	v_dual_mul_f32 v68, v13, v67 :: v_dual_mul_f32 v69, v13, v66
	s_wait_loadcnt 0x0
	v_dual_mul_f32 v74, v13, v65 :: v_dual_mul_f32 v75, v12, v65
	v_dual_fma_f32 v24, v12, v72, -v14 :: v_dual_fmac_f32 v25, v12, v73
	s_delay_alu instid0(VALU_DEP_3) | instskip(SKIP_1) | instid1(VALU_DEP_4)
	v_dual_fma_f32 v26, v12, v70, -v15 :: v_dual_fmac_f32 v69, v12, v67
	v_dual_fmac_f32 v27, v12, v71 :: v_dual_fma_f32 v68, v12, v66, -v68
	v_dual_fma_f32 v74, v12, v64, -v74 :: v_dual_fmac_f32 v75, v13, v64
	ds_load_b128 v[12:15], v33 offset:144
	ds_store_2addr_b64 v95, v[24:25], v[26:27] offset1:67
	ds_store_2addr_b64 v95, v[68:69], v[74:75] offset0:134 offset1:201
	s_wait_dscnt 0x0
	s_barrier_signal -1
	s_barrier_wait -1
	ds_load_2addr_b64 v[24:27], v96 offset1:1
	ds_load_2addr_b64 v[80:83], v96 offset0:2 offset1:3
	s_wait_dscnt 0x0
	s_barrier_signal -1
	s_barrier_wait -1
	s_clause 0x3
	global_load_b64 v[78:79], v[28:29], off
	global_load_b64 v[76:77], v[30:31], off
	;; [unrolled: 1-line block ×4, first 2 shown]
	s_wait_xcnt 0x1
	ds_load_b64 v[84:85], v89
	ds_load_b128 v[28:31], v33 offset:256
	s_wait_xcnt 0x0
	v_add_nc_u64_e32 v[86:87], s[74:75], v[54:55]
	v_pk_add_f32 v[16:17], v[24:25], 0 op_sel_hi:[1,0]
	s_delay_alu instid0(VALU_DEP_1)
	v_pk_add_f32 v[26:27], v[16:17], v[26:27]
	s_wait_loadcnt_dscnt 0x301
	v_dual_mul_f32 v18, v85, v79 :: v_dual_mul_f32 v21, v85, v78
	s_wait_loadcnt 0x2
	v_dual_mul_f32 v19, v85, v77 :: v_dual_mul_f32 v23, v85, v76
	s_wait_loadcnt 0x1
	;; [unrolled: 2-line block ×3, first 2 shown]
	v_dual_fma_f32 v20, v84, v78, -v18 :: v_dual_mul_f32 v18, v85, v69
	v_dual_mul_f32 v109, v84, v69 :: v_dual_fmac_f32 v21, v84, v79
	s_delay_alu instid0(VALU_DEP_3) | instskip(SKIP_1) | instid1(VALU_DEP_3)
	v_dual_fma_f32 v22, v84, v76, -v19 :: v_dual_fma_f32 v24, v84, v74, -v24
	v_dual_fmac_f32 v23, v84, v77 :: v_dual_fmac_f32 v25, v84, v75
	v_dual_fma_f32 v108, v84, v68, -v18 :: v_dual_fmac_f32 v109, v85, v68
	ds_load_b128 v[16:19], v33 offset:272
	ds_store_2addr_b64 v95, v[20:21], v[22:23] offset1:67
	ds_store_2addr_b64 v95, v[24:25], v[108:109] offset0:134 offset1:201
	s_wait_dscnt 0x0
	s_barrier_signal -1
	s_barrier_wait -1
	ds_load_2addr_b64 v[20:23], v96 offset1:1
	ds_load_2addr_b64 v[108:111], v96 offset0:2 offset1:3
	v_add_nc_u64_e32 v[84:85], s[72:73], v[54:55]
	s_wait_dscnt 0x0
	s_barrier_signal -1
	s_barrier_wait -1
	s_clause 0x1
	global_load_b64 v[86:87], v[86:87], off
	global_load_b64 v[84:85], v[84:85], off
	v_pk_add_f32 v[24:25], v[26:27], v[80:81]
	s_delay_alu instid0(VALU_DEP_1) | instskip(SKIP_2) | instid1(VALU_DEP_1)
	v_pk_add_f32 v[122:123], v[24:25], v[82:83]
	v_add_nc_u64_e32 v[24:25], s[68:69], v[54:55]
	v_pk_add_f32 v[20:21], v[20:21], 0 op_sel_hi:[1,0]
	v_pk_add_f32 v[124:125], v[20:21], v[22:23]
	v_add_nc_u64_e32 v[20:21], s[70:71], v[54:55]
	s_clause 0x1
	global_load_b64 v[82:83], v[24:25], off
	global_load_b64 v[80:81], v[20:21], off
	s_wait_xcnt 0x1
	ds_load_b64 v[24:25], v89
	s_wait_xcnt 0x0
	ds_load_b128 v[20:23], v33 offset:384
	v_pk_add_f32 v[108:109], v[124:125], v[108:109]
	s_delay_alu instid0(VALU_DEP_1) | instskip(SKIP_4) | instid1(VALU_DEP_2)
	v_pk_add_f32 v[108:109], v[108:109], v[110:111]
	s_wait_loadcnt_dscnt 0x301
	v_dual_mul_f32 v26, v25, v87 :: v_dual_mul_f32 v27, v25, v86
	s_wait_loadcnt 0x2
	v_dual_mul_f32 v112, v25, v85 :: v_dual_mul_f32 v113, v25, v84
	v_dual_fma_f32 v26, v24, v86, -v26 :: v_dual_fmac_f32 v27, v24, v87
	s_delay_alu instid0(VALU_DEP_2)
	v_dual_fma_f32 v112, v24, v84, -v112 :: v_dual_fmac_f32 v113, v24, v85
	ds_store_2addr_b64 v95, v[26:27], v[112:113] offset1:67
	s_wait_loadcnt 0x1
	v_dual_mul_f32 v26, v25, v83 :: v_dual_mul_f32 v27, v25, v82
	s_wait_loadcnt 0x0
	v_dual_mul_f32 v112, v25, v81 :: v_dual_mul_f32 v113, v24, v81
	s_delay_alu instid0(VALU_DEP_2) | instskip(NEXT) | instid1(VALU_DEP_2)
	v_dual_fma_f32 v26, v24, v82, -v26 :: v_dual_fmac_f32 v27, v24, v83
	v_dual_fma_f32 v112, v24, v80, -v112 :: v_dual_fmac_f32 v113, v25, v80
	ds_store_2addr_b64 v95, v[26:27], v[112:113] offset0:134 offset1:201
	ds_load_b128 v[24:27], v33 offset:400
	s_wait_dscnt 0x0
	s_barrier_signal -1
	s_barrier_wait -1
	ds_load_2addr_b64 v[112:115], v96 offset1:1
	ds_load_2addr_b64 v[116:119], v96 offset0:2 offset1:3
	s_wait_dscnt 0x0
	s_barrier_signal -1
	s_barrier_wait -1
	v_pk_add_f32 v[112:113], v[112:113], 0 op_sel_hi:[1,0]
	s_delay_alu instid0(VALU_DEP_1) | instskip(NEXT) | instid1(VALU_DEP_1)
	v_pk_add_f32 v[112:113], v[112:113], v[114:115]
	v_pk_add_f32 v[110:111], v[112:113], v[116:117]
	s_delay_alu instid0(VALU_DEP_1)
	v_pk_add_f32 v[110:111], v[110:111], v[118:119]
	ds_store_2addr_b64 v106, v[120:121], v[122:123] offset1:16
	ds_store_2addr_b64 v106, v[108:109], v[110:111] offset0:32 offset1:48
	s_wait_dscnt 0x0
	s_barrier_signal -1
	s_barrier_wait -1
	s_and_saveexec_b32 s91, s18
	s_cbranch_execz .LBB121_67
; %bb.71:                               ;   in Loop: Header=BB121_68 Depth=2
	ds_load_b64 v[120:121], v97
	ds_load_2addr_b64 v[108:111], v97 offset0:1 offset1:2
	ds_load_2addr_b64 v[112:115], v97 offset0:3 offset1:4
	;; [unrolled: 1-line block ×3, first 2 shown]
	s_wait_dscnt 0x2
	v_dual_add_f32 v108, v108, v120 :: v_dual_add_f32 v109, v109, v121
	s_delay_alu instid0(VALU_DEP_1) | instskip(SKIP_3) | instid1(VALU_DEP_1)
	v_dual_add_f32 v120, v110, v108 :: v_dual_add_f32 v121, v111, v109
	ds_load_2addr_b64 v[108:111], v97 offset0:7 offset1:8
	s_wait_dscnt 0x2
	v_dual_add_f32 v112, v120, v112 :: v_dual_add_f32 v113, v121, v113
	v_dual_add_f32 v120, v112, v114 :: v_dual_add_f32 v121, v113, v115
	ds_load_2addr_b64 v[112:115], v97 offset0:9 offset1:10
	s_wait_dscnt 0x2
	v_pk_add_f32 v[116:117], v[120:121], v[116:117]
	s_delay_alu instid0(VALU_DEP_1) | instskip(SKIP_3) | instid1(VALU_DEP_1)
	v_pk_add_f32 v[120:121], v[116:117], v[118:119]
	ds_load_2addr_b64 v[116:119], v97 offset0:11 offset1:12
	s_wait_dscnt 0x2
	v_pk_add_f32 v[108:109], v[120:121], v[108:109]
	v_pk_add_f32 v[108:109], v[108:109], v[110:111]
	s_wait_dscnt 0x1
	s_delay_alu instid0(VALU_DEP_1)
	v_pk_add_f32 v[112:113], v[108:109], v[112:113]
	ds_load_2addr_b64 v[108:111], v97 offset0:13 offset1:14
	v_pk_add_f32 v[112:113], v[112:113], v[114:115]
	ds_load_b64 v[114:115], v98
	s_wait_dscnt 0x2
	v_pk_add_f32 v[112:113], v[112:113], v[116:117]
	s_delay_alu instid0(VALU_DEP_1) | instskip(SKIP_1) | instid1(VALU_DEP_1)
	v_pk_add_f32 v[112:113], v[112:113], v[118:119]
	s_wait_dscnt 0x1
	v_pk_add_f32 v[108:109], v[112:113], v[108:109]
	s_delay_alu instid0(VALU_DEP_1) | instskip(SKIP_1) | instid1(VALU_DEP_1)
	v_pk_add_f32 v[108:109], v[108:109], v[110:111]
	s_wait_dscnt 0x0
	v_pk_add_f32 v[108:109], v[108:109], v[114:115]
	global_store_b64 v107, v[108:109], s[88:89] scale_offset
	s_branch .LBB121_67
.LBB121_72:                             ;   in Loop: Header=BB121_4 Depth=1
	ds_store_b64 v99, v[50:51]
	s_wait_dscnt 0x0
	s_barrier_signal -1
	s_barrier_wait -1
	s_and_saveexec_b32 s90, s95
	s_cbranch_execz .LBB121_2
; %bb.73:                               ;   in Loop: Header=BB121_4 Depth=1
	ds_load_2addr_b64 v[0:3], v88 offset1:67
	ds_load_2addr_b64 v[4:7], v88 offset0:134 offset1:201
	s_wait_dscnt 0x1
	v_pk_add_f32 v[0:1], v[2:3], v[0:1]
	v_lshl_add_u64 v[2:3], v[36:37], 3, s[88:89]
	s_wait_dscnt 0x0
	s_delay_alu instid0(VALU_DEP_2) | instskip(NEXT) | instid1(VALU_DEP_1)
	v_pk_add_f32 v[0:1], v[4:5], v[0:1]
	v_pk_add_f32 v[0:1], v[0:1], v[6:7]
	global_store_b64 v[2:3], v[0:1], off
	s_branch .LBB121_2
.LBB121_74:                             ;   in Loop: Header=BB121_4 Depth=1
	ds_load_b64 v[2:3], v103
	s_wait_dscnt 0x0
	ds_store_b64 v91, v[2:3]
	s_or_b32 exec_lo, exec_lo, s88
	s_and_saveexec_b32 s88, s8
	s_cbranch_execz .LBB121_25
.LBB121_75:                             ;   in Loop: Header=BB121_4 Depth=1
	ds_load_b64 v[2:3], v104
	s_wait_dscnt 0x0
	ds_store_b64 v91, v[2:3] offset:8
	s_or_b32 exec_lo, exec_lo, s88
	s_and_saveexec_b32 s88, s9
	s_cbranch_execz .LBB121_26
.LBB121_76:                             ;   in Loop: Header=BB121_4 Depth=1
	ds_load_b64 v[2:3], v104 offset:264
	s_wait_dscnt 0x0
	ds_store_b64 v91, v[2:3] offset:16
	s_or_b32 exec_lo, exec_lo, s88
	s_and_saveexec_b32 s88, s10
	s_cbranch_execnz .LBB121_27
	s_branch .LBB121_28
.LBB121_77:                             ;   in Loop: Header=BB121_4 Depth=1
	ds_load_b64 v[2:3], v103
	s_wait_dscnt 0x0
	ds_store_b64 v91, v[2:3]
	s_or_b32 exec_lo, exec_lo, s88
	s_and_saveexec_b32 s88, s8
	s_cbranch_execz .LBB121_44
.LBB121_78:                             ;   in Loop: Header=BB121_4 Depth=1
	ds_load_b64 v[2:3], v104
	s_wait_dscnt 0x0
	ds_store_b64 v91, v[2:3] offset:8
	s_or_b32 exec_lo, exec_lo, s88
	s_and_saveexec_b32 s88, s9
	s_cbranch_execz .LBB121_45
.LBB121_79:                             ;   in Loop: Header=BB121_4 Depth=1
	ds_load_b64 v[2:3], v104 offset:264
	s_wait_dscnt 0x0
	ds_store_b64 v91, v[2:3] offset:16
	s_or_b32 exec_lo, exec_lo, s88
	s_and_saveexec_b32 s88, s10
	s_cbranch_execnz .LBB121_46
	s_branch .LBB121_47
.LBB121_80:
	s_sendmsg sendmsg(MSG_DEALLOC_VGPRS)
	s_endpgm
	.section	.rodata,"a",@progbits
	.p2align	6, 0x0
	.amdhsa_kernel _ZL26rocblas_hemvn_kernel_lowerILb0ELi64ELi4ELi33ELi32ELi16Ei19rocblas_complex_numIfEPKS1_PS1_EviT6_lT7_lT5_lS6_lS7_lS5_lT8_i
		.amdhsa_group_segment_fixed_size 9600
		.amdhsa_private_segment_fixed_size 0
		.amdhsa_kernarg_size 376
		.amdhsa_user_sgpr_count 2
		.amdhsa_user_sgpr_dispatch_ptr 0
		.amdhsa_user_sgpr_queue_ptr 0
		.amdhsa_user_sgpr_kernarg_segment_ptr 1
		.amdhsa_user_sgpr_dispatch_id 0
		.amdhsa_user_sgpr_kernarg_preload_length 0
		.amdhsa_user_sgpr_kernarg_preload_offset 0
		.amdhsa_user_sgpr_private_segment_size 0
		.amdhsa_wavefront_size32 1
		.amdhsa_uses_dynamic_stack 0
		.amdhsa_enable_private_segment 0
		.amdhsa_system_sgpr_workgroup_id_x 1
		.amdhsa_system_sgpr_workgroup_id_y 0
		.amdhsa_system_sgpr_workgroup_id_z 1
		.amdhsa_system_sgpr_workgroup_info 0
		.amdhsa_system_vgpr_workitem_id 1
		.amdhsa_next_free_vgpr 126
		.amdhsa_next_free_sgpr 99
		.amdhsa_named_barrier_count 0
		.amdhsa_reserve_vcc 1
		.amdhsa_float_round_mode_32 0
		.amdhsa_float_round_mode_16_64 0
		.amdhsa_float_denorm_mode_32 3
		.amdhsa_float_denorm_mode_16_64 3
		.amdhsa_fp16_overflow 0
		.amdhsa_memory_ordered 1
		.amdhsa_forward_progress 1
		.amdhsa_inst_pref_size 57
		.amdhsa_round_robin_scheduling 0
		.amdhsa_exception_fp_ieee_invalid_op 0
		.amdhsa_exception_fp_denorm_src 0
		.amdhsa_exception_fp_ieee_div_zero 0
		.amdhsa_exception_fp_ieee_overflow 0
		.amdhsa_exception_fp_ieee_underflow 0
		.amdhsa_exception_fp_ieee_inexact 0
		.amdhsa_exception_int_div_zero 0
	.end_amdhsa_kernel
	.section	.text._ZL26rocblas_hemvn_kernel_lowerILb0ELi64ELi4ELi33ELi32ELi16Ei19rocblas_complex_numIfEPKS1_PS1_EviT6_lT7_lT5_lS6_lS7_lS5_lT8_i,"axG",@progbits,_ZL26rocblas_hemvn_kernel_lowerILb0ELi64ELi4ELi33ELi32ELi16Ei19rocblas_complex_numIfEPKS1_PS1_EviT6_lT7_lT5_lS6_lS7_lS5_lT8_i,comdat
.Lfunc_end121:
	.size	_ZL26rocblas_hemvn_kernel_lowerILb0ELi64ELi4ELi33ELi32ELi16Ei19rocblas_complex_numIfEPKS1_PS1_EviT6_lT7_lT5_lS6_lS7_lS5_lT8_i, .Lfunc_end121-_ZL26rocblas_hemvn_kernel_lowerILb0ELi64ELi4ELi33ELi32ELi16Ei19rocblas_complex_numIfEPKS1_PS1_EviT6_lT7_lT5_lS6_lS7_lS5_lT8_i
                                        ; -- End function
	.set _ZL26rocblas_hemvn_kernel_lowerILb0ELi64ELi4ELi33ELi32ELi16Ei19rocblas_complex_numIfEPKS1_PS1_EviT6_lT7_lT5_lS6_lS7_lS5_lT8_i.num_vgpr, 126
	.set _ZL26rocblas_hemvn_kernel_lowerILb0ELi64ELi4ELi33ELi32ELi16Ei19rocblas_complex_numIfEPKS1_PS1_EviT6_lT7_lT5_lS6_lS7_lS5_lT8_i.num_agpr, 0
	.set _ZL26rocblas_hemvn_kernel_lowerILb0ELi64ELi4ELi33ELi32ELi16Ei19rocblas_complex_numIfEPKS1_PS1_EviT6_lT7_lT5_lS6_lS7_lS5_lT8_i.numbered_sgpr, 99
	.set _ZL26rocblas_hemvn_kernel_lowerILb0ELi64ELi4ELi33ELi32ELi16Ei19rocblas_complex_numIfEPKS1_PS1_EviT6_lT7_lT5_lS6_lS7_lS5_lT8_i.num_named_barrier, 0
	.set _ZL26rocblas_hemvn_kernel_lowerILb0ELi64ELi4ELi33ELi32ELi16Ei19rocblas_complex_numIfEPKS1_PS1_EviT6_lT7_lT5_lS6_lS7_lS5_lT8_i.private_seg_size, 0
	.set _ZL26rocblas_hemvn_kernel_lowerILb0ELi64ELi4ELi33ELi32ELi16Ei19rocblas_complex_numIfEPKS1_PS1_EviT6_lT7_lT5_lS6_lS7_lS5_lT8_i.uses_vcc, 1
	.set _ZL26rocblas_hemvn_kernel_lowerILb0ELi64ELi4ELi33ELi32ELi16Ei19rocblas_complex_numIfEPKS1_PS1_EviT6_lT7_lT5_lS6_lS7_lS5_lT8_i.uses_flat_scratch, 0
	.set _ZL26rocblas_hemvn_kernel_lowerILb0ELi64ELi4ELi33ELi32ELi16Ei19rocblas_complex_numIfEPKS1_PS1_EviT6_lT7_lT5_lS6_lS7_lS5_lT8_i.has_dyn_sized_stack, 0
	.set _ZL26rocblas_hemvn_kernel_lowerILb0ELi64ELi4ELi33ELi32ELi16Ei19rocblas_complex_numIfEPKS1_PS1_EviT6_lT7_lT5_lS6_lS7_lS5_lT8_i.has_recursion, 0
	.set _ZL26rocblas_hemvn_kernel_lowerILb0ELi64ELi4ELi33ELi32ELi16Ei19rocblas_complex_numIfEPKS1_PS1_EviT6_lT7_lT5_lS6_lS7_lS5_lT8_i.has_indirect_call, 0
	.section	.AMDGPU.csdata,"",@progbits
; Kernel info:
; codeLenInByte = 7268
; TotalNumSgprs: 101
; NumVgprs: 126
; ScratchSize: 0
; MemoryBound: 1
; FloatMode: 240
; IeeeMode: 1
; LDSByteSize: 9600 bytes/workgroup (compile time only)
; SGPRBlocks: 0
; VGPRBlocks: 7
; NumSGPRsForWavesPerEU: 101
; NumVGPRsForWavesPerEU: 126
; NamedBarCnt: 0
; Occupancy: 8
; WaveLimiterHint : 1
; COMPUTE_PGM_RSRC2:SCRATCH_EN: 0
; COMPUTE_PGM_RSRC2:USER_SGPR: 2
; COMPUTE_PGM_RSRC2:TRAP_HANDLER: 0
; COMPUTE_PGM_RSRC2:TGID_X_EN: 1
; COMPUTE_PGM_RSRC2:TGID_Y_EN: 0
; COMPUTE_PGM_RSRC2:TGID_Z_EN: 1
; COMPUTE_PGM_RSRC2:TIDIG_COMP_CNT: 1
	.section	.text._ZL26rocblas_hemvn_kernel_upperILb0ELi64ELi4ELi33ELi32ELi16ElPK19rocblas_complex_numIdES3_PS1_EviT6_lT7_lT5_lS6_lS7_lS5_lT8_i,"axG",@progbits,_ZL26rocblas_hemvn_kernel_upperILb0ELi64ELi4ELi33ELi32ELi16ElPK19rocblas_complex_numIdES3_PS1_EviT6_lT7_lT5_lS6_lS7_lS5_lT8_i,comdat
	.globl	_ZL26rocblas_hemvn_kernel_upperILb0ELi64ELi4ELi33ELi32ELi16ElPK19rocblas_complex_numIdES3_PS1_EviT6_lT7_lT5_lS6_lS7_lS5_lT8_i ; -- Begin function _ZL26rocblas_hemvn_kernel_upperILb0ELi64ELi4ELi33ELi32ELi16ElPK19rocblas_complex_numIdES3_PS1_EviT6_lT7_lT5_lS6_lS7_lS5_lT8_i
	.p2align	8
	.type	_ZL26rocblas_hemvn_kernel_upperILb0ELi64ELi4ELi33ELi32ELi16ElPK19rocblas_complex_numIdES3_PS1_EviT6_lT7_lT5_lS6_lS7_lS5_lT8_i,@function
_ZL26rocblas_hemvn_kernel_upperILb0ELi64ELi4ELi33ELi32ELi16ElPK19rocblas_complex_numIdES3_PS1_EviT6_lT7_lT5_lS6_lS7_lS5_lT8_i: ; @_ZL26rocblas_hemvn_kernel_upperILb0ELi64ELi4ELi33ELi32ELi16ElPK19rocblas_complex_numIdES3_PS1_EviT6_lT7_lT5_lS6_lS7_lS5_lT8_i
; %bb.0:
	s_clause 0x1
	s_load_b64 s[2:3], s[0:1], 0x84
	s_load_b32 s33, s[0:1], 0x70
	s_bfe_u32 s4, ttmp6, 0x40014
	s_lshr_b32 s5, ttmp7, 16
	s_add_co_i32 s4, s4, 1
	s_bfe_u32 s7, ttmp6, 0x40008
	s_mul_i32 s4, s5, s4
	s_getreg_b32 s6, hwreg(HW_REG_IB_STS2, 6, 4)
	s_add_co_i32 s7, s7, s4
	s_mov_b32 s29, 0
	s_wait_kmcnt 0x0
	s_lshr_b32 s4, s2, 16
	s_and_b32 s2, s2, 0xffff
	s_and_b32 s3, s3, 0xffff
	s_mul_i32 s2, s4, s2
	s_cmp_eq_u32 s6, 0
	s_mul_i32 s2, s2, s3
	s_cselect_b32 s28, s5, s7
	s_cmp_lg_u32 s2, 0x100
	s_cselect_b32 s2, -1, 0
	s_cmp_ge_u32 s28, s33
	s_cselect_b32 s3, -1, 0
	s_delay_alu instid0(SALU_CYCLE_1) | instskip(NEXT) | instid1(SALU_CYCLE_1)
	s_or_b32 s2, s2, s3
	s_and_b32 vcc_lo, exec_lo, s2
	s_cbranch_vccnz .LBB122_157
; %bb.1:
	s_load_b32 s2, s[0:1], 0x0
	s_add_nc_u64 s[8:9], s[0:1], 0x78
	s_clause 0x2
	s_load_b512 s[36:51], s[0:1], 0x8
	s_load_b64 s[4:5], s[0:1], 0x68
	s_load_b256 s[20:27], s[0:1], 0x48
	s_wait_xcnt 0x0
	s_bfe_u32 s0, ttmp6, 0x4000c
	v_bfe_u32 v1, v0, 10, 10
	s_add_co_i32 s0, s0, 1
	s_and_b32 s1, ttmp6, 15
	s_mul_i32 s3, ttmp9, s0
	s_set_vgpr_msb 64                       ;  msbs: dst=1 src0=0 src1=0 src2=0
	v_and_b32_e32 v6 /*v262*/, 0x3ff, v0
	s_add_co_i32 s1, s1, s3
	s_set_vgpr_msb 0                        ;  msbs: dst=0 src0=0 src1=0 src2=0
	v_dual_mov_b32 v2, 0 :: v_dual_bitop2_b32 v4, 31, v0 bitop3:0x40
	v_lshlrev_b32_e32 v6, 6, v1
	s_load_b32 s30, s[8:9], 0x0
	s_set_vgpr_msb 4                        ;  msbs: dst=0 src0=0 src1=1 src2=0
	v_lshlrev_b32_e32 v186, 4, v6 /*v262*/
	s_mov_b32 s31, s29
	v_dual_mov_b32 v5, v2 :: v_dual_mov_b32 v7, v2
	s_set_vgpr_msb 64                       ;  msbs: dst=1 src0=0 src1=0 src2=0
	v_add_nc_u32_e32 v8 /*v264*/, 0x4300, v6
	v_cmp_eq_u32_e64 s0, 0, v1
	s_wait_kmcnt 0x0
	s_ashr_i32 s3, s2, 31
	s_cmp_eq_u32 s6, 0
	s_set_vgpr_msb 0                        ;  msbs: dst=0 src0=0 src1=0 src2=0
	v_add_nc_u64_e32 v[8:9], 0x200, v[6:7]
	s_cselect_b32 s34, ttmp9, s1
	v_add_nc_u64_e32 v[10:11], 0x530, v[6:7]
	s_lshl_b32 s18, s34, 6
	s_set_vgpr_msb 4                        ;  msbs: dst=0 src0=0 src1=1 src2=0
	v_dual_add_nc_u32 v3, v6, v6 /*v262*/ :: v_dual_add_nc_u32 v188, s18, v6 /*v262*/
	s_lshr_b32 s1, s3, 26
	s_set_vgpr_msb 0                        ;  msbs: dst=0 src0=0 src1=0 src2=0
	v_mul_u64_e32 v[8:9], s[44:45], v[8:9]
	s_add_co_i32 s1, s2, s1
	v_mul_u64_e32 v[10:11], s[44:45], v[10:11]
	v_dual_ashrrev_i32 v189, 31, v188 :: v_dual_lshrrev_b32 v44, 5, v3
	s_and_not1_b32 s1, s1, 63
	s_add_co_i32 s10, s30, -1
	s_lshl_b64 s[6:7], s[50:51], 4
	s_delay_alu instid0(VALU_DEP_1)
	v_mul_u64_e32 v[26:27], s[20:21], v[188:189]
	v_mad_nc_u64_u32 v[28:29], s44, v44, v[4:5]
	s_lshl_b64 s[8:9], s[42:43], 4
	s_sub_co_i32 s68, s2, s1
	s_cmp_eq_u32 s34, s10
	s_add_nc_u64 s[8:9], s[40:41], s[8:9]
	s_cselect_b32 s42, s68, 0
	v_add_nc_u64_e32 v[12:13], 0x220, v[6:7]
	s_cmp_lg_u32 s42, 0
	s_add_nc_u64 s[6:7], s[48:49], s[6:7]
	s_cselect_b32 s69, -1, 0
	s_cmp_eq_u32 s42, 0
	v_mad_u32 v29, s45, v44, v29
	s_cselect_b32 s1, -1, 0
	s_ashr_i32 s19, s18, 31
	s_ashr_i32 s35, s34, 31
	s_lshl_b64 s[10:11], s[18:19], 4
	v_add_nc_u64_e32 v[16:17], 0x210, v[6:7]
	s_add_nc_u64 s[8:9], s[8:9], s[10:11]
	v_add_nc_u64_e32 v[20:21], 0x230, v[6:7]
	v_add_nc_u64_e32 v[24:25], 0x300, v[6:7]
	;; [unrolled: 1-line block ×4, first 2 shown]
	v_lshlrev_b64_e32 v[28:29], 4, v[28:29]
	v_add_nc_u64_e32 v[38:39], 0x330, v[6:7]
	v_add_nc_u64_e32 v[40:41], 0x400, v[6:7]
	v_mul_u64_e32 v[12:13], s[44:45], v[12:13]
	s_mul_u64 s[40:41], s[30:31], s[2:3]
	v_add_nc_u64_e32 v[14:15], 0x520, v[6:7]
	v_add_nc_u64_e32 v[18:19], 0x510, v[6:7]
	;; [unrolled: 1-line block ×4, first 2 shown]
	v_lshl_add_u64 v[190:191], v[26:27], 4, s[6:7]
	s_mul_u64 s[6:7], s[2:3], s[34:35]
	v_add_nc_u64_e32 v[26:27], 0x430, v[6:7]
	s_lshl_b64 s[2:3], s[6:7], 4
	s_mul_u64 s[6:7], s[44:45], s[18:19]
	v_add_nc_u64_e32 v[32:33], 0x420, v[6:7]
	v_lshl_add_u64 v[192:193], s[6:7], 4, v[42:43]
	v_lshlrev_b32_e32 v42, 2, v44
	v_add_nc_u64_e32 v[36:37], 0x410, v[6:7]
	v_mul_u64_e32 v[16:17], s[44:45], v[16:17]
	v_mul_u64_e32 v[20:21], s[44:45], v[20:21]
	;; [unrolled: 1-line block ×7, first 2 shown]
	v_sub_nc_u64_e32 v[194:195], v[8:9], v[28:29]
	v_sub_nc_u64_e32 v[196:197], v[10:11], v[28:29]
	v_dual_add_nc_u32 v8, 8, v44 :: v_dual_bitop2_b32 v45, 3, v42 bitop3:0x54
	v_dual_add_nc_u32 v9, 16, v44 :: v_dual_add_nc_u32 v10, 24, v44
	v_mul_u64_e32 v[14:15], s[44:45], v[14:15]
	v_mul_u64_e32 v[18:19], s[44:45], v[18:19]
	;; [unrolled: 1-line block ×6, first 2 shown]
	s_sub_co_i32 s16, s42, 32
	s_add_nc_u64 s[48:49], s[4:5], s[2:3]
	v_or_b32_e32 v11, 32, v4
	v_cmp_le_i32_e64 s5, s42, v8
	v_cmp_le_i32_e64 s6, s42, v9
	;; [unrolled: 1-line block ×3, first 2 shown]
	v_lshlrev_b32_e32 v8, 6, v44
	v_cmp_le_i32_e64 s7, s42, v10
	v_cmp_le_i32_e64 s12, s16, v9
	v_lshrrev_b32_e32 v9, 4, v3
	v_cmp_le_i32_e64 s13, s16, v10
	v_and_b32_e32 v10, 48, v0
	v_cmp_gt_u32_e64 s11, 32, v3
	v_cmp_gt_u32_e64 s14, 64, v3
	v_dual_lshlrev_b32 v6, 6, v9 :: v_dual_bitop2_b32 v0, 15, v0 bitop3:0x40
	s_delay_alu instid0(VALU_DEP_4)
	v_lshlrev_b32_e32 v3, 4, v10
	v_or_b32_e32 v10, 0xf0, v186
	v_dual_lshlrev_b32 v7, 4, v4 :: v_dual_bitop2_b32 v43, 2, v42 bitop3:0x54
	s_set_vgpr_msb 64                       ;  msbs: dst=1 src0=0 src1=0 src2=0
	v_mad_u32_u24 v9 /*v265*/, 0x430, v0, v6
	v_mad_u32_u24 v10 /*v266*/, 0x430, v0, v3
	;; [unrolled: 1-line block ×3, first 2 shown]
	s_set_vgpr_msb 0                        ;  msbs: dst=0 src0=0 src1=0 src2=0
	v_mul_u32_u24_e32 v0, 33, v4
	v_mul_i32_i24_e32 v3, 0xffffffd0, v44
	v_sub_nc_u64_e32 v[198:199], v[12:13], v[28:29]
	v_or_b32_e32 v12, 1, v42
	v_cmp_gt_i32_e64 s8, s42, v11
	s_set_vgpr_msb 64                       ;  msbs: dst=1 src0=0 src1=0 src2=0
	v_lshlrev_b32_e32 v14 /*v270*/, 4, v0
	s_set_vgpr_msb 0                        ;  msbs: dst=0 src0=0 src1=0 src2=0
	v_lshlrev_b32_e32 v0, 4, v44
	v_lshl_or_b32 v11, v4, 9, v7
	s_set_vgpr_msb 4                        ;  msbs: dst=0 src0=0 src1=1 src2=0
	v_cmp_gt_i32_e32 vcc_lo, s42, v6 /*v262*/
	s_set_vgpr_msb 0                        ;  msbs: dst=0 src0=0 src1=0 src2=0
	v_sub_nc_u64_e32 v[202:203], v[16:17], v[28:29]
	s_set_vgpr_msb 0x41                     ;  msbs: dst=1 src0=1 src1=0 src2=0
	v_add_nc_u32_e32 v17 /*v273*/, v14 /*v270*/, v8
	s_set_vgpr_msb 0                        ;  msbs: dst=0 src0=0 src1=0 src2=0
	v_sub_nc_u64_e32 v[206:207], v[20:21], v[28:29]
	v_sub_nc_u64_e32 v[210:211], v[24:25], v[28:29]
	;; [unrolled: 1-line block ×6, first 2 shown]
	s_set_vgpr_msb 0x41                     ;  msbs: dst=1 src0=1 src1=0 src2=0
	v_add_nc_u32_e32 v19 /*v275*/, 0x4700, v0
	v_dual_add_nc_u32 v23 /*v279*/, v17 /*v273*/, v3 :: v_dual_add_nc_u32 v18 /*v274*/, v14 /*v270*/, v0
	s_set_vgpr_msb 0                        ;  msbs: dst=0 src0=0 src1=0 src2=0
	v_mul_i32_i24_e32 v0, 0xffffffd0, v9
	s_set_vgpr_msb 64                       ;  msbs: dst=1 src0=0 src1=0 src2=0
	v_mad_u32_u24 v7 /*v263*/, 0x210, v44, v7
	v_dual_add_nc_u32 v12 /*v268*/, v11, v8 :: v_dual_lshlrev_b32 v20 /*v276*/, 2, v1
	v_mad_u32_u24 v13 /*v269*/, 0x210, v12, v7
	s_or_b32 s60, s1, vcc_lo
	s_set_vgpr_msb 0                        ;  msbs: dst=0 src0=0 src1=0 src2=0
	v_sub_nc_u64_e32 v[200:201], v[14:15], v[28:29]
	v_sub_nc_u64_e32 v[204:205], v[18:19], v[28:29]
	;; [unrolled: 1-line block ×6, first 2 shown]
	s_set_vgpr_msb 0x41                     ;  msbs: dst=1 src0=1 src1=0 src2=0
	v_mad_u32_u24 v21 /*v277*/, 0x10c0, v1, v186
	v_mad_u32_u24 v22 /*v278*/, 0x430, v1, v186
	v_add_nc_u32_e32 v24 /*v280*/, v9 /*v265*/, v0
	s_set_vgpr_msb 0                        ;  msbs: dst=0 src0=0 src1=0 src2=0
	v_sub_nc_u64_e32 v[0:1], 0, v[4:5]
	s_add_co_i32 s31, s34, 1
	s_xor_b32 s70, s60, -1
	v_cmp_gt_i32_e64 s1, s42, v4
	s_ashr_i32 s43, s42, 31
	v_cmp_le_i32_e64 s2, s42, v44
	v_cmp_gt_u32_e64 s3, v43, v4
	v_cmp_gt_u32_e64 s4, v45, v4
	s_lshl_b64 s[50:51], s[44:45], 7
	v_cmp_gt_u32_e64 s9, v42, v4
	v_cmp_ge_u32_e64 s15, v42, v4
	s_lshl_b64 s[52:53], s[44:45], 8
	s_set_vgpr_msb 64                       ;  msbs: dst=1 src0=0 src1=0 src2=0
	v_mad_u32_u24 v15 /*v271*/, 0x840, v44, v7
	s_lshl_b64 s[56:57], s[44:45], 5
	v_cmp_le_i32_e64 s16, s16, v44
	v_add_nc_u32_e32 v16 /*v272*/, 0x4700, v8
	v_cmp_eq_u32_e64 s17, 1, v44
	s_set_vgpr_msb 0                        ;  msbs: dst=0 src0=0 src1=0 src2=0
	v_dual_mov_b32 v187, v2 :: v_dual_bitop2_b32 v194, 8, v194 bitop3:0x54
	v_dual_lshlrev_b32 v226, 4, v4 :: v_dual_bitop2_b32 v202, 8, v202 bitop3:0x54
	v_or_b32_e32 v206, 8, v206
	v_or_b32_e32 v210, 8, v210
	;; [unrolled: 1-line block ×6, first 2 shown]
	s_set_vgpr_msb 64                       ;  msbs: dst=1 src0=0 src1=0 src2=0
	v_add_nc_u32_e32 v25 /*v281*/, 0x4700, v186
	s_set_vgpr_msb 0x44                     ;  msbs: dst=1 src0=0 src1=1 src2=0
	v_add_nc_u32_e32 v26 /*v282*/, 0x1080, v7 /*v263*/
	v_add_nc_u32_e32 v27 /*v283*/, 0x2100, v7 /*v263*/
	;; [unrolled: 1-line block ×3, first 2 shown]
	v_dual_add_nc_u32 v29 /*v285*/, 16, v12 /*v268*/ :: v_dual_add_nc_u32 v30 /*v286*/, 32, v12 /*v268*/
	v_add_nc_u32_e32 v31 /*v287*/, 0x210, v13 /*v269*/
	v_dual_add_nc_u32 v32 /*v288*/, 48, v12 /*v268*/ :: v_dual_add_nc_u32 v34 /*v290*/, 16, v17 /*v273*/
	v_add_nc_u32_e32 v33 /*v289*/, 0x420, v13 /*v269*/
	v_dual_add_nc_u32 v35 /*v291*/, 32, v17 /*v273*/ :: v_dual_add_nc_u32 v36 /*v292*/, 48, v17 /*v273*/
	s_set_vgpr_msb 64                       ;  msbs: dst=1 src0=0 src1=0 src2=0
	v_add_nc_u32_e32 v37 /*v293*/, 0x4300, v186
	s_set_vgpr_msb 0x44                     ;  msbs: dst=1 src0=0 src1=1 src2=0
	v_dual_add_nc_u32 v41 /*v297*/, 16, v20 /*v276*/ :: v_dual_bitop2_b32 v38 /*v294*/, 1, v20 /*v276*/ bitop3:0x54
	v_dual_add_nc_u32 v42 /*v298*/, 17, v20 /*v276*/ :: v_dual_bitop2_b32 v39 /*v295*/, 2, v20 /*v276*/ bitop3:0x54
	;; [unrolled: 1-line block ×3, first 2 shown]
	v_dual_add_nc_u32 v44 /*v300*/, 19, v20 /*v276*/ :: v_dual_add_nc_u32 v45 /*v301*/, 32, v20 /*v276*/
	v_dual_add_nc_u32 v46 /*v302*/, 33, v20 /*v276*/ :: v_dual_add_nc_u32 v47 /*v303*/, 34, v20 /*v276*/
	;; [unrolled: 1-line block ×4, first 2 shown]
	v_add_nc_u32_e32 v52 /*v308*/, 51, v20 /*v276*/
	s_mul_u64 s[58:59], s[20:21], s[18:19]
	s_cmp_lt_u32 s31, s30
	s_mul_u64 s[54:55], s[44:45], 0x180
	s_sub_nc_u64 s[58:59], 0, s[58:59]
	s_cselect_b32 s31, -1, 0
	s_add_co_i32 s35, s30, -2
	s_and_b32 s71, s0, s60
	s_mov_b64 s[60:61], 0xfffffffffffffe00
	s_mov_b64 s[62:63], 0xfffffffffffffdf0
	s_sub_nc_u64 s[64:65], 0, s[42:43]
	s_add_co_i32 s72, s18, 64
	s_lshl_b64 s[44:45], s[44:45], 10
	s_set_vgpr_msb 0                        ;  msbs: dst=0 src0=0 src1=0 src2=0
	s_branch .LBB122_4
.LBB122_2:                              ;   in Loop: Header=BB122_4 Depth=1
	s_wait_xcnt 0x0
	s_or_b32 exec_lo, exec_lo, s66
.LBB122_3:                              ;   in Loop: Header=BB122_4 Depth=1
	s_add_co_i32 s28, s28, 0x10000
	s_delay_alu instid0(SALU_CYCLE_1)
	s_cmp_lt_u32 s28, s33
	s_cbranch_scc0 .LBB122_157
.LBB122_4:                              ; =>This Loop Header: Depth=1
                                        ;     Child Loop BB122_79 Depth 2
	s_mul_u64 s[18:19], s[38:39], s[28:29]
	s_delay_alu instid0(SALU_CYCLE_1) | instskip(NEXT) | instid1(SALU_CYCLE_1)
	s_lshl_b64 s[18:19], s[18:19], 4
	s_add_nc_u64 s[18:19], s[36:37], s[18:19]
	global_load_b128 v[4:7], v2, s[18:19]
	s_wait_loadcnt 0x0
	v_cmp_neq_f64_e32 vcc_lo, 0, v[4:5]
	s_wait_xcnt 0x0
	v_cmp_neq_f64_e64 s18, 0, v[6:7]
	s_or_b32 s19, vcc_lo, s18
	s_mov_b32 s18, -1
	s_and_b32 vcc_lo, exec_lo, s19
	s_cbranch_vccnz .LBB122_6
; %bb.5:                                ;   in Loop: Header=BB122_4 Depth=1
	s_mul_u64 s[66:67], s[26:27], s[28:29]
	s_delay_alu instid0(SALU_CYCLE_1) | instskip(NEXT) | instid1(SALU_CYCLE_1)
	s_lshl_b64 s[66:67], s[66:67], 4
	s_add_nc_u64 s[66:67], s[24:25], s[66:67]
	global_load_b128 v[4:7], v2, s[66:67]
	s_wait_loadcnt 0x0
	v_cmp_neq_f64_e32 vcc_lo, 1.0, v[4:5]
	v_cmp_neq_f64_e64 s18, 0, v[6:7]
	s_or_b32 s18, vcc_lo, s18
.LBB122_6:                              ;   in Loop: Header=BB122_4 Depth=1
	s_delay_alu instid0(SALU_CYCLE_1)
	s_and_not1_b32 vcc_lo, exec_lo, s18
	s_cbranch_vccnz .LBB122_3
; %bb.7:                                ;   in Loop: Header=BB122_4 Depth=1
	s_and_not1_b32 vcc_lo, exec_lo, s19
	s_cbranch_vccnz .LBB122_3
; %bb.8:                                ;   in Loop: Header=BB122_4 Depth=1
	s_mul_u64 s[18:19], s[22:23], s[28:29]
	s_delay_alu instid0(SALU_CYCLE_1)
	v_lshl_add_u64 v[42:43], s[18:19], 4, v[190:191]
	s_wait_xcnt 0x0
	s_and_saveexec_b32 s18, s0
	s_cbranch_execz .LBB122_13
; %bb.9:                                ;   in Loop: Header=BB122_4 Depth=1
	s_and_saveexec_b32 s19, s70
	s_delay_alu instid0(SALU_CYCLE_1)
	s_xor_b32 s19, exec_lo, s19
; %bb.10:                               ;   in Loop: Header=BB122_4 Depth=1
	v_dual_mov_b32 v3, v2 :: v_dual_mov_b32 v4, v2
	v_mov_b32_e32 v5, v2
	s_set_vgpr_msb 1                        ;  msbs: dst=0 src0=1 src1=0 src2=0
	ds_store_b128 v25 /*v281*/, v[2:5]
; %bb.11:                               ;   in Loop: Header=BB122_4 Depth=1
	s_and_not1_saveexec_b32 s19, s19
	s_set_vgpr_msb 0                        ;  msbs: dst=0 src0=0 src1=0 src2=0
	s_cbranch_execz .LBB122_13
; %bb.12:                               ;   in Loop: Header=BB122_4 Depth=1
	global_load_b128 v[4:7], v[42:43], off
	s_wait_loadcnt 0x0
	s_set_vgpr_msb 1                        ;  msbs: dst=0 src0=1 src1=0 src2=0
	ds_store_2addr_b64 v25 /*v281*/, v[4:5], v[6:7] offset1:1
.LBB122_13:                             ;   in Loop: Header=BB122_4 Depth=1
	s_wait_xcnt 0x0
	s_or_b32 exec_lo, exec_lo, s18
	s_mul_u64 s[18:19], s[46:47], s[28:29]
	s_and_b32 vcc_lo, exec_lo, s69
	s_set_vgpr_msb 0                        ;  msbs: dst=0 src0=0 src1=0 src2=0
	v_lshl_add_u64 v[6:7], s[18:19], 4, v[192:193]
	s_mov_b32 s18, -1
                                        ; implicit-def: $vgpr4_vgpr5
	s_cbranch_vccz .LBB122_25
; %bb.14:                               ;   in Loop: Header=BB122_4 Depth=1
	s_and_saveexec_b32 s18, s2
	s_delay_alu instid0(SALU_CYCLE_1)
	s_xor_b32 s18, exec_lo, s18
; %bb.15:                               ;   in Loop: Header=BB122_4 Depth=1
	v_dual_mov_b32 v3, v2 :: v_dual_mov_b32 v4, v2
	v_mov_b32_e32 v5, v2
	s_set_vgpr_msb 1                        ;  msbs: dst=0 src0=1 src1=0 src2=0
	ds_store_b128 v7 /*v263*/, v[2:5]
; %bb.16:                               ;   in Loop: Header=BB122_4 Depth=1
	s_or_saveexec_b32 s18, s18
	s_set_vgpr_msb 0                        ;  msbs: dst=0 src0=0 src1=0 src2=0
	v_lshl_add_u64 v[4:5], v[0:1], 4, v[6:7]
	s_delay_alu instid0(VALU_DEP_1) | instskip(NEXT) | instid1(VALU_DEP_1)
	v_lshl_add_u64 v[4:5], s[42:43], 4, v[4:5]
	v_add_nc_u64_e32 v[4:5], -16, v[4:5]
	s_delay_alu instid0(VALU_DEP_1)
	v_dual_cndmask_b32 v9, v5, v7, s1 :: v_dual_cndmask_b32 v8, v4, v6, s1
	s_xor_b32 exec_lo, exec_lo, s18
	s_cbranch_execnz .LBB122_139
; %bb.17:                               ;   in Loop: Header=BB122_4 Depth=1
	s_or_b32 exec_lo, exec_lo, s18
	s_and_saveexec_b32 s18, s5
	s_delay_alu instid0(SALU_CYCLE_1)
	s_xor_b32 s18, exec_lo, s18
	s_cbranch_execnz .LBB122_140
.LBB122_18:                             ;   in Loop: Header=BB122_4 Depth=1
	s_and_not1_saveexec_b32 s18, s18
	s_cbranch_execnz .LBB122_141
.LBB122_19:                             ;   in Loop: Header=BB122_4 Depth=1
	s_or_b32 exec_lo, exec_lo, s18
	s_and_saveexec_b32 s18, s6
	s_delay_alu instid0(SALU_CYCLE_1)
	s_xor_b32 s18, exec_lo, s18
	s_cbranch_execnz .LBB122_142
.LBB122_20:                             ;   in Loop: Header=BB122_4 Depth=1
	s_and_not1_saveexec_b32 s18, s18
	s_cbranch_execnz .LBB122_143
.LBB122_21:                             ;   in Loop: Header=BB122_4 Depth=1
	s_or_b32 exec_lo, exec_lo, s18
	s_and_saveexec_b32 s18, s7
	s_delay_alu instid0(SALU_CYCLE_1)
	s_xor_b32 s18, exec_lo, s18
	s_cbranch_execnz .LBB122_144
.LBB122_22:                             ;   in Loop: Header=BB122_4 Depth=1
	s_and_not1_saveexec_b32 s18, s18
	s_cbranch_execz .LBB122_24
.LBB122_23:                             ;   in Loop: Header=BB122_4 Depth=1
	v_add_nc_u64_e32 v[4:5], s[54:55], v[8:9]
	global_load_b128 v[10:13], v[4:5], off
	s_wait_loadcnt 0x0
	s_set_vgpr_msb 1                        ;  msbs: dst=0 src0=1 src1=0 src2=0
	ds_store_2addr_b64 v28 /*v284*/, v[10:11], v[12:13] offset1:1
.LBB122_24:                             ;   in Loop: Header=BB122_4 Depth=1
	s_wait_xcnt 0x0
	s_or_b32 exec_lo, exec_lo, s18
	s_set_vgpr_msb 0                        ;  msbs: dst=0 src0=0 src1=0 src2=0
	v_mov_b32_e32 v227, v2
	s_mov_b32 s18, 0
	s_delay_alu instid0(VALU_DEP_1) | instskip(NEXT) | instid1(VALU_DEP_1)
	v_add_nc_u64_e32 v[4:5], v[8:9], v[226:227]
	v_lshl_add_u64 v[4:5], s[64:65], 4, v[4:5]
	s_delay_alu instid0(VALU_DEP_1) | instskip(NEXT) | instid1(VALU_DEP_1)
	v_add_nc_u64_e32 v[4:5], 16, v[4:5]
	v_dual_cndmask_b32 v5, v5, v7, s1 :: v_dual_cndmask_b32 v4, v4, v6, s1
.LBB122_25:                             ;   in Loop: Header=BB122_4 Depth=1
	s_and_b32 vcc_lo, exec_lo, s18
	s_cbranch_vccz .LBB122_27
; %bb.26:                               ;   in Loop: Header=BB122_4 Depth=1
	v_add_nc_u64_e32 v[4:5], s[50:51], v[6:7]
	s_delay_alu instid0(VALU_DEP_1) | instskip(NEXT) | instid1(VALU_DEP_1)
	v_add_nc_u64_e32 v[16:17], s[50:51], v[4:5]
	v_add_nc_u64_e32 v[20:21], s[50:51], v[16:17]
	s_clause 0x3
	global_load_b128 v[8:11], v[6:7], off
	global_load_b128 v[12:15], v[4:5], off
	;; [unrolled: 1-line block ×4, first 2 shown]
	s_wait_xcnt 0x2
	v_mov_b64_e32 v[4:5], v[6:7]
	s_wait_loadcnt 0x3
	s_set_vgpr_msb 1                        ;  msbs: dst=0 src0=1 src1=0 src2=0
	ds_store_2addr_b64 v7 /*v263*/, v[8:9], v[10:11] offset1:1
	s_wait_loadcnt 0x2
	ds_store_2addr_b64 v26 /*v282*/, v[12:13], v[14:15] offset1:1
	s_wait_loadcnt 0x1
	;; [unrolled: 2-line block ×3, first 2 shown]
	ds_store_2addr_b64 v28 /*v284*/, v[20:21], v[22:23] offset1:1
.LBB122_27:                             ;   in Loop: Header=BB122_4 Depth=1
	s_wait_dscnt 0x0
	s_barrier_signal -1
	s_barrier_wait -1
	s_wait_xcnt 0x0
	s_and_saveexec_b32 s18, s9
	s_set_vgpr_msb 0                        ;  msbs: dst=0 src0=0 src1=0 src2=0
	s_cbranch_execnz .LBB122_133
; %bb.28:                               ;   in Loop: Header=BB122_4 Depth=1
	s_or_b32 exec_lo, exec_lo, s18
	s_and_saveexec_b32 s18, s15
	s_cbranch_execnz .LBB122_134
.LBB122_29:                             ;   in Loop: Header=BB122_4 Depth=1
	s_or_b32 exec_lo, exec_lo, s18
	s_and_saveexec_b32 s18, s3
	s_cbranch_execnz .LBB122_135
.LBB122_30:                             ;   in Loop: Header=BB122_4 Depth=1
	s_or_b32 exec_lo, exec_lo, s18
	s_and_saveexec_b32 s18, s4
	s_cbranch_execz .LBB122_32
.LBB122_31:                             ;   in Loop: Header=BB122_4 Depth=1
	s_set_vgpr_msb 1                        ;  msbs: dst=0 src0=1 src1=0 src2=0
	ds_load_b128 v[6:9], v33 /*v289*/
	s_wait_dscnt 0x0
	ds_store_b128 v32 /*v288*/, v[6:9]
.LBB122_32:                             ;   in Loop: Header=BB122_4 Depth=1
	s_or_b32 exec_lo, exec_lo, s18
	s_wait_dscnt 0x0
	s_barrier_signal -1
	s_barrier_wait -1
	s_set_vgpr_msb 1                        ;  msbs: dst=0 src0=1 src1=0 src2=0
	ds_load_b128 v[6:9], v15 /*v271*/
	ds_load_b128 v[10:13], v16 /*v272*/
	ds_load_b128 v[14:17], v16 /*v272*/ offset:16
	ds_load_b128 v[18:21], v13 /*v269*/
	s_wait_dscnt 0x2
	s_set_vgpr_msb 0                        ;  msbs: dst=0 src0=0 src1=0 src2=0
	v_mul_f64_e32 v[22:23], v[12:13], v[8:9]
	v_mul_f64_e32 v[28:29], v[10:11], v[8:9]
	s_wait_dscnt 0x0
	v_mul_f64_e32 v[30:31], v[16:17], v[20:21]
	v_mul_f64_e32 v[32:33], v[14:15], v[20:21]
	s_delay_alu instid0(VALU_DEP_4) | instskip(NEXT) | instid1(VALU_DEP_4)
	v_fma_f64 v[34:35], v[10:11], v[6:7], -v[22:23]
	v_fmac_f64_e32 v[28:29], v[12:13], v[6:7]
	s_set_vgpr_msb 1                        ;  msbs: dst=0 src0=1 src1=0 src2=0
	ds_load_b128 v[6:9], v31 /*v287*/
	ds_load_b128 v[10:13], v16 /*v272*/ offset:32
	ds_load_b128 v[20:23], v16 /*v272*/ offset:48
	ds_load_b128 v[24:27], v33 /*v289*/
	s_set_vgpr_msb 0                        ;  msbs: dst=0 src0=0 src1=0 src2=0
	v_fma_f64 v[14:15], v[14:15], v[18:19], -v[30:31]
	v_fmac_f64_e32 v[32:33], v[16:17], v[18:19]
	s_wait_dscnt 0x0
	s_barrier_signal -1
	s_barrier_wait -1
	v_mul_f64_e32 v[36:37], v[12:13], v[8:9]
	v_mul_f64_e32 v[8:9], v[10:11], v[8:9]
	v_add_f64_e32 v[16:17], 0, v[34:35]
	v_add_f64_e32 v[18:19], 0, v[28:29]
	v_mul_f64_e32 v[28:29], v[22:23], v[26:27]
	v_mul_f64_e32 v[26:27], v[20:21], v[26:27]
	v_fma_f64 v[10:11], v[10:11], v[6:7], -v[36:37]
	v_fmac_f64_e32 v[8:9], v[12:13], v[6:7]
	v_add_f64_e32 v[6:7], v[16:17], v[14:15]
	v_add_f64_e32 v[12:13], v[18:19], v[32:33]
	v_fma_f64 v[14:15], v[20:21], v[24:25], -v[28:29]
	v_fmac_f64_e32 v[26:27], v[22:23], v[24:25]
	s_delay_alu instid0(VALU_DEP_4) | instskip(NEXT) | instid1(VALU_DEP_4)
	v_add_f64_e32 v[6:7], v[6:7], v[10:11]
	v_add_f64_e32 v[8:9], v[12:13], v[8:9]
	s_delay_alu instid0(VALU_DEP_2) | instskip(NEXT) | instid1(VALU_DEP_2)
	v_add_f64_e32 v[10:11], v[6:7], v[14:15]
	v_add_f64_e32 v[12:13], v[8:9], v[26:27]
	v_mov_b64_e32 v[6:7], 0
	v_mov_b64_e32 v[8:9], 0
	s_set_vgpr_msb 1                        ;  msbs: dst=0 src0=1 src1=0 src2=0
	ds_store_b128 v18 /*v274*/, v[10:13]
	s_wait_dscnt 0x0
	s_barrier_signal -1
	s_barrier_wait -1
	s_and_saveexec_b32 s18, s11
	s_set_vgpr_msb 0                        ;  msbs: dst=0 src0=0 src1=0 src2=0
	s_cbranch_execz .LBB122_34
; %bb.33:                               ;   in Loop: Header=BB122_4 Depth=1
	s_set_vgpr_msb 1                        ;  msbs: dst=0 src0=1 src1=0 src2=0
	ds_load_b128 v[6:9], v14 /*v270*/
	ds_load_b128 v[10:13], v14 /*v270*/ offset:16
	s_wait_dscnt 0x0
	s_set_vgpr_msb 0                        ;  msbs: dst=0 src0=0 src1=0 src2=0
	v_add_f64_e32 v[14:15], v[10:11], v[6:7]
	v_add_f64_e32 v[16:17], v[12:13], v[8:9]
	s_set_vgpr_msb 1                        ;  msbs: dst=0 src0=1 src1=0 src2=0
	ds_load_b128 v[6:9], v14 /*v270*/ offset:32
	ds_load_b128 v[10:13], v14 /*v270*/ offset:48
	s_wait_dscnt 0x1
	s_set_vgpr_msb 0                        ;  msbs: dst=0 src0=0 src1=0 src2=0
	v_add_f64_e32 v[6:7], v[14:15], v[6:7]
	v_add_f64_e32 v[8:9], v[16:17], v[8:9]
	s_wait_dscnt 0x0
	s_delay_alu instid0(VALU_DEP_2) | instskip(NEXT) | instid1(VALU_DEP_2)
	v_add_f64_e32 v[14:15], v[6:7], v[10:11]
	v_add_f64_e32 v[16:17], v[8:9], v[12:13]
	s_set_vgpr_msb 1                        ;  msbs: dst=0 src0=1 src1=0 src2=0
	ds_load_b128 v[6:9], v14 /*v270*/ offset:64
	ds_load_b128 v[10:13], v14 /*v270*/ offset:80
	s_wait_dscnt 0x1
	s_set_vgpr_msb 0                        ;  msbs: dst=0 src0=0 src1=0 src2=0
	v_add_f64_e32 v[6:7], v[14:15], v[6:7]
	v_add_f64_e32 v[8:9], v[16:17], v[8:9]
	s_wait_dscnt 0x0
	s_delay_alu instid0(VALU_DEP_2) | instskip(NEXT) | instid1(VALU_DEP_2)
	;; [unrolled: 11-line block ×3, first 2 shown]
	v_add_f64_e32 v[6:7], v[6:7], v[10:11]
	v_add_f64_e32 v[8:9], v[8:9], v[12:13]
.LBB122_34:                             ;   in Loop: Header=BB122_4 Depth=1
	s_or_b32 exec_lo, exec_lo, s18
	v_lshl_add_u64 v[14:15], s[56:57], 4, v[4:5]
	s_and_b32 vcc_lo, exec_lo, s69
	s_mov_b32 s18, -1
	s_barrier_signal -1
	s_delay_alu instid0(VALU_DEP_1)
	v_add_nc_u64_e32 v[12:13], 0x200, v[14:15]
	s_barrier_wait -1
                                        ; implicit-def: $vgpr10_vgpr11
	s_cbranch_vccz .LBB122_46
; %bb.35:                               ;   in Loop: Header=BB122_4 Depth=1
	s_and_saveexec_b32 s18, s16
	s_delay_alu instid0(SALU_CYCLE_1)
	s_xor_b32 s18, exec_lo, s18
; %bb.36:                               ;   in Loop: Header=BB122_4 Depth=1
	v_dual_mov_b32 v3, v2 :: v_dual_mov_b32 v4, v2
	v_mov_b32_e32 v5, v2
	s_set_vgpr_msb 1                        ;  msbs: dst=0 src0=1 src1=0 src2=0
	ds_store_b128 v7 /*v263*/, v[2:5]
; %bb.37:                               ;   in Loop: Header=BB122_4 Depth=1
	s_or_saveexec_b32 s18, s18
	s_set_vgpr_msb 0                        ;  msbs: dst=0 src0=0 src1=0 src2=0
	v_lshl_add_u64 v[4:5], v[0:1], 4, v[14:15]
	s_delay_alu instid0(VALU_DEP_1) | instskip(NEXT) | instid1(VALU_DEP_1)
	v_lshl_add_u64 v[4:5], s[42:43], 4, v[4:5]
	v_add_nc_u64_e32 v[4:5], -16, v[4:5]
	s_delay_alu instid0(VALU_DEP_1)
	v_dual_cndmask_b32 v11, v5, v13, s8 :: v_dual_cndmask_b32 v10, v4, v12, s8
	s_xor_b32 exec_lo, exec_lo, s18
	s_cbranch_execnz .LBB122_145
; %bb.38:                               ;   in Loop: Header=BB122_4 Depth=1
	s_or_b32 exec_lo, exec_lo, s18
	s_and_saveexec_b32 s18, s10
	s_delay_alu instid0(SALU_CYCLE_1)
	s_xor_b32 s18, exec_lo, s18
	s_cbranch_execnz .LBB122_146
.LBB122_39:                             ;   in Loop: Header=BB122_4 Depth=1
	s_and_not1_saveexec_b32 s18, s18
	s_cbranch_execnz .LBB122_147
.LBB122_40:                             ;   in Loop: Header=BB122_4 Depth=1
	s_or_b32 exec_lo, exec_lo, s18
	s_and_saveexec_b32 s18, s12
	s_delay_alu instid0(SALU_CYCLE_1)
	s_xor_b32 s18, exec_lo, s18
	s_cbranch_execnz .LBB122_148
.LBB122_41:                             ;   in Loop: Header=BB122_4 Depth=1
	s_and_not1_saveexec_b32 s18, s18
	s_cbranch_execnz .LBB122_149
.LBB122_42:                             ;   in Loop: Header=BB122_4 Depth=1
	s_or_b32 exec_lo, exec_lo, s18
	s_and_saveexec_b32 s18, s13
	s_delay_alu instid0(SALU_CYCLE_1)
	s_xor_b32 s18, exec_lo, s18
	s_cbranch_execnz .LBB122_150
.LBB122_43:                             ;   in Loop: Header=BB122_4 Depth=1
	s_and_not1_saveexec_b32 s18, s18
	s_cbranch_execz .LBB122_45
.LBB122_44:                             ;   in Loop: Header=BB122_4 Depth=1
	v_add_nc_u64_e32 v[4:5], s[54:55], v[10:11]
	global_load_b128 v[16:19], v[4:5], off
	s_wait_loadcnt 0x0
	s_set_vgpr_msb 1                        ;  msbs: dst=0 src0=1 src1=0 src2=0
	ds_store_2addr_b64 v28 /*v284*/, v[16:17], v[18:19] offset1:1
.LBB122_45:                             ;   in Loop: Header=BB122_4 Depth=1
	s_wait_xcnt 0x0
	s_or_b32 exec_lo, exec_lo, s18
	s_set_vgpr_msb 0                        ;  msbs: dst=0 src0=0 src1=0 src2=0
	v_mov_b32_e32 v227, v2
	s_mov_b32 s18, 0
	s_delay_alu instid0(VALU_DEP_1) | instskip(NEXT) | instid1(VALU_DEP_1)
	v_add_nc_u64_e32 v[4:5], v[10:11], v[226:227]
	v_lshl_add_u64 v[4:5], s[64:65], 4, v[4:5]
	s_delay_alu instid0(VALU_DEP_1) | instskip(NEXT) | instid1(VALU_DEP_1)
	v_add_nc_u64_e32 v[4:5], 0x210, v[4:5]
	v_dual_cndmask_b32 v11, v5, v13, s8 :: v_dual_cndmask_b32 v10, v4, v12, s8
.LBB122_46:                             ;   in Loop: Header=BB122_4 Depth=1
	s_and_b32 vcc_lo, exec_lo, s18
	s_cbranch_vccz .LBB122_48
; %bb.47:                               ;   in Loop: Header=BB122_4 Depth=1
	v_add_nc_u64_e32 v[4:5], s[50:51], v[14:15]
	s_delay_alu instid0(VALU_DEP_1) | instskip(NEXT) | instid1(VALU_DEP_1)
	v_add_nc_u64_e32 v[10:11], s[50:51], v[4:5]
	v_add_nc_u64_e32 v[26:27], s[50:51], v[10:11]
	s_clause 0x3
	global_load_b128 v[14:17], v[12:13], off
	global_load_b128 v[18:21], v[4:5], off offset:512
	global_load_b128 v[22:25], v[10:11], off offset:512
	;; [unrolled: 1-line block ×3, first 2 shown]
	s_wait_xcnt 0x1
	v_mov_b64_e32 v[10:11], v[12:13]
	s_wait_loadcnt 0x3
	s_set_vgpr_msb 1                        ;  msbs: dst=0 src0=1 src1=0 src2=0
	ds_store_2addr_b64 v7 /*v263*/, v[14:15], v[16:17] offset1:1
	s_wait_loadcnt 0x2
	ds_store_2addr_b64 v26 /*v282*/, v[18:19], v[20:21] offset1:1
	s_wait_loadcnt 0x1
	ds_store_2addr_b64 v27 /*v283*/, v[22:23], v[24:25] offset1:1
	s_wait_loadcnt 0x0
	ds_store_2addr_b64 v28 /*v284*/, v[26:27], v[28:29] offset1:1
.LBB122_48:                             ;   in Loop: Header=BB122_4 Depth=1
	s_wait_dscnt 0x0
	s_barrier_signal -1
	s_barrier_wait -1
	s_wait_xcnt 0x0
	s_and_saveexec_b32 s18, s9
	s_set_vgpr_msb 0                        ;  msbs: dst=0 src0=0 src1=0 src2=0
	s_cbranch_execnz .LBB122_136
; %bb.49:                               ;   in Loop: Header=BB122_4 Depth=1
	s_or_b32 exec_lo, exec_lo, s18
	s_and_saveexec_b32 s18, s15
	s_cbranch_execnz .LBB122_137
.LBB122_50:                             ;   in Loop: Header=BB122_4 Depth=1
	s_or_b32 exec_lo, exec_lo, s18
	s_and_saveexec_b32 s18, s3
	s_cbranch_execnz .LBB122_138
.LBB122_51:                             ;   in Loop: Header=BB122_4 Depth=1
	s_or_b32 exec_lo, exec_lo, s18
	s_and_saveexec_b32 s18, s4
	s_cbranch_execz .LBB122_53
.LBB122_52:                             ;   in Loop: Header=BB122_4 Depth=1
	s_set_vgpr_msb 1                        ;  msbs: dst=0 src0=1 src1=0 src2=0
	ds_load_b128 v[12:15], v33 /*v289*/
	s_wait_dscnt 0x0
	ds_store_b128 v36 /*v292*/, v[12:15]
.LBB122_53:                             ;   in Loop: Header=BB122_4 Depth=1
	s_or_b32 exec_lo, exec_lo, s18
	s_wait_dscnt 0x0
	s_barrier_signal -1
	s_barrier_wait -1
	s_set_vgpr_msb 1                        ;  msbs: dst=0 src0=1 src1=0 src2=0
	ds_load_b128 v[12:15], v15 /*v271*/
	ds_load_b128 v[16:19], v16 /*v272*/ offset:512
	ds_load_b128 v[20:23], v16 /*v272*/ offset:528
	ds_load_b128 v[24:27], v13 /*v269*/
	s_wait_dscnt 0x2
	s_set_vgpr_msb 0                        ;  msbs: dst=0 src0=0 src1=0 src2=0
	v_mul_f64_e32 v[4:5], v[18:19], v[14:15]
	v_mul_f64_e32 v[34:35], v[16:17], v[14:15]
	s_wait_dscnt 0x0
	v_mul_f64_e32 v[36:37], v[22:23], v[26:27]
	v_mul_f64_e32 v[38:39], v[20:21], v[26:27]
	s_delay_alu instid0(VALU_DEP_4) | instskip(NEXT) | instid1(VALU_DEP_4)
	v_fma_f64 v[4:5], v[16:17], v[12:13], -v[4:5]
	v_fmac_f64_e32 v[34:35], v[18:19], v[12:13]
	s_set_vgpr_msb 1                        ;  msbs: dst=0 src0=1 src1=0 src2=0
	ds_load_b128 v[12:15], v31 /*v287*/
	ds_load_b128 v[16:19], v16 /*v272*/ offset:544
	ds_load_b128 v[26:29], v16 /*v272*/ offset:560
	ds_load_b128 v[30:33], v33 /*v289*/
	s_set_vgpr_msb 0                        ;  msbs: dst=0 src0=0 src1=0 src2=0
	v_fma_f64 v[20:21], v[20:21], v[24:25], -v[36:37]
	v_fmac_f64_e32 v[38:39], v[22:23], v[24:25]
	s_wait_dscnt 0x0
	s_barrier_signal -1
	s_barrier_wait -1
	v_mul_f64_e32 v[40:41], v[18:19], v[14:15]
	v_mul_f64_e32 v[14:15], v[16:17], v[14:15]
	;; [unrolled: 1-line block ×4, first 2 shown]
	v_add_f64_e32 v[4:5], 0, v[4:5]
	v_add_f64_e32 v[22:23], 0, v[34:35]
	v_fma_f64 v[16:17], v[16:17], v[12:13], -v[40:41]
	v_fmac_f64_e32 v[14:15], v[18:19], v[12:13]
	v_fma_f64 v[18:19], v[26:27], v[30:31], -v[24:25]
	v_fmac_f64_e32 v[32:33], v[28:29], v[30:31]
	v_add_f64_e32 v[4:5], v[4:5], v[20:21]
	v_add_f64_e32 v[12:13], v[22:23], v[38:39]
	s_delay_alu instid0(VALU_DEP_2) | instskip(NEXT) | instid1(VALU_DEP_2)
	v_add_f64_e32 v[4:5], v[4:5], v[16:17]
	v_add_f64_e32 v[14:15], v[12:13], v[14:15]
	s_delay_alu instid0(VALU_DEP_2) | instskip(NEXT) | instid1(VALU_DEP_2)
	v_add_f64_e32 v[12:13], v[4:5], v[18:19]
	v_add_f64_e32 v[14:15], v[14:15], v[32:33]
	s_set_vgpr_msb 1                        ;  msbs: dst=0 src0=1 src1=0 src2=0
	ds_store_b128 v18 /*v274*/, v[12:15]
	s_wait_dscnt 0x0
	s_barrier_signal -1
	s_barrier_wait -1
	s_and_saveexec_b32 s18, s17
	s_set_vgpr_msb 0                        ;  msbs: dst=0 src0=0 src1=0 src2=0
	s_cbranch_execz .LBB122_55
; %bb.54:                               ;   in Loop: Header=BB122_4 Depth=1
	s_set_vgpr_msb 1                        ;  msbs: dst=0 src0=1 src1=0 src2=0
	ds_load_b128 v[4:7], v14 /*v270*/
	ds_load_b128 v[12:15], v14 /*v270*/ offset:16
	s_wait_dscnt 0x0
	s_set_vgpr_msb 0                        ;  msbs: dst=0 src0=0 src1=0 src2=0
	v_add_f64_e32 v[8:9], v[12:13], v[4:5]
	v_add_f64_e32 v[16:17], v[14:15], v[6:7]
	s_set_vgpr_msb 1                        ;  msbs: dst=0 src0=1 src1=0 src2=0
	ds_load_b128 v[4:7], v14 /*v270*/ offset:32
	ds_load_b128 v[12:15], v14 /*v270*/ offset:48
	s_wait_dscnt 0x1
	s_set_vgpr_msb 0                        ;  msbs: dst=0 src0=0 src1=0 src2=0
	v_add_f64_e32 v[4:5], v[8:9], v[4:5]
	v_add_f64_e32 v[6:7], v[16:17], v[6:7]
	s_wait_dscnt 0x0
	s_delay_alu instid0(VALU_DEP_2) | instskip(NEXT) | instid1(VALU_DEP_2)
	v_add_f64_e32 v[8:9], v[4:5], v[12:13]
	v_add_f64_e32 v[16:17], v[6:7], v[14:15]
	s_set_vgpr_msb 1                        ;  msbs: dst=0 src0=1 src1=0 src2=0
	ds_load_b128 v[4:7], v14 /*v270*/ offset:64
	ds_load_b128 v[12:15], v14 /*v270*/ offset:80
	s_wait_dscnt 0x1
	s_set_vgpr_msb 0                        ;  msbs: dst=0 src0=0 src1=0 src2=0
	v_add_f64_e32 v[4:5], v[8:9], v[4:5]
	v_add_f64_e32 v[6:7], v[16:17], v[6:7]
	s_wait_dscnt 0x0
	s_delay_alu instid0(VALU_DEP_2) | instskip(NEXT) | instid1(VALU_DEP_2)
	;; [unrolled: 11-line block ×3, first 2 shown]
	v_add_f64_e32 v[6:7], v[4:5], v[12:13]
	v_add_f64_e32 v[8:9], v[8:9], v[14:15]
.LBB122_55:                             ;   in Loop: Header=BB122_4 Depth=1
	s_or_b32 exec_lo, exec_lo, s18
	v_add_nc_u64_e32 v[12:13], s[60:61], v[10:11]
	s_and_b32 vcc_lo, exec_lo, s69
	s_mov_b32 s18, -1
	s_barrier_signal -1
	s_barrier_wait -1
                                        ; implicit-def: $vgpr4_vgpr5
	s_cbranch_vccz .LBB122_67
; %bb.56:                               ;   in Loop: Header=BB122_4 Depth=1
	s_and_saveexec_b32 s18, s16
	s_delay_alu instid0(SALU_CYCLE_1)
	s_xor_b32 s18, exec_lo, s18
; %bb.57:                               ;   in Loop: Header=BB122_4 Depth=1
	v_dual_mov_b32 v3, v2 :: v_dual_mov_b32 v4, v2
	v_mov_b32_e32 v5, v2
	s_set_vgpr_msb 1                        ;  msbs: dst=0 src0=1 src1=0 src2=0
	ds_store_b128 v7 /*v263*/, v[2:5]
; %bb.58:                               ;   in Loop: Header=BB122_4 Depth=1
	s_or_saveexec_b32 s18, s18
	s_set_vgpr_msb 0                        ;  msbs: dst=0 src0=0 src1=0 src2=0
	v_lshl_add_u64 v[4:5], v[0:1], 4, v[10:11]
	s_delay_alu instid0(VALU_DEP_1) | instskip(NEXT) | instid1(VALU_DEP_1)
	v_lshl_add_u64 v[4:5], s[42:43], 4, v[4:5]
	v_add_nc_u64_e32 v[4:5], s[62:63], v[4:5]
	s_delay_alu instid0(VALU_DEP_1)
	v_dual_cndmask_b32 v15, v5, v13, s1 :: v_dual_cndmask_b32 v14, v4, v12, s1
	s_xor_b32 exec_lo, exec_lo, s18
	s_cbranch_execnz .LBB122_151
; %bb.59:                               ;   in Loop: Header=BB122_4 Depth=1
	s_or_b32 exec_lo, exec_lo, s18
	s_and_saveexec_b32 s18, s10
	s_delay_alu instid0(SALU_CYCLE_1)
	s_xor_b32 s18, exec_lo, s18
	s_cbranch_execnz .LBB122_152
.LBB122_60:                             ;   in Loop: Header=BB122_4 Depth=1
	s_and_not1_saveexec_b32 s18, s18
	s_cbranch_execnz .LBB122_153
.LBB122_61:                             ;   in Loop: Header=BB122_4 Depth=1
	s_or_b32 exec_lo, exec_lo, s18
	s_and_saveexec_b32 s18, s12
	s_delay_alu instid0(SALU_CYCLE_1)
	s_xor_b32 s18, exec_lo, s18
	s_cbranch_execnz .LBB122_154
.LBB122_62:                             ;   in Loop: Header=BB122_4 Depth=1
	s_and_not1_saveexec_b32 s18, s18
	s_cbranch_execnz .LBB122_155
.LBB122_63:                             ;   in Loop: Header=BB122_4 Depth=1
	s_or_b32 exec_lo, exec_lo, s18
	s_and_saveexec_b32 s18, s13
	s_delay_alu instid0(SALU_CYCLE_1)
	s_xor_b32 s18, exec_lo, s18
	s_cbranch_execnz .LBB122_156
.LBB122_64:                             ;   in Loop: Header=BB122_4 Depth=1
	s_and_not1_saveexec_b32 s18, s18
	s_cbranch_execz .LBB122_66
.LBB122_65:                             ;   in Loop: Header=BB122_4 Depth=1
	v_add_nc_u64_e32 v[4:5], s[54:55], v[14:15]
	global_load_b128 v[16:19], v[4:5], off
	s_wait_loadcnt 0x0
	s_set_vgpr_msb 1                        ;  msbs: dst=0 src0=1 src1=0 src2=0
	ds_store_2addr_b64 v28 /*v284*/, v[16:17], v[18:19] offset1:1
.LBB122_66:                             ;   in Loop: Header=BB122_4 Depth=1
	s_wait_xcnt 0x0
	s_or_b32 exec_lo, exec_lo, s18
	s_set_vgpr_msb 0                        ;  msbs: dst=0 src0=0 src1=0 src2=0
	v_mov_b32_e32 v227, v2
	s_mov_b32 s18, 0
	s_delay_alu instid0(VALU_DEP_1) | instskip(NEXT) | instid1(VALU_DEP_1)
	v_add_nc_u64_e32 v[4:5], v[14:15], v[226:227]
	v_lshl_add_u64 v[4:5], s[64:65], 4, v[4:5]
	s_delay_alu instid0(VALU_DEP_1) | instskip(NEXT) | instid1(VALU_DEP_1)
	v_add_nc_u64_e32 v[4:5], 16, v[4:5]
	v_dual_cndmask_b32 v5, v5, v13, s1 :: v_dual_cndmask_b32 v4, v4, v12, s1
.LBB122_67:                             ;   in Loop: Header=BB122_4 Depth=1
	s_and_b32 vcc_lo, exec_lo, s18
	s_cbranch_vccz .LBB122_69
; %bb.68:                               ;   in Loop: Header=BB122_4 Depth=1
	v_add_nc_u64_e32 v[4:5], s[50:51], v[10:11]
	s_delay_alu instid0(VALU_DEP_1) | instskip(NEXT) | instid1(VALU_DEP_1)
	v_add_nc_u64_e32 v[10:11], s[50:51], v[4:5]
	v_add_nc_u64_e32 v[26:27], s[50:51], v[10:11]
	s_clause 0x3
	global_load_b128 v[14:17], v[12:13], off
	global_load_b128 v[18:21], v[4:5], off offset:-512
	global_load_b128 v[22:25], v[10:11], off offset:-512
	;; [unrolled: 1-line block ×3, first 2 shown]
	s_wait_xcnt 0x2
	v_mov_b64_e32 v[4:5], v[12:13]
	s_wait_loadcnt 0x3
	s_set_vgpr_msb 1                        ;  msbs: dst=0 src0=1 src1=0 src2=0
	ds_store_2addr_b64 v7 /*v263*/, v[14:15], v[16:17] offset1:1
	s_wait_loadcnt 0x2
	ds_store_2addr_b64 v26 /*v282*/, v[18:19], v[20:21] offset1:1
	s_wait_loadcnt 0x1
	;; [unrolled: 2-line block ×3, first 2 shown]
	ds_store_2addr_b64 v28 /*v284*/, v[26:27], v[28:29] offset1:1
.LBB122_69:                             ;   in Loop: Header=BB122_4 Depth=1
	s_wait_dscnt 0x0
	s_barrier_signal -1
	s_barrier_wait -1
	s_wait_xcnt 0x1
	s_set_vgpr_msb 1                        ;  msbs: dst=0 src0=1 src1=0 src2=0
	ds_load_b128 v[10:13], v23 /*v279*/
	ds_load_b128 v[14:17], v19 /*v275*/
	ds_load_b128 v[18:21], v18 /*v274*/ offset:384
	ds_load_b128 v[22:25], v19 /*v275*/ offset:384
	s_wait_xcnt 0x0
	ds_load_b128 v[26:29], v19 /*v275*/ offset:128
	ds_load_b128 v[30:33], v18 /*v274*/ offset:128
	;; [unrolled: 1-line block ×4, first 2 shown]
	s_wait_dscnt 0x6
	s_set_vgpr_msb 0                        ;  msbs: dst=0 src0=0 src1=0 src2=0
	v_mul_f64_e32 v[44:45], v[12:13], v[16:17]
	v_mul_f64_e32 v[16:17], v[10:11], v[16:17]
	s_wait_dscnt 0x2
	v_mul_f64_e32 v[46:47], v[32:33], v[28:29]
	v_mul_f64_e32 v[28:29], v[30:31], v[28:29]
	s_delay_alu instid0(VALU_DEP_4) | instskip(NEXT) | instid1(VALU_DEP_4)
	v_fma_f64 v[10:11], v[10:11], v[14:15], -v[44:45]
	v_fmac_f64_e32 v[16:17], v[12:13], v[14:15]
	s_wait_dscnt 0x0
	v_mul_f64_e32 v[12:13], v[36:37], v[40:41]
	v_mul_f64_e32 v[14:15], v[34:35], v[40:41]
	v_fma_f64 v[30:31], v[30:31], v[26:27], -v[46:47]
	v_fmac_f64_e32 v[28:29], v[32:33], v[26:27]
	v_mul_f64_e32 v[26:27], v[20:21], v[24:25]
	v_mul_f64_e32 v[24:25], v[18:19], v[24:25]
	v_add_f64_e32 v[10:11], 0, v[10:11]
	v_add_f64_e32 v[16:17], 0, v[16:17]
	v_fma_f64 v[12:13], v[34:35], v[38:39], -v[12:13]
	v_fmac_f64_e32 v[14:15], v[36:37], v[38:39]
	v_fma_f64 v[18:19], v[18:19], v[22:23], -v[26:27]
	v_fmac_f64_e32 v[24:25], v[20:21], v[22:23]
	v_add_f64_e32 v[10:11], v[10:11], v[30:31]
	v_add_f64_e32 v[16:17], v[16:17], v[28:29]
	s_delay_alu instid0(VALU_DEP_2) | instskip(NEXT) | instid1(VALU_DEP_2)
	v_add_f64_e32 v[10:11], v[10:11], v[12:13]
	v_add_f64_e32 v[12:13], v[16:17], v[14:15]
	s_delay_alu instid0(VALU_DEP_2) | instskip(NEXT) | instid1(VALU_DEP_2)
	v_add_f64_e32 v[44:45], v[10:11], v[18:19]
	v_add_f64_e32 v[46:47], v[12:13], v[24:25]
	s_set_vgpr_msb 1                        ;  msbs: dst=0 src0=1 src1=0 src2=0
	ds_load_b128 v[34:37], v16 /*v272*/ offset:512
	ds_load_b128 v[26:29], v16 /*v272*/ offset:528
	;; [unrolled: 1-line block ×4, first 2 shown]
	ds_load_b128 v[38:41], v15 /*v271*/
	ds_load_b128 v[30:33], v13 /*v269*/
	;; [unrolled: 1-line block ×4, first 2 shown]
	s_wait_dscnt 0x0
	s_barrier_signal -1
	s_barrier_wait -1
	ds_store_b128 v18 /*v274*/, v[44:47]
	s_wait_dscnt 0x0
	s_barrier_signal -1
	s_barrier_wait -1
	s_and_saveexec_b32 s18, s17
	s_set_vgpr_msb 0                        ;  msbs: dst=0 src0=0 src1=0 src2=0
	s_cbranch_execz .LBB122_71
; %bb.70:                               ;   in Loop: Header=BB122_4 Depth=1
	s_set_vgpr_msb 1                        ;  msbs: dst=0 src0=1 src1=0 src2=0
	ds_load_b128 v[44:47], v14 /*v270*/
	ds_load_b128 v[48:51], v14 /*v270*/ offset:16
	s_wait_dscnt 0x1
	s_set_vgpr_msb 0                        ;  msbs: dst=0 src0=0 src1=0 src2=0
	v_add_f64_e32 v[6:7], v[6:7], v[44:45]
	v_add_f64_e32 v[8:9], v[8:9], v[46:47]
	s_wait_dscnt 0x0
	s_delay_alu instid0(VALU_DEP_2) | instskip(NEXT) | instid1(VALU_DEP_2)
	v_add_f64_e32 v[48:49], v[6:7], v[48:49]
	v_add_f64_e32 v[50:51], v[8:9], v[50:51]
	s_set_vgpr_msb 1                        ;  msbs: dst=0 src0=1 src1=0 src2=0
	ds_load_b128 v[6:9], v14 /*v270*/ offset:32
	ds_load_b128 v[44:47], v14 /*v270*/ offset:48
	s_wait_dscnt 0x1
	s_set_vgpr_msb 0                        ;  msbs: dst=0 src0=0 src1=0 src2=0
	v_add_f64_e32 v[6:7], v[48:49], v[6:7]
	v_add_f64_e32 v[8:9], v[50:51], v[8:9]
	s_wait_dscnt 0x0
	s_delay_alu instid0(VALU_DEP_2) | instskip(NEXT) | instid1(VALU_DEP_2)
	v_add_f64_e32 v[48:49], v[6:7], v[44:45]
	v_add_f64_e32 v[50:51], v[8:9], v[46:47]
	s_set_vgpr_msb 1                        ;  msbs: dst=0 src0=1 src1=0 src2=0
	ds_load_b128 v[6:9], v14 /*v270*/ offset:64
	;; [unrolled: 11-line block ×3, first 2 shown]
	ds_load_b128 v[44:47], v14 /*v270*/ offset:112
	s_wait_dscnt 0x1
	s_set_vgpr_msb 0                        ;  msbs: dst=0 src0=0 src1=0 src2=0
	v_add_f64_e32 v[6:7], v[48:49], v[6:7]
	v_add_f64_e32 v[8:9], v[50:51], v[8:9]
	s_wait_dscnt 0x0
	s_delay_alu instid0(VALU_DEP_2) | instskip(NEXT) | instid1(VALU_DEP_2)
	v_add_f64_e32 v[6:7], v[6:7], v[44:45]
	v_add_f64_e32 v[8:9], v[8:9], v[46:47]
.LBB122_71:                             ;   in Loop: Header=BB122_4 Depth=1
	s_or_b32 exec_lo, exec_lo, s18
	v_mul_f64_e32 v[44:45], v[36:37], v[40:41]
	v_mul_f64_e32 v[40:41], v[34:35], v[40:41]
	;; [unrolled: 1-line block ×4, first 2 shown]
	s_barrier_signal -1
	s_barrier_wait -1
	s_delay_alu instid0(VALU_DEP_4) | instskip(NEXT) | instid1(VALU_DEP_4)
	v_fma_f64 v[34:35], v[34:35], v[38:39], -v[44:45]
	v_fmac_f64_e32 v[40:41], v[36:37], v[38:39]
	v_mul_f64_e32 v[36:37], v[16:17], v[24:25]
	v_mul_f64_e32 v[24:25], v[14:15], v[24:25]
	v_fma_f64 v[26:27], v[26:27], v[30:31], -v[46:47]
	v_fmac_f64_e32 v[32:33], v[28:29], v[30:31]
	v_add_f64_e32 v[28:29], 0, v[34:35]
	v_add_f64_e32 v[30:31], 0, v[40:41]
	v_mul_f64_e32 v[34:35], v[12:13], v[20:21]
	v_mul_f64_e32 v[20:21], v[10:11], v[20:21]
	v_fma_f64 v[14:15], v[14:15], v[22:23], -v[36:37]
	v_fmac_f64_e32 v[24:25], v[16:17], v[22:23]
	v_add_f64_e32 v[16:17], v[28:29], v[26:27]
	v_add_f64_e32 v[22:23], v[30:31], v[32:33]
	v_fma_f64 v[10:11], v[10:11], v[18:19], -v[34:35]
	v_fmac_f64_e32 v[20:21], v[12:13], v[18:19]
	s_delay_alu instid0(VALU_DEP_4) | instskip(NEXT) | instid1(VALU_DEP_4)
	v_add_f64_e32 v[12:13], v[16:17], v[14:15]
	v_add_f64_e32 v[14:15], v[22:23], v[24:25]
	s_delay_alu instid0(VALU_DEP_2) | instskip(NEXT) | instid1(VALU_DEP_2)
	v_add_f64_e32 v[10:11], v[12:13], v[10:11]
	v_add_f64_e32 v[12:13], v[14:15], v[20:21]
	s_set_vgpr_msb 1                        ;  msbs: dst=0 src0=1 src1=0 src2=0
	ds_store_b128 v18 /*v274*/, v[10:13]
	s_wait_dscnt 0x0
	s_barrier_signal -1
	s_barrier_wait -1
	s_and_saveexec_b32 s18, s11
	s_set_vgpr_msb 0                        ;  msbs: dst=0 src0=0 src1=0 src2=0
	s_cbranch_execz .LBB122_73
; %bb.72:                               ;   in Loop: Header=BB122_4 Depth=1
	s_set_vgpr_msb 1                        ;  msbs: dst=0 src0=1 src1=0 src2=0
	ds_load_b128 v[10:13], v14 /*v270*/
	ds_load_b128 v[14:17], v14 /*v270*/ offset:16
	s_wait_dscnt 0x1
	s_set_vgpr_msb 0                        ;  msbs: dst=0 src0=0 src1=0 src2=0
	v_add_f64_e32 v[6:7], v[6:7], v[10:11]
	v_add_f64_e32 v[8:9], v[8:9], v[12:13]
	s_wait_dscnt 0x0
	s_delay_alu instid0(VALU_DEP_2) | instskip(NEXT) | instid1(VALU_DEP_2)
	v_add_f64_e32 v[14:15], v[6:7], v[14:15]
	v_add_f64_e32 v[16:17], v[8:9], v[16:17]
	s_set_vgpr_msb 1                        ;  msbs: dst=0 src0=1 src1=0 src2=0
	ds_load_b128 v[6:9], v14 /*v270*/ offset:32
	ds_load_b128 v[10:13], v14 /*v270*/ offset:48
	s_wait_dscnt 0x1
	s_set_vgpr_msb 0                        ;  msbs: dst=0 src0=0 src1=0 src2=0
	v_add_f64_e32 v[6:7], v[14:15], v[6:7]
	v_add_f64_e32 v[8:9], v[16:17], v[8:9]
	s_wait_dscnt 0x0
	s_delay_alu instid0(VALU_DEP_2) | instskip(NEXT) | instid1(VALU_DEP_2)
	v_add_f64_e32 v[14:15], v[6:7], v[10:11]
	v_add_f64_e32 v[16:17], v[8:9], v[12:13]
	s_set_vgpr_msb 1                        ;  msbs: dst=0 src0=1 src1=0 src2=0
	ds_load_b128 v[6:9], v14 /*v270*/ offset:64
	;; [unrolled: 11-line block ×3, first 2 shown]
	ds_load_b128 v[10:13], v14 /*v270*/ offset:112
	s_wait_dscnt 0x1
	s_set_vgpr_msb 0                        ;  msbs: dst=0 src0=0 src1=0 src2=0
	v_add_f64_e32 v[6:7], v[14:15], v[6:7]
	v_add_f64_e32 v[8:9], v[16:17], v[8:9]
	s_wait_dscnt 0x0
	s_delay_alu instid0(VALU_DEP_2) | instskip(NEXT) | instid1(VALU_DEP_2)
	v_add_f64_e32 v[6:7], v[6:7], v[10:11]
	v_add_f64_e32 v[8:9], v[8:9], v[12:13]
.LBB122_73:                             ;   in Loop: Header=BB122_4 Depth=1
	s_or_b32 exec_lo, exec_lo, s18
	s_mul_u64 s[18:19], s[40:41], s[28:29]
	s_and_not1_b32 vcc_lo, exec_lo, s31
	s_lshl_b64 s[18:19], s[18:19], 4
	s_delay_alu instid0(SALU_CYCLE_1)
	s_add_nc_u64 s[18:19], s[48:49], s[18:19]
	s_barrier_signal -1
	s_barrier_wait -1
	s_cbranch_vccnz .LBB122_131
; %bb.74:                               ;   in Loop: Header=BB122_4 Depth=1
	v_add_nc_u64_e32 v[228:229], v[4:5], v[194:195]
	v_add_nc_u64_e32 v[230:231], v[4:5], v[196:197]
	;; [unrolled: 1-line block ×14, first 2 shown]
	s_set_vgpr_msb 64                       ;  msbs: dst=1 src0=0 src1=0 src2=0
	v_add_nc_u64_e32 v[0:1] /*v[256:257]*/, v[4:5], v[222:223]
	v_add_nc_u64_e32 v[2:3] /*v[258:259]*/, v[4:5], v[224:225]
	v_lshl_add_u64 v[4:5] /*v[260:261]*/, s[58:59], 4, v[42:43]
	s_mov_b32 s66, s72
	s_mov_b32 s73, s34
	s_delay_alu instid0(SALU_CYCLE_1)
	s_cmp_eq_u32 s35, s73
	s_cselect_b32 s74, s68, 0
	s_and_saveexec_b32 s75, s0
	s_set_vgpr_msb 0                        ;  msbs: dst=0 src0=0 src1=0 src2=0
	s_cbranch_execz .LBB122_79
.LBB122_75:                             ;   in Loop: Header=BB122_4 Depth=1
	s_set_vgpr_msb 4                        ;  msbs: dst=0 src0=0 src1=1 src2=0
	v_cmp_le_i32_e32 vcc_lo, s74, v6 /*v262*/
	s_cmp_lg_u32 s74, 0
	s_cselect_b32 s67, -1, 0
	s_delay_alu instid0(SALU_CYCLE_1) | instskip(NEXT) | instid1(SALU_CYCLE_1)
	s_and_b32 s67, s67, vcc_lo
	s_and_saveexec_b32 s76, s67
	s_delay_alu instid0(SALU_CYCLE_1)
	s_xor_b32 s67, exec_lo, s76
; %bb.76:                               ;   in Loop: Header=BB122_4 Depth=1
	v_dual_mov_b32 v3, v2 :: v_dual_mov_b32 v4, v2
	v_mov_b32_e32 v5, v2
	s_set_vgpr_msb 1                        ;  msbs: dst=0 src0=1 src1=0 src2=0
	ds_store_b128 v37 /*v293*/, v[2:5]
; %bb.77:                               ;   in Loop: Header=BB122_4 Depth=1
	s_and_not1_saveexec_b32 s67, s67
	s_set_vgpr_msb 0                        ;  msbs: dst=0 src0=0 src1=0 src2=0
	s_cbranch_execz .LBB122_79
; %bb.78:                               ;   in Loop: Header=BB122_4 Depth=1
	s_ashr_i32 s67, s66, 31
	s_delay_alu instid0(SALU_CYCLE_1)
	s_mul_u64 s[76:77], s[20:21], s[66:67]
	s_set_vgpr_msb 16                       ;  msbs: dst=0 src0=0 src1=0 src2=1
	v_lshl_add_u64 v[4:5], s[76:77], 4, v[4:5] /*v[260:261]*/
	global_load_b128 v[10:13], v[4:5], off
	s_wait_loadcnt 0x0
	s_set_vgpr_msb 1                        ;  msbs: dst=0 src0=1 src1=0 src2=0
	ds_store_2addr_b64 v37 /*v293*/, v[10:11], v[12:13] offset1:1
.LBB122_79:                             ;   Parent Loop BB122_4 Depth=1
                                        ; =>  This Inner Loop Header: Depth=2
	s_wait_xcnt 0x0
	s_or_b32 exec_lo, exec_lo, s75
	s_cmp_eq_u32 s74, 0
	s_set_vgpr_msb 0                        ;  msbs: dst=0 src0=0 src1=0 src2=0
	v_add_nc_u64_e32 v[4:5], v[228:229], v[186:187]
	s_cselect_b32 s67, -1, 0
	s_cmp_lg_u32 s74, 0
	s_wait_dscnt 0x0
	s_cselect_b32 s75, -1, 0
	s_barrier_signal -1
	s_and_b32 vcc_lo, exec_lo, s75
	s_barrier_wait -1
	s_cbranch_vccz .LBB122_87
; %bb.80:                               ;   in Loop: Header=BB122_79 Depth=2
	v_mov_b64_e32 v[10:11], 0
	v_mov_b64_e32 v[14:15], 0
	;; [unrolled: 1-line block ×3, first 2 shown]
	s_mov_b32 s76, exec_lo
	s_set_vgpr_msb 4                        ;  msbs: dst=0 src0=0 src1=1 src2=0
	v_cmpx_gt_i32_e64 s74, v20 /*v276*/
	s_set_vgpr_msb 0                        ;  msbs: dst=0 src0=0 src1=0 src2=0
	s_cbranch_execz .LBB122_82
; %bb.81:                               ;   in Loop: Header=BB122_79 Depth=2
	global_load_b128 v[14:17], v[4:5], off offset:-8
.LBB122_82:                             ;   in Loop: Header=BB122_79 Depth=2
	s_wait_xcnt 0x0
	s_or_b32 exec_lo, exec_lo, s76
	v_mov_b64_e32 v[12:13], 0
	s_mov_b32 s76, exec_lo
	s_set_vgpr_msb 4                        ;  msbs: dst=0 src0=0 src1=1 src2=0
	v_cmpx_gt_i32_e64 s74, v38 /*v294*/
	s_set_vgpr_msb 0                        ;  msbs: dst=0 src0=0 src1=0 src2=0
	s_cbranch_execz .LBB122_84
; %bb.83:                               ;   in Loop: Header=BB122_79 Depth=2
	v_add_nc_u64_e32 v[10:11], v[236:237], v[186:187]
	global_load_b128 v[10:13], v[10:11], off offset:-8
.LBB122_84:                             ;   in Loop: Header=BB122_79 Depth=2
	s_wait_xcnt 0x0
	s_or_b32 exec_lo, exec_lo, s76
	v_mov_b64_e32 v[18:19], 0
	v_mov_b64_e32 v[20:21], 0
	s_mov_b32 s76, exec_lo
	s_set_vgpr_msb 4                        ;  msbs: dst=0 src0=0 src1=1 src2=0
	v_cmpx_gt_i32_e64 s74, v39 /*v295*/
	s_set_vgpr_msb 0                        ;  msbs: dst=0 src0=0 src1=0 src2=0
	s_cbranch_execz .LBB122_86
; %bb.85:                               ;   in Loop: Header=BB122_79 Depth=2
	v_add_nc_u64_e32 v[18:19], v[232:233], v[186:187]
	global_load_b128 v[18:21], v[18:19], off
.LBB122_86:                             ;   in Loop: Header=BB122_79 Depth=2
	s_wait_xcnt 0x0
	s_or_b32 exec_lo, exec_lo, s76
	s_set_vgpr_msb 4                        ;  msbs: dst=0 src0=0 src1=1 src2=0
	v_cmp_gt_i32_e64 s76, s74, v40 /*v296*/
	s_set_vgpr_msb 0                        ;  msbs: dst=0 src0=0 src1=0 src2=0
	s_branch .LBB122_89
.LBB122_87:                             ;   in Loop: Header=BB122_79 Depth=2
	s_mov_b32 s76, 0
                                        ; implicit-def: $vgpr20_vgpr21
                                        ; implicit-def: $vgpr12_vgpr13
                                        ; implicit-def: $vgpr16_vgpr17
	s_cbranch_execz .LBB122_89
; %bb.88:                               ;   in Loop: Header=BB122_79 Depth=2
	s_wait_loadcnt 0x0
	v_add_nc_u64_e32 v[10:11], v[236:237], v[186:187]
	v_add_nc_u64_e32 v[18:19], v[232:233], v[186:187]
	s_or_b32 s76, s76, exec_lo
	global_load_b128 v[14:17], v[4:5], off offset:-8
	global_load_b128 v[10:13], v[10:11], off offset:-8
	global_load_b128 v[18:21], v[18:19], off
.LBB122_89:                             ;   in Loop: Header=BB122_79 Depth=2
	v_mov_b64_e32 v[22:23], 0
	v_mov_b64_e32 v[24:25], 0
	s_wait_xcnt 0x0
	s_and_saveexec_b32 s77, s76
	s_cbranch_execz .LBB122_91
; %bb.90:                               ;   in Loop: Header=BB122_79 Depth=2
	v_add_nc_u64_e32 v[4:5], v[240:241], v[186:187]
	global_load_b128 v[22:25], v[4:5], off offset:-8
.LBB122_91:                             ;   in Loop: Header=BB122_79 Depth=2
	s_wait_xcnt 0x0
	s_or_b32 exec_lo, exec_lo, s77
	s_set_vgpr_msb 1                        ;  msbs: dst=0 src0=1 src1=0 src2=0
	ds_load_b128 v[30:33], v25 /*v281*/
	ds_load_b128 v[26:29], v8 /*v264*/
	v_cndmask_b32_e64 v3, 0, 1, s75
	s_and_not1_b32 vcc_lo, exec_lo, s75
	s_wait_loadcnt_dscnt 0x1
	s_set_vgpr_msb 0                        ;  msbs: dst=0 src0=0 src1=0 src2=0
	v_mul_f64_e32 v[4:5], v[16:17], v[32:33]
	v_mul_f64_e32 v[44:45], v[14:15], v[32:33]
	;; [unrolled: 1-line block ×8, first 2 shown]
	v_fma_f64 v[42:43], v[14:15], v[30:31], -v[4:5]
	v_fmac_f64_e32 v[44:45], v[16:17], v[30:31]
	v_fma_f64 v[46:47], v[10:11], v[30:31], -v[34:35]
	v_fmac_f64_e32 v[48:49], v[12:13], v[30:31]
	;; [unrolled: 2-line block ×4, first 2 shown]
	s_set_vgpr_msb 1                        ;  msbs: dst=0 src0=1 src1=0 src2=0
	ds_load_b128 v[38:41], v8 /*v264*/ offset:16
	ds_load_b128 v[34:37], v8 /*v264*/ offset:32
	;; [unrolled: 1-line block ×3, first 2 shown]
	s_set_vgpr_msb 0                        ;  msbs: dst=0 src0=0 src1=0 src2=0
	v_add_nc_u64_e32 v[4:5], v[244:245], v[186:187]
	s_set_vgpr_msb 1                        ;  msbs: dst=0 src0=1 src1=0 src2=0
	ds_store_b128 v21 /*v277*/, v[42:45]
	ds_store_b128 v21 /*v277*/, v[46:49] offset:1072
	ds_store_b128 v21 /*v277*/, v[50:53] offset:2144
	;; [unrolled: 1-line block ×3, first 2 shown]
	s_wait_dscnt 0x0
	s_barrier_signal -1
	s_barrier_wait -1
	ds_load_b128 v[98:101], v9 /*v265*/
	ds_load_b128 v[94:97], v9 /*v265*/ offset:16
	ds_load_b128 v[90:93], v9 /*v265*/ offset:32
	;; [unrolled: 1-line block ×3, first 2 shown]
	s_wait_dscnt 0x0
	s_barrier_signal -1
	s_barrier_wait -1
	s_set_vgpr_msb 0                        ;  msbs: dst=0 src0=0 src1=0 src2=0
	s_cbranch_vccnz .LBB122_99
; %bb.92:                               ;   in Loop: Header=BB122_79 Depth=2
	v_mov_b64_e32 v[42:43], 0
	v_mov_b64_e32 v[46:47], 0
	;; [unrolled: 1-line block ×3, first 2 shown]
	s_mov_b32 s75, exec_lo
	s_set_vgpr_msb 4                        ;  msbs: dst=0 src0=0 src1=1 src2=0
	v_cmpx_gt_i32_e64 s74, v41 /*v297*/
	s_set_vgpr_msb 0                        ;  msbs: dst=0 src0=0 src1=0 src2=0
	s_cbranch_execz .LBB122_94
; %bb.93:                               ;   in Loop: Header=BB122_79 Depth=2
	global_load_b128 v[46:49], v[4:5], off offset:-8
.LBB122_94:                             ;   in Loop: Header=BB122_79 Depth=2
	s_wait_xcnt 0x0
	s_or_b32 exec_lo, exec_lo, s75
	v_mov_b64_e32 v[44:45], 0
	s_mov_b32 s75, exec_lo
	s_set_vgpr_msb 4                        ;  msbs: dst=0 src0=0 src1=1 src2=0
	v_cmpx_gt_i32_e64 s74, v42 /*v298*/
	s_set_vgpr_msb 0                        ;  msbs: dst=0 src0=0 src1=0 src2=0
	s_cbranch_execz .LBB122_96
; %bb.95:                               ;   in Loop: Header=BB122_79 Depth=2
	v_add_nc_u64_e32 v[42:43], v[248:249], v[186:187]
	global_load_b128 v[42:45], v[42:43], off offset:-8
.LBB122_96:                             ;   in Loop: Header=BB122_79 Depth=2
	s_wait_xcnt 0x0
	s_or_b32 exec_lo, exec_lo, s75
	v_mov_b64_e32 v[50:51], 0
	v_mov_b64_e32 v[52:53], 0
	s_mov_b32 s75, exec_lo
	s_set_vgpr_msb 4                        ;  msbs: dst=0 src0=0 src1=1 src2=0
	v_cmpx_gt_i32_e64 s74, v43 /*v299*/
	s_set_vgpr_msb 0                        ;  msbs: dst=0 src0=0 src1=0 src2=0
	s_cbranch_execz .LBB122_98
; %bb.97:                               ;   in Loop: Header=BB122_79 Depth=2
	v_add_nc_u64_e32 v[50:51], v[252:253], v[186:187]
	global_load_b128 v[50:53], v[50:51], off offset:-8
.LBB122_98:                             ;   in Loop: Header=BB122_79 Depth=2
	s_wait_xcnt 0x0
	s_or_b32 exec_lo, exec_lo, s75
	s_set_vgpr_msb 4                        ;  msbs: dst=0 src0=0 src1=1 src2=0
	v_cmp_gt_i32_e64 s75, s74, v44 /*v300*/
	s_set_vgpr_msb 0                        ;  msbs: dst=0 src0=0 src1=0 src2=0
	s_branch .LBB122_101
.LBB122_99:                             ;   in Loop: Header=BB122_79 Depth=2
	s_mov_b32 s75, 0
                                        ; implicit-def: $vgpr52_vgpr53
                                        ; implicit-def: $vgpr44_vgpr45
                                        ; implicit-def: $vgpr48_vgpr49
	s_cbranch_execz .LBB122_101
; %bb.100:                              ;   in Loop: Header=BB122_79 Depth=2
	s_wait_loadcnt 0x0
	v_add_nc_u64_e32 v[42:43], v[248:249], v[186:187]
	v_add_nc_u64_e32 v[50:51], v[252:253], v[186:187]
	s_or_b32 s75, s75, exec_lo
	global_load_b128 v[46:49], v[4:5], off offset:-8
	global_load_b128 v[42:45], v[42:43], off offset:-8
	;; [unrolled: 1-line block ×3, first 2 shown]
.LBB122_101:                            ;   in Loop: Header=BB122_79 Depth=2
	v_mov_b64_e32 v[54:55], 0
	v_mov_b64_e32 v[56:57], 0
	s_wait_xcnt 0x0
	s_and_saveexec_b32 s76, s75
	s_cbranch_execz .LBB122_103
; %bb.102:                              ;   in Loop: Header=BB122_79 Depth=2
	s_set_vgpr_msb 1                        ;  msbs: dst=0 src0=1 src1=0 src2=0
	v_add_nc_u64_e32 v[4:5], v[0:1] /*v[256:257]*/, v[186:187]
	s_set_vgpr_msb 0                        ;  msbs: dst=0 src0=0 src1=0 src2=0
	global_load_b128 v[54:57], v[4:5], off offset:-8
.LBB122_103:                            ;   in Loop: Header=BB122_79 Depth=2
	s_wait_xcnt 0x0
	s_or_b32 exec_lo, exec_lo, s76
	s_set_vgpr_msb 1                        ;  msbs: dst=0 src0=1 src1=0 src2=0
	ds_load_b128 v[62:65], v25 /*v281*/
	ds_load_b128 v[58:61], v8 /*v264*/ offset:256
	v_cmp_ne_u32_e32 vcc_lo, 1, v3
	s_and_b32 vcc_lo, exec_lo, vcc_lo
	s_wait_loadcnt_dscnt 0x1
	s_set_vgpr_msb 0                        ;  msbs: dst=0 src0=0 src1=0 src2=0
	v_mul_f64_e32 v[4:5], v[48:49], v[64:65]
	v_mul_f64_e32 v[72:73], v[46:47], v[64:65]
	;; [unrolled: 1-line block ×8, first 2 shown]
	v_fma_f64 v[70:71], v[46:47], v[62:63], -v[4:5]
	v_fmac_f64_e32 v[72:73], v[48:49], v[62:63]
	v_fma_f64 v[78:79], v[42:43], v[62:63], -v[66:67]
	v_fmac_f64_e32 v[80:81], v[44:45], v[62:63]
	;; [unrolled: 2-line block ×4, first 2 shown]
	s_set_vgpr_msb 1                        ;  msbs: dst=0 src0=1 src1=0 src2=0
	ds_load_b128 v[74:77], v8 /*v264*/ offset:272
	ds_load_b128 v[66:69], v8 /*v264*/ offset:288
	;; [unrolled: 1-line block ×3, first 2 shown]
	v_add_nc_u64_e32 v[4:5], v[2:3] /*v[258:259]*/, v[186:187]
	ds_store_b128 v21 /*v277*/, v[70:73]
	ds_store_b128 v21 /*v277*/, v[78:81] offset:1072
	ds_store_b128 v21 /*v277*/, v[82:85] offset:2144
	;; [unrolled: 1-line block ×3, first 2 shown]
	s_wait_dscnt 0x0
	s_barrier_signal -1
	s_barrier_wait -1
	ds_load_b128 v[150:153], v9 /*v265*/
	ds_load_b128 v[146:149], v9 /*v265*/ offset:16
	ds_load_b128 v[138:141], v9 /*v265*/ offset:32
	ds_load_b128 v[134:137], v9 /*v265*/ offset:48
	s_wait_dscnt 0x0
	s_barrier_signal -1
	s_barrier_wait -1
	s_set_vgpr_msb 0                        ;  msbs: dst=0 src0=0 src1=0 src2=0
	s_cbranch_vccnz .LBB122_111
; %bb.104:                              ;   in Loop: Header=BB122_79 Depth=2
	v_mov_b64_e32 v[70:71], 0
	v_mov_b64_e32 v[78:79], 0
	;; [unrolled: 1-line block ×3, first 2 shown]
	s_mov_b32 s75, exec_lo
	s_set_vgpr_msb 4                        ;  msbs: dst=0 src0=0 src1=1 src2=0
	v_cmpx_gt_i32_e64 s74, v45 /*v301*/
	s_set_vgpr_msb 0                        ;  msbs: dst=0 src0=0 src1=0 src2=0
	s_cbranch_execz .LBB122_106
; %bb.105:                              ;   in Loop: Header=BB122_79 Depth=2
	global_load_b128 v[78:81], v[4:5], off offset:-8
.LBB122_106:                            ;   in Loop: Header=BB122_79 Depth=2
	s_wait_xcnt 0x0
	s_or_b32 exec_lo, exec_lo, s75
	v_mov_b64_e32 v[72:73], 0
	s_mov_b32 s75, exec_lo
	s_set_vgpr_msb 4                        ;  msbs: dst=0 src0=0 src1=1 src2=0
	v_cmpx_gt_i32_e64 s74, v46 /*v302*/
	s_set_vgpr_msb 0                        ;  msbs: dst=0 src0=0 src1=0 src2=0
	s_cbranch_execz .LBB122_108
; %bb.107:                              ;   in Loop: Header=BB122_79 Depth=2
	v_add_nc_u64_e32 v[70:71], v[254:255], v[186:187]
	global_load_b128 v[70:73], v[70:71], off
.LBB122_108:                            ;   in Loop: Header=BB122_79 Depth=2
	s_wait_xcnt 0x0
	s_or_b32 exec_lo, exec_lo, s75
	v_mov_b64_e32 v[82:83], 0
	v_mov_b64_e32 v[84:85], 0
	s_mov_b32 s75, exec_lo
	s_set_vgpr_msb 4                        ;  msbs: dst=0 src0=0 src1=1 src2=0
	v_cmpx_gt_i32_e64 s74, v47 /*v303*/
	s_set_vgpr_msb 0                        ;  msbs: dst=0 src0=0 src1=0 src2=0
	s_cbranch_execz .LBB122_110
; %bb.109:                              ;   in Loop: Header=BB122_79 Depth=2
	v_add_nc_u64_e32 v[82:83], v[250:251], v[186:187]
	global_load_b128 v[82:85], v[82:83], off
.LBB122_110:                            ;   in Loop: Header=BB122_79 Depth=2
	s_wait_xcnt 0x0
	s_or_b32 exec_lo, exec_lo, s75
	s_set_vgpr_msb 4                        ;  msbs: dst=0 src0=0 src1=1 src2=0
	v_cmp_gt_i32_e64 s75, s74, v48 /*v304*/
	s_set_vgpr_msb 0                        ;  msbs: dst=0 src0=0 src1=0 src2=0
	s_branch .LBB122_113
.LBB122_111:                            ;   in Loop: Header=BB122_79 Depth=2
	s_mov_b32 s75, 0
                                        ; implicit-def: $vgpr84_vgpr85
                                        ; implicit-def: $vgpr72_vgpr73
                                        ; implicit-def: $vgpr80_vgpr81
	s_cbranch_execz .LBB122_113
; %bb.112:                              ;   in Loop: Header=BB122_79 Depth=2
	s_wait_loadcnt 0x0
	v_add_nc_u64_e32 v[70:71], v[254:255], v[186:187]
	v_add_nc_u64_e32 v[82:83], v[250:251], v[186:187]
	s_or_b32 s75, s75, exec_lo
	global_load_b128 v[78:81], v[4:5], off offset:-8
	global_load_b128 v[70:73], v[70:71], off
	global_load_b128 v[82:85], v[82:83], off
.LBB122_113:                            ;   in Loop: Header=BB122_79 Depth=2
	v_mov_b64_e32 v[102:103], 0
	v_mov_b64_e32 v[104:105], 0
	s_wait_xcnt 0x0
	s_and_saveexec_b32 s76, s75
	s_cbranch_execz .LBB122_115
; %bb.114:                              ;   in Loop: Header=BB122_79 Depth=2
	v_add_nc_u64_e32 v[4:5], v[246:247], v[186:187]
	global_load_b128 v[102:105], v[4:5], off
.LBB122_115:                            ;   in Loop: Header=BB122_79 Depth=2
	s_wait_xcnt 0x0
	s_or_b32 exec_lo, exec_lo, s76
	s_set_vgpr_msb 1                        ;  msbs: dst=0 src0=1 src1=0 src2=0
	ds_load_b128 v[106:109], v25 /*v281*/
	v_cmp_ne_u32_e32 vcc_lo, 1, v3
	s_and_b32 vcc_lo, exec_lo, vcc_lo
	s_wait_loadcnt_dscnt 0x0
	s_set_vgpr_msb 0                        ;  msbs: dst=0 src0=0 src1=0 src2=0
	v_mul_f64_e32 v[4:5], v[80:81], v[108:109]
	v_mul_f64_e32 v[120:121], v[78:79], v[108:109]
	;; [unrolled: 1-line block ×8, first 2 shown]
	v_fma_f64 v[118:119], v[78:79], v[106:107], -v[4:5]
	v_fmac_f64_e32 v[120:121], v[80:81], v[106:107]
	v_fma_f64 v[126:127], v[70:71], v[106:107], -v[110:111]
	v_fmac_f64_e32 v[128:129], v[72:73], v[106:107]
	;; [unrolled: 2-line block ×4, first 2 shown]
	s_set_vgpr_msb 1                        ;  msbs: dst=0 src0=1 src1=0 src2=0
	ds_load_b128 v[122:125], v8 /*v264*/ offset:512
	ds_load_b128 v[114:117], v8 /*v264*/ offset:528
	;; [unrolled: 1-line block ×4, first 2 shown]
	s_set_vgpr_msb 0                        ;  msbs: dst=0 src0=0 src1=0 src2=0
	v_add_nc_u64_e32 v[4:5], v[242:243], v[186:187]
	s_set_vgpr_msb 1                        ;  msbs: dst=0 src0=1 src1=0 src2=0
	ds_store_b128 v21 /*v277*/, v[118:121]
	ds_store_b128 v21 /*v277*/, v[126:129] offset:1072
	ds_store_b128 v21 /*v277*/, v[130:133] offset:2144
	ds_store_b128 v21 /*v277*/, v[142:145] offset:3216
	s_wait_dscnt 0x0
	s_barrier_signal -1
	s_barrier_wait -1
	ds_load_b128 v[182:185], v9 /*v265*/
	ds_load_b128 v[178:181], v9 /*v265*/ offset:16
	ds_load_b128 v[174:177], v9 /*v265*/ offset:32
	;; [unrolled: 1-line block ×3, first 2 shown]
	s_wait_dscnt 0x0
	s_barrier_signal -1
	s_barrier_wait -1
	s_set_vgpr_msb 0                        ;  msbs: dst=0 src0=0 src1=0 src2=0
	s_cbranch_vccnz .LBB122_123
; %bb.116:                              ;   in Loop: Header=BB122_79 Depth=2
	v_mov_b64_e32 v[118:119], 0
	v_mov_b64_e32 v[126:127], 0
	;; [unrolled: 1-line block ×3, first 2 shown]
	s_mov_b32 s75, exec_lo
	s_set_vgpr_msb 4                        ;  msbs: dst=0 src0=0 src1=1 src2=0
	v_cmpx_gt_i32_e64 s74, v49 /*v305*/
	s_set_vgpr_msb 0                        ;  msbs: dst=0 src0=0 src1=0 src2=0
	s_cbranch_execz .LBB122_118
; %bb.117:                              ;   in Loop: Header=BB122_79 Depth=2
	global_load_b128 v[126:129], v[4:5], off
.LBB122_118:                            ;   in Loop: Header=BB122_79 Depth=2
	s_wait_xcnt 0x0
	s_or_b32 exec_lo, exec_lo, s75
	v_mov_b64_e32 v[120:121], 0
	s_mov_b32 s75, exec_lo
	s_set_vgpr_msb 4                        ;  msbs: dst=0 src0=0 src1=1 src2=0
	v_cmpx_gt_i32_e64 s74, v50 /*v306*/
	s_set_vgpr_msb 0                        ;  msbs: dst=0 src0=0 src1=0 src2=0
	s_cbranch_execz .LBB122_120
; %bb.119:                              ;   in Loop: Header=BB122_79 Depth=2
	v_add_nc_u64_e32 v[118:119], v[238:239], v[186:187]
	global_load_b128 v[118:121], v[118:119], off
.LBB122_120:                            ;   in Loop: Header=BB122_79 Depth=2
	s_wait_xcnt 0x0
	s_or_b32 exec_lo, exec_lo, s75
	v_mov_b64_e32 v[130:131], 0
	v_mov_b64_e32 v[132:133], 0
	s_mov_b32 s75, exec_lo
	s_set_vgpr_msb 4                        ;  msbs: dst=0 src0=0 src1=1 src2=0
	v_cmpx_gt_i32_e64 s74, v51 /*v307*/
	s_set_vgpr_msb 0                        ;  msbs: dst=0 src0=0 src1=0 src2=0
	s_cbranch_execz .LBB122_122
; %bb.121:                              ;   in Loop: Header=BB122_79 Depth=2
	v_add_nc_u64_e32 v[130:131], v[234:235], v[186:187]
	global_load_b128 v[130:133], v[130:131], off
.LBB122_122:                            ;   in Loop: Header=BB122_79 Depth=2
	s_wait_xcnt 0x0
	s_or_b32 exec_lo, exec_lo, s75
	s_set_vgpr_msb 4                        ;  msbs: dst=0 src0=0 src1=1 src2=0
	v_cmp_gt_i32_e64 s75, s74, v52 /*v308*/
	s_set_vgpr_msb 0                        ;  msbs: dst=0 src0=0 src1=0 src2=0
	s_branch .LBB122_125
.LBB122_123:                            ;   in Loop: Header=BB122_79 Depth=2
	s_mov_b32 s75, 0
                                        ; implicit-def: $vgpr132_vgpr133
                                        ; implicit-def: $vgpr120_vgpr121
                                        ; implicit-def: $vgpr128_vgpr129
	s_cbranch_execz .LBB122_125
; %bb.124:                              ;   in Loop: Header=BB122_79 Depth=2
	s_wait_loadcnt 0x0
	v_add_nc_u64_e32 v[118:119], v[238:239], v[186:187]
	v_add_nc_u64_e32 v[130:131], v[234:235], v[186:187]
	s_or_b32 s75, s75, exec_lo
	global_load_b128 v[126:129], v[4:5], off
	global_load_b128 v[118:121], v[118:119], off
	;; [unrolled: 1-line block ×3, first 2 shown]
.LBB122_125:                            ;   in Loop: Header=BB122_79 Depth=2
	v_mov_b64_e32 v[142:143], 0
	v_mov_b64_e32 v[144:145], 0
	s_wait_xcnt 0x0
	s_and_saveexec_b32 s76, s75
	s_cbranch_execz .LBB122_127
; %bb.126:                              ;   in Loop: Header=BB122_79 Depth=2
	v_add_nc_u64_e32 v[4:5], v[230:231], v[186:187]
	global_load_b128 v[142:145], v[4:5], off
.LBB122_127:                            ;   in Loop: Header=BB122_79 Depth=2
	s_wait_xcnt 0x0
	s_or_b32 exec_lo, exec_lo, s76
	s_set_vgpr_msb 1                        ;  msbs: dst=0 src0=1 src1=0 src2=0
	ds_load_b128 v[158:161], v25 /*v281*/
	ds_load_b128 v[154:157], v8 /*v264*/ offset:768
	v_add_f64_e32 v[150:151], 0, v[150:151]
	v_add_f64_e32 v[152:153], 0, v[152:153]
	s_set_vgpr_msb 4                        ;  msbs: dst=0 src0=0 src1=1 src2=0
	v_cmp_gt_i32_e32 vcc_lo, s74, v6 /*v262*/
	s_or_b32 s67, s67, vcc_lo
	s_delay_alu instid0(SALU_CYCLE_1)
	s_and_b32 s74, s14, s67
	s_wait_loadcnt_dscnt 0x1
	s_set_vgpr_msb 0                        ;  msbs: dst=0 src0=0 src1=0 src2=0
	v_mul_f64_e32 v[4:5], v[128:129], v[160:161]
	s_set_vgpr_msb 64                       ;  msbs: dst=1 src0=0 src1=0 src2=0
	v_mul_f64_e32 v[56:57] /*v[312:313]*/, v[126:127], v[160:161]
	s_set_vgpr_msb 0                        ;  msbs: dst=0 src0=0 src1=0 src2=0
	v_mul_f64_e32 v[162:163], v[120:121], v[160:161]
	s_set_vgpr_msb 64                       ;  msbs: dst=1 src0=0 src1=0 src2=0
	v_mul_f64_e32 v[60:61] /*v[316:317]*/, v[118:119], v[160:161]
	;; [unrolled: 4-line block ×4, first 2 shown]
	s_set_vgpr_msb 0                        ;  msbs: dst=0 src0=0 src1=0 src2=0
	v_add_f64_e32 v[146:147], v[150:151], v[146:147]
	v_add_f64_e32 v[148:149], v[152:153], v[148:149]
	s_set_vgpr_msb 64                       ;  msbs: dst=1 src0=0 src1=0 src2=0
	v_fma_f64 v[54:55] /*v[310:311]*/, v[126:127], v[158:159], -v[4:5]
	v_fmac_f64_e32 v[56:57] /*v[312:313]*/, v[128:129], v[158:159]
	v_fma_f64 v[58:59] /*v[314:315]*/, v[118:119], v[158:159], -v[162:163]
	v_fmac_f64_e32 v[60:61] /*v[316:317]*/, v[120:121], v[158:159]
	;; [unrolled: 2-line block ×4, first 2 shown]
	s_set_vgpr_msb 1                        ;  msbs: dst=0 src0=1 src1=0 src2=0
	ds_load_b128 v[166:169], v8 /*v264*/ offset:784
	ds_load_b128 v[162:165], v8 /*v264*/ offset:800
	;; [unrolled: 1-line block ×3, first 2 shown]
	v_add_f64_e32 v[4:5], 0, v[182:183]
	v_add_f64_e32 v[182:183], 0, v[184:185]
	;; [unrolled: 1-line block ×3, first 2 shown]
	s_set_vgpr_msb 5                        ;  msbs: dst=0 src0=1 src1=1 src2=0
	ds_store_b128 v21 /*v277*/, v[54:57] /*v[310:313]*/
	ds_store_b128 v21 /*v277*/, v[58:61] /*v[314:317]*/ offset:1072
	ds_store_b128 v21 /*v277*/, v[62:65] /*v[318:321]*/ offset:2144
	;; [unrolled: 1-line block ×3, first 2 shown]
	s_wait_dscnt 0x0
	s_barrier_signal -1
	s_barrier_wait -1
	s_set_vgpr_msb 0x41                     ;  msbs: dst=1 src0=1 src1=0 src2=0
	ds_load_b128 v[54:57] /*v[310:313]*/, v9 /*v265*/
	v_add_f64_e32 v[58:59] /*v[314:315]*/, 0, v[100:101]
	s_set_vgpr_msb 1                        ;  msbs: dst=0 src0=1 src1=0 src2=0
	ds_load_b128 v[98:101], v9 /*v265*/ offset:16
	s_set_vgpr_msb 0                        ;  msbs: dst=0 src0=0 src1=0 src2=0
	v_add_f64_e32 v[150:151], v[184:185], v[94:95]
	v_add_f64_e32 v[4:5], v[4:5], v[178:179]
	;; [unrolled: 1-line block ×5, first 2 shown]
	s_wait_dscnt 0x1
	s_set_vgpr_msb 0x44                     ;  msbs: dst=1 src0=0 src1=1 src2=0
	v_add_f64_e32 v[54:55] /*v[310:311]*/, 0, v[54:55] /*v[310:311]*/
	v_add_f64_e32 v[56:57] /*v[312:313]*/, 0, v[56:57] /*v[312:313]*/
	s_set_vgpr_msb 1                        ;  msbs: dst=0 src0=1 src1=0 src2=0
	v_add_f64_e32 v[152:153], v[58:59] /*v[314:315]*/, v[96:97]
	ds_load_b128 v[94:97], v9 /*v265*/ offset:32
	s_set_vgpr_msb 0                        ;  msbs: dst=0 src0=0 src1=0 src2=0
	v_add_f64_e32 v[146:147], v[150:151], v[90:91]
	v_add_f64_e32 v[4:5], v[4:5], v[174:175]
	;; [unrolled: 1-line block ×3, first 2 shown]
	s_wait_dscnt 0x1
	s_set_vgpr_msb 1                        ;  msbs: dst=0 src0=1 src1=0 src2=0
	v_add_f64_e32 v[98:99], v[54:55] /*v[310:311]*/, v[98:99]
	v_add_f64_e32 v[100:101], v[56:57] /*v[312:313]*/, v[100:101]
	s_set_vgpr_msb 0                        ;  msbs: dst=0 src0=0 src1=0 src2=0
	v_add_f64_e32 v[148:149], v[152:153], v[92:93]
	s_set_vgpr_msb 1                        ;  msbs: dst=0 src0=1 src1=0 src2=0
	ds_load_b128 v[90:93], v9 /*v265*/ offset:48
	s_set_vgpr_msb 0                        ;  msbs: dst=0 src0=0 src1=0 src2=0
	v_add_f64_e32 v[86:87], v[146:147], v[86:87]
	s_wait_dscnt 0x0
	s_barrier_signal -1
	s_barrier_wait -1
	v_add_f64_e32 v[150:151], v[98:99], v[94:95]
	v_add_f64_e32 v[152:153], v[100:101], v[96:97]
	v_add_f64_e32 v[98:99], v[138:139], v[134:135]
	v_add_f64_e32 v[100:101], v[140:141], v[136:137]
	v_add_f64_e32 v[94:95], v[4:5], v[170:171]
	v_add_f64_e32 v[96:97], v[174:175], v[172:173]
	v_add_f64_e32 v[88:89], v[148:149], v[88:89]
	v_add_f64_e32 v[90:91], v[150:151], v[90:91]
	v_add_f64_e32 v[92:93], v[152:153], v[92:93]
	s_set_vgpr_msb 1                        ;  msbs: dst=0 src0=1 src1=0 src2=0
	ds_store_b128 v24 /*v280*/, v[86:89]
	ds_store_b128 v24 /*v280*/, v[98:101] offset:256
	ds_store_b128 v24 /*v280*/, v[94:97] offset:512
	;; [unrolled: 1-line block ×3, first 2 shown]
	s_wait_dscnt 0x0
	s_barrier_signal -1
	s_barrier_wait -1
	s_and_saveexec_b32 s67, s74
	s_set_vgpr_msb 0                        ;  msbs: dst=0 src0=0 src1=0 src2=0
	s_cbranch_execz .LBB122_129
; %bb.128:                              ;   in Loop: Header=BB122_79 Depth=2
	s_set_vgpr_msb 1                        ;  msbs: dst=0 src0=1 src1=0 src2=0
	ds_load_b128 v[86:89], v10 /*v266*/
	ds_load_b128 v[90:93], v10 /*v266*/ offset:16
	s_set_vgpr_msb 4                        ;  msbs: dst=0 src0=0 src1=1 src2=0
	v_add_nc_u32_e32 v3, s66, v6 /*v262*/
	s_wait_dscnt 0x0
	s_set_vgpr_msb 0                        ;  msbs: dst=0 src0=0 src1=0 src2=0
	v_add_f64_e32 v[4:5], v[90:91], v[86:87]
	v_add_f64_e32 v[94:95], v[92:93], v[88:89]
	s_set_vgpr_msb 1                        ;  msbs: dst=0 src0=1 src1=0 src2=0
	ds_load_b128 v[86:89], v10 /*v266*/ offset:32
	ds_load_b128 v[90:93], v10 /*v266*/ offset:48
	s_wait_dscnt 0x1
	s_set_vgpr_msb 0                        ;  msbs: dst=0 src0=0 src1=0 src2=0
	v_add_f64_e32 v[4:5], v[4:5], v[86:87]
	v_add_f64_e32 v[86:87], v[94:95], v[88:89]
	s_wait_dscnt 0x0
	s_delay_alu instid0(VALU_DEP_2) | instskip(NEXT) | instid1(VALU_DEP_2)
	v_add_f64_e32 v[4:5], v[4:5], v[90:91]
	v_add_f64_e32 v[94:95], v[86:87], v[92:93]
	s_set_vgpr_msb 1                        ;  msbs: dst=0 src0=1 src1=0 src2=0
	ds_load_b128 v[86:89], v10 /*v266*/ offset:64
	ds_load_b128 v[90:93], v10 /*v266*/ offset:80
	s_wait_dscnt 0x1
	s_set_vgpr_msb 0                        ;  msbs: dst=0 src0=0 src1=0 src2=0
	v_add_f64_e32 v[4:5], v[4:5], v[86:87]
	v_add_f64_e32 v[86:87], v[94:95], v[88:89]
	s_wait_dscnt 0x0
	s_delay_alu instid0(VALU_DEP_2) | instskip(NEXT) | instid1(VALU_DEP_2)
	;; [unrolled: 11-line block ×6, first 2 shown]
	v_add_f64_e32 v[4:5], v[4:5], v[90:91]
	v_add_f64_e32 v[94:95], v[86:87], v[92:93]
	s_set_vgpr_msb 1                        ;  msbs: dst=0 src0=1 src1=0 src2=0
	ds_load_b128 v[86:89], v10 /*v266*/ offset:224
	ds_load_b128 v[90:93], v11 /*v267*/
	s_wait_dscnt 0x1
	s_set_vgpr_msb 0                        ;  msbs: dst=0 src0=0 src1=0 src2=0
	v_add_f64_e32 v[4:5], v[4:5], v[86:87]
	v_add_f64_e32 v[88:89], v[94:95], v[88:89]
	s_wait_dscnt 0x0
	s_delay_alu instid0(VALU_DEP_2) | instskip(NEXT) | instid1(VALU_DEP_2)
	v_add_f64_e32 v[86:87], v[4:5], v[90:91]
	v_add_f64_e32 v[88:89], v[88:89], v[92:93]
	global_store_b128 v3, v[86:89], s[18:19] scale_offset
.LBB122_129:                            ;   in Loop: Header=BB122_79 Depth=2
	s_wait_xcnt 0x0
	s_or_b32 exec_lo, exec_lo, s67
	v_mul_f64_e32 v[4:5], v[16:17], v[28:29]
	v_mul_f64_e32 v[28:29], v[14:15], v[28:29]
	;; [unrolled: 1-line block ×4, first 2 shown]
	v_add_nc_u64_e32 v[228:229], s[44:45], v[228:229]
	v_add_nc_u64_e32 v[230:231], s[44:45], v[230:231]
	;; [unrolled: 1-line block ×14, first 2 shown]
	s_set_vgpr_msb 0x44                     ;  msbs: dst=1 src0=0 src1=1 src2=0
	v_add_nc_u64_e32 v[0:1] /*v[256:257]*/, s[44:45], v[0:1] /*v[256:257]*/
	v_add_nc_u64_e32 v[2:3] /*v[258:259]*/, s[44:45], v[2:3] /*v[258:259]*/
	s_add_co_i32 s67, s73, 1
	s_add_co_i32 s73, s73, 2
	;; [unrolled: 1-line block ×3, first 2 shown]
	s_cmp_ge_u32 s73, s30
	s_wait_storecnt 0x0
	s_barrier_signal -1
	s_barrier_wait -1
	s_set_vgpr_msb 0                        ;  msbs: dst=0 src0=0 src1=0 src2=0
	v_fma_f64 v[4:5], v[14:15], v[26:27], -v[4:5]
	v_fmac_f64_e32 v[28:29], v[16:17], v[26:27]
	v_mul_f64_e32 v[14:15], v[20:21], v[36:37]
	v_mul_f64_e32 v[16:17], v[18:19], v[36:37]
	v_fma_f64 v[10:11], v[10:11], v[38:39], -v[86:87]
	v_fmac_f64_e32 v[40:41], v[12:13], v[38:39]
	v_mul_f64_e32 v[12:13], v[22:23], v[32:33]
	v_add_f64_e32 v[4:5], v[6:7], v[4:5]
	v_add_f64_e32 v[6:7], v[8:9], v[28:29]
	v_mul_f64_e32 v[8:9], v[24:25], v[32:33]
	v_fma_f64 v[14:15], v[18:19], v[34:35], -v[14:15]
	v_fmac_f64_e32 v[16:17], v[20:21], v[34:35]
	v_mul_f64_e32 v[18:19], v[46:47], v[60:61]
	v_fmac_f64_e32 v[12:13], v[24:25], v[30:31]
	v_add_f64_e32 v[4:5], v[4:5], v[10:11]
	v_add_f64_e32 v[6:7], v[6:7], v[40:41]
	v_mul_f64_e32 v[10:11], v[48:49], v[60:61]
	v_fma_f64 v[8:9], v[22:23], v[30:31], -v[8:9]
	v_fmac_f64_e32 v[18:19], v[48:49], v[58:59]
	v_add_f64_e32 v[4:5], v[4:5], v[14:15]
	v_add_f64_e32 v[6:7], v[6:7], v[16:17]
	v_mul_f64_e32 v[14:15], v[44:45], v[76:77]
	v_mul_f64_e32 v[16:17], v[42:43], v[76:77]
	v_fma_f64 v[10:11], v[46:47], v[58:59], -v[10:11]
	v_add_f64_e32 v[4:5], v[4:5], v[8:9]
	v_add_f64_e32 v[6:7], v[6:7], v[12:13]
	v_mul_f64_e32 v[8:9], v[52:53], v[68:69]
	v_mul_f64_e32 v[12:13], v[50:51], v[68:69]
	v_fma_f64 v[14:15], v[42:43], v[74:75], -v[14:15]
	v_fmac_f64_e32 v[16:17], v[44:45], v[74:75]
	v_add_f64_e32 v[4:5], v[4:5], v[10:11]
	v_add_f64_e32 v[6:7], v[6:7], v[18:19]
	v_mul_f64_e32 v[10:11], v[56:57], v[64:65]
	v_mul_f64_e32 v[18:19], v[54:55], v[64:65]
	v_fma_f64 v[8:9], v[50:51], v[66:67], -v[8:9]
	v_fmac_f64_e32 v[12:13], v[52:53], v[66:67]
	;; [unrolled: 6-line block ×10, first 2 shown]
	v_add_f64_e32 v[4:5], v[4:5], v[10:11]
	v_add_f64_e32 v[6:7], v[6:7], v[18:19]
	v_fma_f64 v[8:9], v[142:143], v[158:159], -v[8:9]
	v_fmac_f64_e32 v[12:13], v[144:145], v[158:159]
	s_delay_alu instid0(VALU_DEP_4) | instskip(NEXT) | instid1(VALU_DEP_4)
	v_add_f64_e32 v[4:5], v[4:5], v[14:15]
	v_add_f64_e32 v[10:11], v[6:7], v[16:17]
	s_delay_alu instid0(VALU_DEP_2) | instskip(NEXT) | instid1(VALU_DEP_2)
	v_add_f64_e32 v[6:7], v[4:5], v[8:9]
	v_add_f64_e32 v[8:9], v[10:11], v[12:13]
	s_cbranch_scc1 .LBB122_131
; %bb.130:                              ;   in Loop: Header=BB122_79 Depth=2
	s_mov_b32 s73, s67
	s_delay_alu instid0(SALU_CYCLE_1)
	s_cmp_eq_u32 s35, s73
	s_cselect_b32 s74, s68, 0
	s_and_saveexec_b32 s75, s0
	s_cbranch_execnz .LBB122_75
	s_branch .LBB122_79
.LBB122_131:                            ;   in Loop: Header=BB122_4 Depth=1
	s_set_vgpr_msb 1                        ;  msbs: dst=0 src0=1 src1=0 src2=0
	ds_store_b128 v22 /*v278*/, v[6:9]
	s_wait_dscnt 0x0
	s_barrier_signal -1
	s_barrier_wait -1
	s_and_saveexec_b32 s66, s71
	s_set_vgpr_msb 0                        ;  msbs: dst=0 src0=0 src1=0 src2=0
	s_cbranch_execz .LBB122_2
; %bb.132:                              ;   in Loop: Header=BB122_4 Depth=1
	ds_load_b128 v[4:7], v186 offset:1072
	ds_load_b128 v[8:11], v186
	s_wait_dscnt 0x0
	v_add_f64_e32 v[12:13], v[4:5], v[8:9]
	v_add_f64_e32 v[14:15], v[6:7], v[10:11]
	ds_load_b128 v[4:7], v186 offset:2144
	ds_load_b128 v[8:11], v186 offset:3216
	s_wait_dscnt 0x1
	v_add_f64_e32 v[4:5], v[12:13], v[4:5]
	v_add_f64_e32 v[6:7], v[14:15], v[6:7]
	s_wait_dscnt 0x0
	s_delay_alu instid0(VALU_DEP_2) | instskip(NEXT) | instid1(VALU_DEP_2)
	v_add_f64_e32 v[4:5], v[4:5], v[8:9]
	v_add_f64_e32 v[6:7], v[6:7], v[10:11]
	v_lshl_add_u64 v[8:9], v[188:189], 4, s[18:19]
	global_store_b128 v[8:9], v[4:7], off
	s_branch .LBB122_2
.LBB122_133:                            ;   in Loop: Header=BB122_4 Depth=1
	s_set_vgpr_msb 1                        ;  msbs: dst=0 src0=1 src1=0 src2=0
	ds_load_b128 v[6:9], v15 /*v271*/
	s_wait_dscnt 0x0
	ds_store_b128 v12 /*v268*/, v[6:9]
	s_or_b32 exec_lo, exec_lo, s18
	s_and_saveexec_b32 s18, s15
	s_set_vgpr_msb 0                        ;  msbs: dst=0 src0=0 src1=0 src2=0
	s_cbranch_execz .LBB122_29
.LBB122_134:                            ;   in Loop: Header=BB122_4 Depth=1
	s_set_vgpr_msb 1                        ;  msbs: dst=0 src0=1 src1=0 src2=0
	ds_load_b128 v[6:9], v13 /*v269*/
	s_wait_dscnt 0x0
	ds_store_b128 v29 /*v285*/, v[6:9]
	s_or_b32 exec_lo, exec_lo, s18
	s_and_saveexec_b32 s18, s3
	s_set_vgpr_msb 0                        ;  msbs: dst=0 src0=0 src1=0 src2=0
	s_cbranch_execz .LBB122_30
.LBB122_135:                            ;   in Loop: Header=BB122_4 Depth=1
	s_set_vgpr_msb 1                        ;  msbs: dst=0 src0=1 src1=0 src2=0
	ds_load_b128 v[6:9], v31 /*v287*/
	s_wait_dscnt 0x0
	ds_store_b128 v30 /*v286*/, v[6:9]
	s_or_b32 exec_lo, exec_lo, s18
	s_and_saveexec_b32 s18, s4
	s_set_vgpr_msb 0                        ;  msbs: dst=0 src0=0 src1=0 src2=0
	s_cbranch_execnz .LBB122_31
	s_branch .LBB122_32
.LBB122_136:                            ;   in Loop: Header=BB122_4 Depth=1
	s_set_vgpr_msb 1                        ;  msbs: dst=0 src0=1 src1=0 src2=0
	ds_load_b128 v[12:15], v15 /*v271*/
	s_wait_dscnt 0x0
	ds_store_b128 v17 /*v273*/, v[12:15]
	s_or_b32 exec_lo, exec_lo, s18
	s_and_saveexec_b32 s18, s15
	s_set_vgpr_msb 0                        ;  msbs: dst=0 src0=0 src1=0 src2=0
	s_cbranch_execz .LBB122_50
.LBB122_137:                            ;   in Loop: Header=BB122_4 Depth=1
	s_set_vgpr_msb 1                        ;  msbs: dst=0 src0=1 src1=0 src2=0
	ds_load_b128 v[12:15], v13 /*v269*/
	s_wait_dscnt 0x0
	ds_store_b128 v34 /*v290*/, v[12:15]
	s_or_b32 exec_lo, exec_lo, s18
	s_and_saveexec_b32 s18, s3
	s_set_vgpr_msb 0                        ;  msbs: dst=0 src0=0 src1=0 src2=0
	s_cbranch_execz .LBB122_51
.LBB122_138:                            ;   in Loop: Header=BB122_4 Depth=1
	s_set_vgpr_msb 1                        ;  msbs: dst=0 src0=1 src1=0 src2=0
	ds_load_b128 v[12:15], v31 /*v287*/
	s_wait_dscnt 0x0
	ds_store_b128 v35 /*v291*/, v[12:15]
	s_or_b32 exec_lo, exec_lo, s18
	s_and_saveexec_b32 s18, s4
	s_set_vgpr_msb 0                        ;  msbs: dst=0 src0=0 src1=0 src2=0
	s_cbranch_execnz .LBB122_52
	s_branch .LBB122_53
.LBB122_139:                            ;   in Loop: Header=BB122_4 Depth=1
	global_load_b128 v[10:13], v[8:9], off
	s_wait_loadcnt 0x0
	s_set_vgpr_msb 1                        ;  msbs: dst=0 src0=1 src1=0 src2=0
	ds_store_2addr_b64 v7 /*v263*/, v[10:11], v[12:13] offset1:1
	s_wait_xcnt 0x0
	s_or_b32 exec_lo, exec_lo, s18
	s_and_saveexec_b32 s18, s5
	s_delay_alu instid0(SALU_CYCLE_1)
	s_xor_b32 s18, exec_lo, s18
	s_set_vgpr_msb 0                        ;  msbs: dst=0 src0=0 src1=0 src2=0
	s_cbranch_execz .LBB122_18
.LBB122_140:                            ;   in Loop: Header=BB122_4 Depth=1
	v_dual_mov_b32 v3, v2 :: v_dual_mov_b32 v4, v2
	v_mov_b32_e32 v5, v2
	s_set_vgpr_msb 1                        ;  msbs: dst=0 src0=1 src1=0 src2=0
	ds_store_b128 v26 /*v282*/, v[2:5]
	s_and_not1_saveexec_b32 s18, s18
	s_set_vgpr_msb 0                        ;  msbs: dst=0 src0=0 src1=0 src2=0
	s_cbranch_execz .LBB122_19
.LBB122_141:                            ;   in Loop: Header=BB122_4 Depth=1
	v_add_nc_u64_e32 v[4:5], s[50:51], v[8:9]
	global_load_b128 v[10:13], v[4:5], off
	s_wait_loadcnt 0x0
	s_set_vgpr_msb 1                        ;  msbs: dst=0 src0=1 src1=0 src2=0
	ds_store_2addr_b64 v26 /*v282*/, v[10:11], v[12:13] offset1:1
	s_wait_xcnt 0x0
	s_or_b32 exec_lo, exec_lo, s18
	s_and_saveexec_b32 s18, s6
	s_delay_alu instid0(SALU_CYCLE_1)
	s_xor_b32 s18, exec_lo, s18
	s_set_vgpr_msb 0                        ;  msbs: dst=0 src0=0 src1=0 src2=0
	s_cbranch_execz .LBB122_20
.LBB122_142:                            ;   in Loop: Header=BB122_4 Depth=1
	v_dual_mov_b32 v3, v2 :: v_dual_mov_b32 v4, v2
	v_mov_b32_e32 v5, v2
	s_set_vgpr_msb 1                        ;  msbs: dst=0 src0=1 src1=0 src2=0
	ds_store_b128 v27 /*v283*/, v[2:5]
	s_and_not1_saveexec_b32 s18, s18
	s_set_vgpr_msb 0                        ;  msbs: dst=0 src0=0 src1=0 src2=0
	s_cbranch_execz .LBB122_21
.LBB122_143:                            ;   in Loop: Header=BB122_4 Depth=1
	v_add_nc_u64_e32 v[4:5], s[52:53], v[8:9]
	global_load_b128 v[10:13], v[4:5], off
	s_wait_loadcnt 0x0
	s_set_vgpr_msb 1                        ;  msbs: dst=0 src0=1 src1=0 src2=0
	ds_store_2addr_b64 v27 /*v283*/, v[10:11], v[12:13] offset1:1
	s_wait_xcnt 0x0
	s_or_b32 exec_lo, exec_lo, s18
	s_and_saveexec_b32 s18, s7
	s_delay_alu instid0(SALU_CYCLE_1)
	s_xor_b32 s18, exec_lo, s18
	s_set_vgpr_msb 0                        ;  msbs: dst=0 src0=0 src1=0 src2=0
	s_cbranch_execz .LBB122_22
.LBB122_144:                            ;   in Loop: Header=BB122_4 Depth=1
	v_dual_mov_b32 v3, v2 :: v_dual_mov_b32 v4, v2
	v_mov_b32_e32 v5, v2
	s_set_vgpr_msb 1                        ;  msbs: dst=0 src0=1 src1=0 src2=0
	ds_store_b128 v28 /*v284*/, v[2:5]
	s_and_not1_saveexec_b32 s18, s18
	s_set_vgpr_msb 0                        ;  msbs: dst=0 src0=0 src1=0 src2=0
	s_cbranch_execnz .LBB122_23
	s_branch .LBB122_24
.LBB122_145:                            ;   in Loop: Header=BB122_4 Depth=1
	global_load_b128 v[16:19], v[10:11], off
	s_wait_loadcnt 0x0
	s_set_vgpr_msb 1                        ;  msbs: dst=0 src0=1 src1=0 src2=0
	ds_store_2addr_b64 v7 /*v263*/, v[16:17], v[18:19] offset1:1
	s_wait_xcnt 0x0
	s_or_b32 exec_lo, exec_lo, s18
	s_and_saveexec_b32 s18, s10
	s_delay_alu instid0(SALU_CYCLE_1)
	s_xor_b32 s18, exec_lo, s18
	s_set_vgpr_msb 0                        ;  msbs: dst=0 src0=0 src1=0 src2=0
	s_cbranch_execz .LBB122_39
.LBB122_146:                            ;   in Loop: Header=BB122_4 Depth=1
	v_dual_mov_b32 v3, v2 :: v_dual_mov_b32 v4, v2
	v_mov_b32_e32 v5, v2
	s_set_vgpr_msb 1                        ;  msbs: dst=0 src0=1 src1=0 src2=0
	ds_store_b128 v26 /*v282*/, v[2:5]
	s_and_not1_saveexec_b32 s18, s18
	s_set_vgpr_msb 0                        ;  msbs: dst=0 src0=0 src1=0 src2=0
	s_cbranch_execz .LBB122_40
.LBB122_147:                            ;   in Loop: Header=BB122_4 Depth=1
	v_add_nc_u64_e32 v[4:5], s[50:51], v[10:11]
	global_load_b128 v[16:19], v[4:5], off
	s_wait_loadcnt 0x0
	s_set_vgpr_msb 1                        ;  msbs: dst=0 src0=1 src1=0 src2=0
	ds_store_2addr_b64 v26 /*v282*/, v[16:17], v[18:19] offset1:1
	s_wait_xcnt 0x0
	s_or_b32 exec_lo, exec_lo, s18
	s_and_saveexec_b32 s18, s12
	s_delay_alu instid0(SALU_CYCLE_1)
	s_xor_b32 s18, exec_lo, s18
	s_set_vgpr_msb 0                        ;  msbs: dst=0 src0=0 src1=0 src2=0
	s_cbranch_execz .LBB122_41
.LBB122_148:                            ;   in Loop: Header=BB122_4 Depth=1
	v_dual_mov_b32 v3, v2 :: v_dual_mov_b32 v4, v2
	v_mov_b32_e32 v5, v2
	s_set_vgpr_msb 1                        ;  msbs: dst=0 src0=1 src1=0 src2=0
	ds_store_b128 v27 /*v283*/, v[2:5]
	s_and_not1_saveexec_b32 s18, s18
	s_set_vgpr_msb 0                        ;  msbs: dst=0 src0=0 src1=0 src2=0
	s_cbranch_execz .LBB122_42
.LBB122_149:                            ;   in Loop: Header=BB122_4 Depth=1
	v_add_nc_u64_e32 v[4:5], s[52:53], v[10:11]
	global_load_b128 v[16:19], v[4:5], off
	s_wait_loadcnt 0x0
	s_set_vgpr_msb 1                        ;  msbs: dst=0 src0=1 src1=0 src2=0
	ds_store_2addr_b64 v27 /*v283*/, v[16:17], v[18:19] offset1:1
	s_wait_xcnt 0x0
	s_or_b32 exec_lo, exec_lo, s18
	s_and_saveexec_b32 s18, s13
	s_delay_alu instid0(SALU_CYCLE_1)
	s_xor_b32 s18, exec_lo, s18
	s_set_vgpr_msb 0                        ;  msbs: dst=0 src0=0 src1=0 src2=0
	s_cbranch_execz .LBB122_43
.LBB122_150:                            ;   in Loop: Header=BB122_4 Depth=1
	v_dual_mov_b32 v3, v2 :: v_dual_mov_b32 v4, v2
	v_mov_b32_e32 v5, v2
	s_set_vgpr_msb 1                        ;  msbs: dst=0 src0=1 src1=0 src2=0
	ds_store_b128 v28 /*v284*/, v[2:5]
	s_and_not1_saveexec_b32 s18, s18
	s_set_vgpr_msb 0                        ;  msbs: dst=0 src0=0 src1=0 src2=0
	s_cbranch_execnz .LBB122_44
	s_branch .LBB122_45
.LBB122_151:                            ;   in Loop: Header=BB122_4 Depth=1
	global_load_b128 v[16:19], v[14:15], off
	s_wait_loadcnt 0x0
	s_set_vgpr_msb 1                        ;  msbs: dst=0 src0=1 src1=0 src2=0
	ds_store_2addr_b64 v7 /*v263*/, v[16:17], v[18:19] offset1:1
	s_wait_xcnt 0x0
	s_or_b32 exec_lo, exec_lo, s18
	s_and_saveexec_b32 s18, s10
	s_delay_alu instid0(SALU_CYCLE_1)
	s_xor_b32 s18, exec_lo, s18
	s_set_vgpr_msb 0                        ;  msbs: dst=0 src0=0 src1=0 src2=0
	s_cbranch_execz .LBB122_60
.LBB122_152:                            ;   in Loop: Header=BB122_4 Depth=1
	v_dual_mov_b32 v3, v2 :: v_dual_mov_b32 v4, v2
	v_mov_b32_e32 v5, v2
	s_set_vgpr_msb 1                        ;  msbs: dst=0 src0=1 src1=0 src2=0
	ds_store_b128 v26 /*v282*/, v[2:5]
	s_and_not1_saveexec_b32 s18, s18
	s_set_vgpr_msb 0                        ;  msbs: dst=0 src0=0 src1=0 src2=0
	s_cbranch_execz .LBB122_61
.LBB122_153:                            ;   in Loop: Header=BB122_4 Depth=1
	v_add_nc_u64_e32 v[4:5], s[50:51], v[14:15]
	global_load_b128 v[16:19], v[4:5], off
	s_wait_loadcnt 0x0
	s_set_vgpr_msb 1                        ;  msbs: dst=0 src0=1 src1=0 src2=0
	ds_store_2addr_b64 v26 /*v282*/, v[16:17], v[18:19] offset1:1
	s_wait_xcnt 0x0
	s_or_b32 exec_lo, exec_lo, s18
	s_and_saveexec_b32 s18, s12
	s_delay_alu instid0(SALU_CYCLE_1)
	s_xor_b32 s18, exec_lo, s18
	s_set_vgpr_msb 0                        ;  msbs: dst=0 src0=0 src1=0 src2=0
	s_cbranch_execz .LBB122_62
.LBB122_154:                            ;   in Loop: Header=BB122_4 Depth=1
	v_dual_mov_b32 v3, v2 :: v_dual_mov_b32 v4, v2
	v_mov_b32_e32 v5, v2
	s_set_vgpr_msb 1                        ;  msbs: dst=0 src0=1 src1=0 src2=0
	ds_store_b128 v27 /*v283*/, v[2:5]
	s_and_not1_saveexec_b32 s18, s18
	s_set_vgpr_msb 0                        ;  msbs: dst=0 src0=0 src1=0 src2=0
	s_cbranch_execz .LBB122_63
.LBB122_155:                            ;   in Loop: Header=BB122_4 Depth=1
	v_add_nc_u64_e32 v[4:5], s[52:53], v[14:15]
	global_load_b128 v[16:19], v[4:5], off
	s_wait_loadcnt 0x0
	s_set_vgpr_msb 1                        ;  msbs: dst=0 src0=1 src1=0 src2=0
	ds_store_2addr_b64 v27 /*v283*/, v[16:17], v[18:19] offset1:1
	s_wait_xcnt 0x0
	s_or_b32 exec_lo, exec_lo, s18
	s_and_saveexec_b32 s18, s13
	s_delay_alu instid0(SALU_CYCLE_1)
	s_xor_b32 s18, exec_lo, s18
	s_set_vgpr_msb 0                        ;  msbs: dst=0 src0=0 src1=0 src2=0
	s_cbranch_execz .LBB122_64
.LBB122_156:                            ;   in Loop: Header=BB122_4 Depth=1
	v_dual_mov_b32 v3, v2 :: v_dual_mov_b32 v4, v2
	v_mov_b32_e32 v5, v2
	s_set_vgpr_msb 1                        ;  msbs: dst=0 src0=1 src1=0 src2=0
	ds_store_b128 v28 /*v284*/, v[2:5]
	s_and_not1_saveexec_b32 s18, s18
	s_set_vgpr_msb 0                        ;  msbs: dst=0 src0=0 src1=0 src2=0
	s_cbranch_execnz .LBB122_65
	s_branch .LBB122_66
.LBB122_157:
	s_sendmsg sendmsg(MSG_DEALLOC_VGPRS)
	s_endpgm
	.section	.rodata,"a",@progbits
	.p2align	6, 0x0
	.amdhsa_kernel _ZL26rocblas_hemvn_kernel_upperILb0ELi64ELi4ELi33ELi32ELi16ElPK19rocblas_complex_numIdES3_PS1_EviT6_lT7_lT5_lS6_lS7_lS5_lT8_i
		.amdhsa_group_segment_fixed_size 19200
		.amdhsa_private_segment_fixed_size 0
		.amdhsa_kernarg_size 376
		.amdhsa_user_sgpr_count 2
		.amdhsa_user_sgpr_dispatch_ptr 0
		.amdhsa_user_sgpr_queue_ptr 0
		.amdhsa_user_sgpr_kernarg_segment_ptr 1
		.amdhsa_user_sgpr_dispatch_id 0
		.amdhsa_user_sgpr_kernarg_preload_length 0
		.amdhsa_user_sgpr_kernarg_preload_offset 0
		.amdhsa_user_sgpr_private_segment_size 0
		.amdhsa_wavefront_size32 1
		.amdhsa_uses_dynamic_stack 0
		.amdhsa_enable_private_segment 0
		.amdhsa_system_sgpr_workgroup_id_x 1
		.amdhsa_system_sgpr_workgroup_id_y 0
		.amdhsa_system_sgpr_workgroup_id_z 1
		.amdhsa_system_sgpr_workgroup_info 0
		.amdhsa_system_vgpr_workitem_id 1
		.amdhsa_next_free_vgpr 326
		.amdhsa_next_free_sgpr 78
		.amdhsa_named_barrier_count 0
		.amdhsa_reserve_vcc 1
		.amdhsa_float_round_mode_32 0
		.amdhsa_float_round_mode_16_64 0
		.amdhsa_float_denorm_mode_32 3
		.amdhsa_float_denorm_mode_16_64 3
		.amdhsa_fp16_overflow 0
		.amdhsa_memory_ordered 1
		.amdhsa_forward_progress 1
		.amdhsa_inst_pref_size 80
		.amdhsa_round_robin_scheduling 0
		.amdhsa_exception_fp_ieee_invalid_op 0
		.amdhsa_exception_fp_denorm_src 0
		.amdhsa_exception_fp_ieee_div_zero 0
		.amdhsa_exception_fp_ieee_overflow 0
		.amdhsa_exception_fp_ieee_underflow 0
		.amdhsa_exception_fp_ieee_inexact 0
		.amdhsa_exception_int_div_zero 0
	.end_amdhsa_kernel
	.section	.text._ZL26rocblas_hemvn_kernel_upperILb0ELi64ELi4ELi33ELi32ELi16ElPK19rocblas_complex_numIdES3_PS1_EviT6_lT7_lT5_lS6_lS7_lS5_lT8_i,"axG",@progbits,_ZL26rocblas_hemvn_kernel_upperILb0ELi64ELi4ELi33ELi32ELi16ElPK19rocblas_complex_numIdES3_PS1_EviT6_lT7_lT5_lS6_lS7_lS5_lT8_i,comdat
.Lfunc_end122:
	.size	_ZL26rocblas_hemvn_kernel_upperILb0ELi64ELi4ELi33ELi32ELi16ElPK19rocblas_complex_numIdES3_PS1_EviT6_lT7_lT5_lS6_lS7_lS5_lT8_i, .Lfunc_end122-_ZL26rocblas_hemvn_kernel_upperILb0ELi64ELi4ELi33ELi32ELi16ElPK19rocblas_complex_numIdES3_PS1_EviT6_lT7_lT5_lS6_lS7_lS5_lT8_i
                                        ; -- End function
	.set _ZL26rocblas_hemvn_kernel_upperILb0ELi64ELi4ELi33ELi32ELi16ElPK19rocblas_complex_numIdES3_PS1_EviT6_lT7_lT5_lS6_lS7_lS5_lT8_i.num_vgpr, 326
	.set _ZL26rocblas_hemvn_kernel_upperILb0ELi64ELi4ELi33ELi32ELi16ElPK19rocblas_complex_numIdES3_PS1_EviT6_lT7_lT5_lS6_lS7_lS5_lT8_i.num_agpr, 0
	.set _ZL26rocblas_hemvn_kernel_upperILb0ELi64ELi4ELi33ELi32ELi16ElPK19rocblas_complex_numIdES3_PS1_EviT6_lT7_lT5_lS6_lS7_lS5_lT8_i.numbered_sgpr, 78
	.set _ZL26rocblas_hemvn_kernel_upperILb0ELi64ELi4ELi33ELi32ELi16ElPK19rocblas_complex_numIdES3_PS1_EviT6_lT7_lT5_lS6_lS7_lS5_lT8_i.num_named_barrier, 0
	.set _ZL26rocblas_hemvn_kernel_upperILb0ELi64ELi4ELi33ELi32ELi16ElPK19rocblas_complex_numIdES3_PS1_EviT6_lT7_lT5_lS6_lS7_lS5_lT8_i.private_seg_size, 0
	.set _ZL26rocblas_hemvn_kernel_upperILb0ELi64ELi4ELi33ELi32ELi16ElPK19rocblas_complex_numIdES3_PS1_EviT6_lT7_lT5_lS6_lS7_lS5_lT8_i.uses_vcc, 1
	.set _ZL26rocblas_hemvn_kernel_upperILb0ELi64ELi4ELi33ELi32ELi16ElPK19rocblas_complex_numIdES3_PS1_EviT6_lT7_lT5_lS6_lS7_lS5_lT8_i.uses_flat_scratch, 0
	.set _ZL26rocblas_hemvn_kernel_upperILb0ELi64ELi4ELi33ELi32ELi16ElPK19rocblas_complex_numIdES3_PS1_EviT6_lT7_lT5_lS6_lS7_lS5_lT8_i.has_dyn_sized_stack, 0
	.set _ZL26rocblas_hemvn_kernel_upperILb0ELi64ELi4ELi33ELi32ELi16ElPK19rocblas_complex_numIdES3_PS1_EviT6_lT7_lT5_lS6_lS7_lS5_lT8_i.has_recursion, 0
	.set _ZL26rocblas_hemvn_kernel_upperILb0ELi64ELi4ELi33ELi32ELi16ElPK19rocblas_complex_numIdES3_PS1_EviT6_lT7_lT5_lS6_lS7_lS5_lT8_i.has_indirect_call, 0
	.section	.AMDGPU.csdata,"",@progbits
; Kernel info:
; codeLenInByte = 10220
; TotalNumSgprs: 80
; NumVgprs: 326
; ScratchSize: 0
; MemoryBound: 1
; FloatMode: 240
; IeeeMode: 1
; LDSByteSize: 19200 bytes/workgroup (compile time only)
; SGPRBlocks: 0
; VGPRBlocks: 20
; NumSGPRsForWavesPerEU: 80
; NumVGPRsForWavesPerEU: 326
; NamedBarCnt: 0
; Occupancy: 3
; WaveLimiterHint : 0
; COMPUTE_PGM_RSRC2:SCRATCH_EN: 0
; COMPUTE_PGM_RSRC2:USER_SGPR: 2
; COMPUTE_PGM_RSRC2:TRAP_HANDLER: 0
; COMPUTE_PGM_RSRC2:TGID_X_EN: 1
; COMPUTE_PGM_RSRC2:TGID_Y_EN: 0
; COMPUTE_PGM_RSRC2:TGID_Z_EN: 1
; COMPUTE_PGM_RSRC2:TIDIG_COMP_CNT: 1
	.section	.text._ZL26rocblas_hemvn_kernel_upperILb0ELi64ELi4ELi33ELi32ELi16EiPK19rocblas_complex_numIdES3_PS1_EviT6_lT7_lT5_lS6_lS7_lS5_lT8_i,"axG",@progbits,_ZL26rocblas_hemvn_kernel_upperILb0ELi64ELi4ELi33ELi32ELi16EiPK19rocblas_complex_numIdES3_PS1_EviT6_lT7_lT5_lS6_lS7_lS5_lT8_i,comdat
	.globl	_ZL26rocblas_hemvn_kernel_upperILb0ELi64ELi4ELi33ELi32ELi16EiPK19rocblas_complex_numIdES3_PS1_EviT6_lT7_lT5_lS6_lS7_lS5_lT8_i ; -- Begin function _ZL26rocblas_hemvn_kernel_upperILb0ELi64ELi4ELi33ELi32ELi16EiPK19rocblas_complex_numIdES3_PS1_EviT6_lT7_lT5_lS6_lS7_lS5_lT8_i
	.p2align	8
	.type	_ZL26rocblas_hemvn_kernel_upperILb0ELi64ELi4ELi33ELi32ELi16EiPK19rocblas_complex_numIdES3_PS1_EviT6_lT7_lT5_lS6_lS7_lS5_lT8_i,@function
_ZL26rocblas_hemvn_kernel_upperILb0ELi64ELi4ELi33ELi32ELi16EiPK19rocblas_complex_numIdES3_PS1_EviT6_lT7_lT5_lS6_lS7_lS5_lT8_i: ; @_ZL26rocblas_hemvn_kernel_upperILb0ELi64ELi4ELi33ELi32ELi16EiPK19rocblas_complex_numIdES3_PS1_EviT6_lT7_lT5_lS6_lS7_lS5_lT8_i
; %bb.0:
	s_clause 0x1
	s_load_b64 s[2:3], s[0:1], 0x84
	s_load_b32 s33, s[0:1], 0x70
	s_bfe_u32 s4, ttmp6, 0x40014
	s_lshr_b32 s5, ttmp7, 16
	s_add_co_i32 s4, s4, 1
	s_bfe_u32 s6, ttmp6, 0x40008
	s_mul_i32 s7, s5, s4
	s_getreg_b32 s4, hwreg(HW_REG_IB_STS2, 6, 4)
	s_add_co_i32 s6, s6, s7
	s_mov_b32 s35, 0
	s_wait_kmcnt 0x0
	s_lshr_b32 s7, s2, 16
	s_and_b32 s2, s2, 0xffff
	s_and_b32 s3, s3, 0xffff
	s_mul_i32 s2, s7, s2
	s_cmp_eq_u32 s4, 0
	s_mul_i32 s2, s2, s3
	s_cselect_b32 s34, s5, s6
	s_cmp_lg_u32 s2, 0x100
	s_cselect_b32 s2, -1, 0
	s_cmp_ge_u32 s34, s33
	s_cselect_b32 s3, -1, 0
	s_delay_alu instid0(SALU_CYCLE_1) | instskip(NEXT) | instid1(SALU_CYCLE_1)
	s_or_b32 s2, s2, s3
	s_and_b32 vcc_lo, exec_lo, s2
	s_cbranch_vccnz .LBB123_157
; %bb.1:
	s_clause 0x2
	s_load_b32 s2, s[0:1], 0x0
	s_load_b32 s62, s[0:1], 0x28
	s_load_b96 s[16:18], s[0:1], 0x40
	s_bfe_u32 s3, ttmp6, 0x4000c
	v_bfe_u32 v1, v0, 10, 10
	s_add_co_i32 s3, s3, 1
	s_and_b32 s5, ttmp6, 15
	s_mul_i32 s3, ttmp9, s3
	s_set_vgpr_msb 64                       ;  msbs: dst=1 src0=0 src1=0 src2=0
	v_and_b32_e32 v6 /*v262*/, 0x3ff, v0
	s_add_co_i32 s5, s5, s3
	s_set_vgpr_msb 0                        ;  msbs: dst=0 src0=0 src1=0 src2=0
	v_dual_lshlrev_b32 v10, 6, v1 :: v_dual_bitop2_b32 v4, 31, v0 bitop3:0x40
	s_add_nc_u64 s[6:7], s[0:1], 0x78
	s_clause 0x1
	s_load_b256 s[20:27], s[0:1], 0x8
	s_load_b128 s[28:31], s[0:1], 0x30
	s_load_b32 s44, s[6:7], 0x0
	s_load_b256 s[36:43], s[0:1], 0x50
	v_mul_u32_u24_e32 v17, 33, v4
	s_mov_b32 s45, s35
	s_wait_xcnt 0x0
	v_cmp_eq_u32_e64 s0, 0, v1
	s_set_vgpr_msb 64                       ;  msbs: dst=1 src0=0 src1=0 src2=0
	v_add_nc_u32_e32 v18 /*v274*/, 0x4300, v10
	s_wait_kmcnt 0x0
	s_ashr_i32 s3, s2, 31
	s_ashr_i32 s63, s62, 31
	s_cmp_eq_u32 s4, 0
	s_mul_i32 s50, s62, 24
	s_cselect_b32 s46, ttmp9, s5
	s_lshr_b32 s6, s3, 26
	s_lshl_b32 s54, s46, 6
	s_set_vgpr_msb 4                        ;  msbs: dst=0 src0=0 src1=1 src2=0
	v_dual_add_nc_u32 v11, v10, v6 /*v262*/ :: v_dual_add_nc_u32 v170, s54, v6 /*v262*/
	s_add_co_i32 s8, s2, s6
	s_lshl_b64 s[4:5], s[16:17], 4
	s_and_not1_b32 s8, s8, 63
	s_lshl_b64 s[6:7], s[26:27], 4
	s_set_vgpr_msb 0                        ;  msbs: dst=0 src0=0 src1=0 src2=0
	v_mul_lo_u32 v6, s18, v170
	v_lshrrev_b32_e32 v12, 5, v11
	s_add_co_i32 s9, s44, -1
	s_sub_co_i32 s68, s2, s8
	s_cmp_eq_u32 s46, s9
	s_add_nc_u64 s[4:5], s[30:31], s[4:5]
	s_cselect_b32 s26, s68, 0
	s_add_nc_u64 s[6:7], s[24:25], s[6:7]
	s_cmp_lg_u32 s26, 0
	s_mul_u64 s[24:25], s[44:45], s[2:3]
	s_cselect_b32 s69, -1, 0
	v_ashrrev_i32_e32 v7, 31, v6
	v_mad_u32 v2, s62, v12, v4
	s_cmp_eq_u32 s26, 0
	v_dual_add_nc_u32 v13, 24, v12 :: v_dual_lshlrev_b32 v14, 2, v12
	s_delay_alu instid0(VALU_DEP_3)
	v_lshl_add_u64 v[172:173], v[6:7], 4, s[4:5]
	s_cselect_b32 s1, -1, 0
	s_ashr_i32 s55, s54, 31
	v_lshlrev_b32_e32 v16, 6, v12
	s_lshl_b64 s[4:5], s[54:55], 4
	v_dual_lshlrev_b32 v19, 4, v12 :: v_dual_bitop2_b32 v18, 2, v14 bitop3:0x54
	v_ashrrev_i32_e32 v3, 31, v2
	s_add_nc_u64 s[4:5], s[6:7], s[4:5]
	s_ashr_i32 s47, s46, 31
	s_sub_co_i32 s15, s26, 32
	s_mul_u64 s[2:3], s[2:3], s[46:47]
	v_lshlrev_b64_e32 v[6:7], 4, v[2:3]
	v_dual_mov_b32 v2, 0 :: v_dual_lshlrev_b32 v3, 4, v4
	s_lshl_b64 s[2:3], s[2:3], 4
	v_cmp_le_i32_e64 s12, s15, v12
	s_add_nc_u64 s[30:31], s[42:43], s[2:3]
	v_mov_b32_e32 v5, v2
	v_lshl_or_b32 v15, v4, 9, v3
	v_add_nc_u64_e32 v[8:9], s[4:5], v[6:7]
	s_set_vgpr_msb 64                       ;  msbs: dst=1 src0=0 src1=0 src2=0
	v_lshlrev_b32_e32 v11 /*v267*/, 4, v17
	s_mul_i32 s4, s62, s54
	s_lshl_b32 s52, s62, 5
	v_add_nc_u32_e32 v9 /*v265*/, v15, v16
	s_ashr_i32 s5, s4, 31
	s_set_vgpr_msb 0x41                     ;  msbs: dst=1 src0=1 src1=0 src2=0
	v_dual_add_nc_u32 v14 /*v270*/, v11 /*v267*/, v19 :: v_dual_lshlrev_b32 v15 /*v271*/, 2, v1
	s_set_vgpr_msb 0                        ;  msbs: dst=0 src0=0 src1=0 src2=0
	v_lshl_add_u64 v[174:175], s[4:5], 4, v[8:9]
	v_dual_add_nc_u32 v8, 8, v12 :: v_dual_add_nc_u32 v9, 16, v12
	v_cmp_le_i32_e64 s5, s26, v13
	s_set_vgpr_msb 0x44                     ;  msbs: dst=1 src0=0 src1=1 src2=0
	v_dual_lshlrev_b32 v7 /*v263*/, 4, v6 /*v262*/ :: v_dual_add_nc_u32 v30 /*v286*/, 16, v9 /*v265*/
	s_set_vgpr_msb 0                        ;  msbs: dst=0 src0=0 src1=0 src2=0
	v_cmp_le_i32_e64 s3, s26, v8
	v_cmp_le_i32_e64 s13, s15, v8
	s_set_vgpr_msb 20                       ;  msbs: dst=0 src0=0 src1=1 src2=1
	v_mad_u32 v8, s62, v15 /*v271*/, v6 /*v262*/
	s_set_vgpr_msb 0                        ;  msbs: dst=0 src0=0 src1=0 src2=0
	v_cmp_le_i32_e64 s14, s15, v9
	v_cmp_le_i32_e64 s15, s15, v13
	v_and_b32_e32 v13, 15, v0
	v_and_b32_e32 v0, 48, v0
	v_cmp_le_i32_e64 s4, s26, v9
	v_or_b32_e32 v15, 1, v14
	s_ashr_i32 s53, s52, 31
	s_set_vgpr_msb 4                        ;  msbs: dst=0 src0=0 src1=1 src2=0
	v_cmp_gt_i32_e32 vcc_lo, s26, v6 /*v262*/
	s_set_vgpr_msb 0                        ;  msbs: dst=0 src0=0 src1=0 src2=0
	v_lshlrev_b32_e32 v0, 4, v0
	s_set_vgpr_msb 0x50                     ;  msbs: dst=1 src0=0 src1=0 src2=1
	v_mad_u32_u24 v19 /*v275*/, 0x10c0, v1, v7 /*v263*/
	s_set_vgpr_msb 0                        ;  msbs: dst=0 src0=0 src1=0 src2=0
	v_ashrrev_i32_e32 v9, 31, v8
	s_set_vgpr_msb 0x50                     ;  msbs: dst=1 src0=0 src1=0 src2=1
	v_mad_u32_u24 v23 /*v279*/, 0x430, v1, v7 /*v263*/
	s_set_vgpr_msb 64                       ;  msbs: dst=1 src0=0 src1=0 src2=0
	v_mad_u32_u24 v8 /*v264*/, 0x210, v12, v3
	v_mad_u32_u24 v21 /*v277*/, 0x430, v13, v0
	;; [unrolled: 1-line block ×3, first 2 shown]
	s_set_vgpr_msb 0                        ;  msbs: dst=0 src0=0 src1=0 src2=0
	v_add_nc_u64_e32 v[0:1], s[52:53], v[8:9]
	s_set_vgpr_msb 64                       ;  msbs: dst=1 src0=0 src1=0 src2=0
	v_mad_u32_u24 v12 /*v268*/, 0x210, v15, v3
	s_set_vgpr_msb 0                        ;  msbs: dst=0 src0=0 src1=0 src2=0
	v_dual_ashrrev_i32 v171, 31, v170 :: v_dual_bitop2_b32 v3, 32, v4 bitop3:0x54
	s_set_vgpr_msb 4                        ;  msbs: dst=0 src0=0 src1=1 src2=0
	v_or_b32_e32 v10, 0xf0, v7 /*v263*/
	s_or_b32 s19, s1, vcc_lo
	s_lshl_b32 s42, s62, 3
	s_lshl_b32 s48, s62, 4
	s_mul_i32 s54, s18, s54
	s_add_co_i32 s66, s46, 1
	s_xor_b32 s70, s19, -1
	s_ashr_i32 s27, s26, 31
	s_set_vgpr_msb 0                        ;  msbs: dst=0 src0=0 src1=0 src2=0
	v_cmp_le_i32_e64 s2, s26, v12
	s_ashr_i32 s43, s42, 31
	s_ashr_i32 s49, s48, 31
	;; [unrolled: 1-line block ×3, first 2 shown]
	v_cmp_gt_u32_e64 s6, v14, v4
	v_cmp_ge_u32_e64 s7, v14, v4
	v_or_b32_e32 v14, 3, v14
	v_cmp_gt_u32_e64 s10, 32, v11
	v_cmp_gt_i32_e64 s11, s26, v3
	v_cmp_eq_u32_e64 s16, 1, v12
	v_mul_i32_i24_e32 v3, 0xffffffd0, v12
	s_ashr_i32 s55, s54, 31
	v_lshrrev_b32_e32 v12, 4, v11
	v_cmp_gt_u32_e64 s17, 64, v11
	s_set_vgpr_msb 64                       ;  msbs: dst=1 src0=0 src1=0 src2=0
	v_mad_u32_u24 v22 /*v278*/, 0x430, v13, v10
	s_set_vgpr_msb 0                        ;  msbs: dst=0 src0=0 src1=0 src2=0
	v_lshlrev_b64_e32 v[10:11], 4, v[0:1]
	s_cmp_lt_u32 s66, s44
	s_mul_i32 s73, s18, s66
	s_cselect_b32 s45, -1, 0
	s_lshl_b32 s71, s18, 6
	s_and_b32 s72, s0, s19
	s_mul_u64 s[18:19], s[48:49], 48
	s_lshl_b64 s[76:77], s[62:63], 5
	s_lshl_b32 s58, s62, 1
	s_add_nc_u64 s[18:19], s[18:19], s[76:77]
	s_ashr_i32 s59, s58, 31
	v_add_nc_u64_e32 v[178:179], s[18:19], v[10:11]
	s_mul_i32 s60, s62, 3
	s_lshl_b64 s[74:75], s[52:53], 4
	s_lshl_b64 s[18:19], s[58:59], 4
	s_ashr_i32 s61, s60, 31
	s_add_nc_u64 s[66:67], s[74:75], s[18:19]
	s_lshl_b64 s[64:65], s[62:63], 4
	v_or_b32_e32 v178, 8, v178
	v_lshlrev_b64_e32 v[8:9], 4, v[8:9]
	s_add_nc_u64 s[58:59], s[64:65], s[74:75]
	v_mad_nc_i64_i32 v[184:185], s48, 48, v[10:11]
	v_cmp_gt_u32_e64 s9, v14, v4
	s_set_vgpr_msb 0x41                     ;  msbs: dst=1 src0=1 src1=0 src2=0
	v_dual_add_nc_u32 v16 /*v272*/, v11 /*v267*/, v16 :: v_dual_add_nc_u32 v54 /*v310*/, 64, v170
	s_set_vgpr_msb 0                        ;  msbs: dst=0 src0=0 src1=0 src2=0
	v_sub_nc_u64_e32 v[176:177], 0, v[6:7]
	v_add_nc_u64_e32 v[182:183], s[66:67], v[8:9]
	s_lshl_b64 s[66:67], s[60:61], 4
	s_add_nc_u64 s[60:61], s[76:77], s[74:75]
	s_lshl_b64 s[76:77], s[48:49], 4
	s_add_nc_u64 s[78:79], s[74:75], s[66:67]
	v_add_nc_u64_e32 v[180:181], s[58:59], v[8:9]
	v_add_nc_u64_e32 v[186:187], s[78:79], v[8:9]
	s_add_nc_u64 s[58:59], s[58:59], s[76:77]
	s_lshl_b64 s[78:79], s[48:49], 5
	s_add_nc_u64 s[80:81], s[74:75], s[76:77]
	v_add_nc_u64_e32 v[190:191], s[58:59], v[8:9]
	s_add_nc_u64 s[58:59], s[60:61], s[78:79]
	v_dual_lshlrev_b32 v14, 6, v12 :: v_dual_bitop2_b32 v182, 8, v182 bitop3:0x54
	v_add_nc_u64_e32 v[188:189], s[80:81], v[8:9]
	s_add_nc_u64 s[82:83], s[80:81], s[18:19]
	v_add_nc_u64_e32 v[192:193], s[58:59], v[8:9]
	s_add_nc_u64 s[58:59], s[78:79], s[74:75]
	s_add_nc_u64 s[80:81], s[80:81], s[66:67]
	v_add_nc_u64_e32 v[0:1], s[74:75], v[8:9]
	v_add_nc_u64_e32 v[194:195], s[82:83], v[8:9]
	;; [unrolled: 1-line block ×4, first 2 shown]
	s_set_vgpr_msb 64                       ;  msbs: dst=1 src0=0 src1=0 src2=0
	v_mad_u32_u24 v20 /*v276*/, 0x430, v13, v14
	s_set_vgpr_msb 0                        ;  msbs: dst=0 src0=0 src1=0 src2=0
	v_mul_i32_i24_e32 v12, 0xffffffd0, v12
	s_add_nc_u64 s[74:75], s[58:59], s[66:67]
	s_add_nc_u64 s[78:79], s[58:59], s[18:19]
	;; [unrolled: 1-line block ×4, first 2 shown]
	v_add_nc_u64_e32 v[200:201], s[60:61], v[8:9]
	v_add_nc_u64_e32 v[202:203], s[74:75], v[8:9]
	;; [unrolled: 1-line block ×5, first 2 shown]
	v_sub_nc_u64_e32 v[210:211], 0, v[4:5]
	v_add_nc_u64_e32 v[214:215], s[66:67], v[184:185]
	v_add_nc_u64_e32 v[216:217], s[18:19], v[184:185]
	;; [unrolled: 1-line block ×3, first 2 shown]
	v_cmp_gt_i32_e64 s1, s26, v4
	v_cmp_gt_u32_e64 s8, v18, v4
	s_set_vgpr_msb 64                       ;  msbs: dst=1 src0=0 src1=0 src2=0
	v_add_nc_u32_e32 v13 /*v269*/, 0x4700, v16
	v_add_nc_u32_e32 v17 /*v273*/, 0x4700, v19
	s_set_vgpr_msb 0                        ;  msbs: dst=0 src0=0 src1=0 src2=0
	v_or_b32_e32 v0, 8, v0
	v_or_b32_e32 v180, 8, v180
	v_dual_lshlrev_b32 v212, 4, v4 :: v_dual_bitop2_b32 v186, 8, v186 bitop3:0x54
	v_or_b32_e32 v188, 8, v188
	v_or_b32_e32 v190, 8, v190
	v_or_b32_e32 v192, 8, v192
	v_or_b32_e32 v194, 8, v194
	v_or_b32_e32 v196, 8, v196
	v_or_b32_e32 v198, 8, v198
	s_set_vgpr_msb 0x41                     ;  msbs: dst=1 src0=1 src1=0 src2=0
	v_add_nc_u32_e32 v24 /*v280*/, v16 /*v272*/, v3
	v_add_nc_u32_e32 v25 /*v281*/, v20 /*v276*/, v12
	s_set_vgpr_msb 0x44                     ;  msbs: dst=1 src0=0 src1=1 src2=0
	v_add_nc_u32_e32 v26 /*v282*/, 0x4700, v7 /*v263*/
	v_add_nc_u32_e32 v27 /*v283*/, 0x1080, v8 /*v264*/
	;; [unrolled: 1-line block ×4, first 2 shown]
	v_dual_add_nc_u32 v31 /*v287*/, 32, v9 /*v265*/ :: v_dual_add_nc_u32 v33 /*v289*/, 48, v9 /*v265*/
	v_add_nc_u32_e32 v32 /*v288*/, 0x210, v12 /*v268*/
	v_add_nc_u32_e32 v34 /*v290*/, 0x420, v12 /*v268*/
	v_dual_add_nc_u32 v35 /*v291*/, 16, v16 /*v272*/ :: v_dual_add_nc_u32 v36 /*v292*/, 32, v16 /*v272*/
	v_dual_add_nc_u32 v37 /*v293*/, 48, v16 /*v272*/ :: v_dual_bitop2_b32 v39 /*v295*/, 1, v15 /*v271*/ bitop3:0x54
	v_add_nc_u32_e32 v38 /*v294*/, 0x4300, v7 /*v263*/
	v_dual_add_nc_u32 v42 /*v298*/, 16, v15 /*v271*/ :: v_dual_bitop2_b32 v40 /*v296*/, 2, v15 /*v271*/ bitop3:0x54
	v_dual_add_nc_u32 v43 /*v299*/, 17, v15 /*v271*/ :: v_dual_bitop2_b32 v41 /*v297*/, 3, v15 /*v271*/ bitop3:0x54
	v_dual_add_nc_u32 v44 /*v300*/, 18, v15 /*v271*/ :: v_dual_add_nc_u32 v45 /*v301*/, 19, v15 /*v271*/
	v_dual_add_nc_u32 v46 /*v302*/, 32, v15 /*v271*/ :: v_dual_add_nc_u32 v47 /*v303*/, 33, v15 /*v271*/
	;; [unrolled: 1-line block ×5, first 2 shown]
	s_sub_nc_u64 s[54:55], 0, s[54:55]
	s_add_co_i32 s47, s44, -2
	s_sub_nc_u64 s[56:57], 0, s[26:27]
	s_mov_b64 s[58:59], 0xfffffffffffffe00
	s_mov_b64 s[60:61], 0xfffffffffffffdf0
	s_lshl_b64 s[62:63], s[62:63], 7
	s_lshl_b32 s73, s73, 6
	s_lshl_b64 s[64:65], s[48:49], 6
	s_set_vgpr_msb 0                        ;  msbs: dst=0 src0=0 src1=0 src2=0
	s_branch .LBB123_4
.LBB123_2:                              ;   in Loop: Header=BB123_4 Depth=1
	s_wait_xcnt 0x0
	s_or_b32 exec_lo, exec_lo, s66
.LBB123_3:                              ;   in Loop: Header=BB123_4 Depth=1
	s_add_co_i32 s34, s34, 0x10000
	s_delay_alu instid0(SALU_CYCLE_1)
	s_cmp_lt_u32 s34, s33
	s_cbranch_scc0 .LBB123_157
.LBB123_4:                              ; =>This Loop Header: Depth=1
                                        ;     Child Loop BB123_79 Depth 2
	s_mul_u64 s[18:19], s[22:23], s[34:35]
	s_delay_alu instid0(SALU_CYCLE_1) | instskip(NEXT) | instid1(SALU_CYCLE_1)
	s_lshl_b64 s[18:19], s[18:19], 4
	s_add_nc_u64 s[18:19], s[20:21], s[18:19]
	global_load_b128 v[4:7], v2, s[18:19]
	s_wait_loadcnt 0x0
	v_cmp_neq_f64_e32 vcc_lo, 0, v[4:5]
	s_wait_xcnt 0x0
	v_cmp_neq_f64_e64 s18, 0, v[6:7]
	s_or_b32 s19, vcc_lo, s18
	s_mov_b32 s18, -1
	s_and_b32 vcc_lo, exec_lo, s19
	s_cbranch_vccnz .LBB123_6
; %bb.5:                                ;   in Loop: Header=BB123_4 Depth=1
	s_mul_u64 s[66:67], s[40:41], s[34:35]
	s_delay_alu instid0(SALU_CYCLE_1) | instskip(NEXT) | instid1(SALU_CYCLE_1)
	s_lshl_b64 s[66:67], s[66:67], 4
	s_add_nc_u64 s[66:67], s[38:39], s[66:67]
	global_load_b128 v[4:7], v2, s[66:67]
	s_wait_loadcnt 0x0
	v_cmp_neq_f64_e32 vcc_lo, 1.0, v[4:5]
	v_cmp_neq_f64_e64 s18, 0, v[6:7]
	s_or_b32 s18, vcc_lo, s18
.LBB123_6:                              ;   in Loop: Header=BB123_4 Depth=1
	s_delay_alu instid0(SALU_CYCLE_1)
	s_and_not1_b32 vcc_lo, exec_lo, s18
	s_cbranch_vccnz .LBB123_3
; %bb.7:                                ;   in Loop: Header=BB123_4 Depth=1
	s_and_not1_b32 vcc_lo, exec_lo, s19
	s_cbranch_vccnz .LBB123_3
; %bb.8:                                ;   in Loop: Header=BB123_4 Depth=1
	s_mul_u64 s[18:19], s[36:37], s[34:35]
	s_delay_alu instid0(SALU_CYCLE_1)
	v_lshl_add_u64 v[42:43], s[18:19], 4, v[172:173]
	s_wait_xcnt 0x0
	s_and_saveexec_b32 s18, s0
	s_cbranch_execz .LBB123_13
; %bb.9:                                ;   in Loop: Header=BB123_4 Depth=1
	s_and_saveexec_b32 s19, s70
	s_delay_alu instid0(SALU_CYCLE_1)
	s_xor_b32 s19, exec_lo, s19
; %bb.10:                               ;   in Loop: Header=BB123_4 Depth=1
	v_dual_mov_b32 v3, v2 :: v_dual_mov_b32 v4, v2
	v_mov_b32_e32 v5, v2
	s_set_vgpr_msb 1                        ;  msbs: dst=0 src0=1 src1=0 src2=0
	ds_store_b128 v26 /*v282*/, v[2:5]
; %bb.11:                               ;   in Loop: Header=BB123_4 Depth=1
	s_and_not1_saveexec_b32 s19, s19
	s_set_vgpr_msb 0                        ;  msbs: dst=0 src0=0 src1=0 src2=0
	s_cbranch_execz .LBB123_13
; %bb.12:                               ;   in Loop: Header=BB123_4 Depth=1
	global_load_b128 v[4:7], v[42:43], off
	s_wait_loadcnt 0x0
	s_set_vgpr_msb 1                        ;  msbs: dst=0 src0=1 src1=0 src2=0
	ds_store_2addr_b64 v26 /*v282*/, v[4:5], v[6:7] offset1:1
.LBB123_13:                             ;   in Loop: Header=BB123_4 Depth=1
	s_wait_xcnt 0x0
	s_or_b32 exec_lo, exec_lo, s18
	s_mul_u64 s[18:19], s[28:29], s[34:35]
	s_and_b32 vcc_lo, exec_lo, s69
	s_set_vgpr_msb 0                        ;  msbs: dst=0 src0=0 src1=0 src2=0
	v_lshl_add_u64 v[6:7], s[18:19], 4, v[174:175]
	s_mov_b32 s18, -1
                                        ; implicit-def: $vgpr4_vgpr5
	s_cbranch_vccz .LBB123_25
; %bb.14:                               ;   in Loop: Header=BB123_4 Depth=1
	s_and_saveexec_b32 s18, s2
	s_delay_alu instid0(SALU_CYCLE_1)
	s_xor_b32 s18, exec_lo, s18
; %bb.15:                               ;   in Loop: Header=BB123_4 Depth=1
	v_dual_mov_b32 v3, v2 :: v_dual_mov_b32 v4, v2
	v_mov_b32_e32 v5, v2
	s_set_vgpr_msb 1                        ;  msbs: dst=0 src0=1 src1=0 src2=0
	ds_store_b128 v8 /*v264*/, v[2:5]
; %bb.16:                               ;   in Loop: Header=BB123_4 Depth=1
	s_or_saveexec_b32 s18, s18
	s_set_vgpr_msb 0                        ;  msbs: dst=0 src0=0 src1=0 src2=0
	v_lshl_add_u64 v[4:5], v[210:211], 4, v[6:7]
	s_delay_alu instid0(VALU_DEP_1) | instskip(NEXT) | instid1(VALU_DEP_1)
	v_lshl_add_u64 v[4:5], s[26:27], 4, v[4:5]
	v_add_nc_u64_e32 v[4:5], -16, v[4:5]
	s_delay_alu instid0(VALU_DEP_1)
	v_dual_cndmask_b32 v9, v5, v7, s1 :: v_dual_cndmask_b32 v8, v4, v6, s1
	s_xor_b32 exec_lo, exec_lo, s18
	s_cbranch_execnz .LBB123_139
; %bb.17:                               ;   in Loop: Header=BB123_4 Depth=1
	s_or_b32 exec_lo, exec_lo, s18
	s_and_saveexec_b32 s18, s3
	s_delay_alu instid0(SALU_CYCLE_1)
	s_xor_b32 s18, exec_lo, s18
	s_cbranch_execnz .LBB123_140
.LBB123_18:                             ;   in Loop: Header=BB123_4 Depth=1
	s_and_not1_saveexec_b32 s18, s18
	s_cbranch_execnz .LBB123_141
.LBB123_19:                             ;   in Loop: Header=BB123_4 Depth=1
	s_or_b32 exec_lo, exec_lo, s18
	s_and_saveexec_b32 s18, s4
	s_delay_alu instid0(SALU_CYCLE_1)
	s_xor_b32 s18, exec_lo, s18
	s_cbranch_execnz .LBB123_142
.LBB123_20:                             ;   in Loop: Header=BB123_4 Depth=1
	s_and_not1_saveexec_b32 s18, s18
	s_cbranch_execnz .LBB123_143
.LBB123_21:                             ;   in Loop: Header=BB123_4 Depth=1
	s_or_b32 exec_lo, exec_lo, s18
	s_and_saveexec_b32 s18, s5
	s_delay_alu instid0(SALU_CYCLE_1)
	s_xor_b32 s18, exec_lo, s18
	s_cbranch_execnz .LBB123_144
.LBB123_22:                             ;   in Loop: Header=BB123_4 Depth=1
	s_and_not1_saveexec_b32 s18, s18
	s_cbranch_execz .LBB123_24
.LBB123_23:                             ;   in Loop: Header=BB123_4 Depth=1
	v_lshl_add_u64 v[4:5], s[50:51], 4, v[8:9]
	global_load_b128 v[10:13], v[4:5], off
	s_wait_loadcnt 0x0
	s_set_vgpr_msb 1                        ;  msbs: dst=0 src0=1 src1=0 src2=0
	ds_store_2addr_b64 v29 /*v285*/, v[10:11], v[12:13] offset1:1
.LBB123_24:                             ;   in Loop: Header=BB123_4 Depth=1
	s_wait_xcnt 0x0
	s_or_b32 exec_lo, exec_lo, s18
	s_set_vgpr_msb 0                        ;  msbs: dst=0 src0=0 src1=0 src2=0
	v_mov_b32_e32 v213, v2
	s_mov_b32 s18, 0
	s_delay_alu instid0(VALU_DEP_1) | instskip(NEXT) | instid1(VALU_DEP_1)
	v_add_nc_u64_e32 v[4:5], v[8:9], v[212:213]
	v_lshl_add_u64 v[4:5], s[56:57], 4, v[4:5]
	s_delay_alu instid0(VALU_DEP_1) | instskip(NEXT) | instid1(VALU_DEP_1)
	v_add_nc_u64_e32 v[4:5], 16, v[4:5]
	v_dual_cndmask_b32 v5, v5, v7, s1 :: v_dual_cndmask_b32 v4, v4, v6, s1
.LBB123_25:                             ;   in Loop: Header=BB123_4 Depth=1
	s_and_b32 vcc_lo, exec_lo, s18
	s_cbranch_vccz .LBB123_27
; %bb.26:                               ;   in Loop: Header=BB123_4 Depth=1
	v_lshl_add_u64 v[4:5], s[42:43], 4, v[6:7]
	s_delay_alu instid0(VALU_DEP_1) | instskip(NEXT) | instid1(VALU_DEP_1)
	v_add_nc_u64_e32 v[16:17], s[62:63], v[4:5]
	v_add_nc_u64_e32 v[20:21], s[62:63], v[16:17]
	s_clause 0x3
	global_load_b128 v[8:11], v[6:7], off
	global_load_b128 v[12:15], v[4:5], off
	;; [unrolled: 1-line block ×4, first 2 shown]
	s_wait_xcnt 0x2
	v_mov_b64_e32 v[4:5], v[6:7]
	s_wait_loadcnt 0x3
	s_set_vgpr_msb 1                        ;  msbs: dst=0 src0=1 src1=0 src2=0
	ds_store_2addr_b64 v8 /*v264*/, v[8:9], v[10:11] offset1:1
	s_wait_loadcnt 0x2
	ds_store_2addr_b64 v27 /*v283*/, v[12:13], v[14:15] offset1:1
	s_wait_loadcnt 0x1
	;; [unrolled: 2-line block ×3, first 2 shown]
	ds_store_2addr_b64 v29 /*v285*/, v[20:21], v[22:23] offset1:1
.LBB123_27:                             ;   in Loop: Header=BB123_4 Depth=1
	s_wait_dscnt 0x0
	s_barrier_signal -1
	s_barrier_wait -1
	s_wait_xcnt 0x0
	s_and_saveexec_b32 s18, s6
	s_set_vgpr_msb 0                        ;  msbs: dst=0 src0=0 src1=0 src2=0
	s_cbranch_execnz .LBB123_133
; %bb.28:                               ;   in Loop: Header=BB123_4 Depth=1
	s_or_b32 exec_lo, exec_lo, s18
	s_and_saveexec_b32 s18, s7
	s_cbranch_execnz .LBB123_134
.LBB123_29:                             ;   in Loop: Header=BB123_4 Depth=1
	s_or_b32 exec_lo, exec_lo, s18
	s_and_saveexec_b32 s18, s8
	s_cbranch_execnz .LBB123_135
.LBB123_30:                             ;   in Loop: Header=BB123_4 Depth=1
	s_or_b32 exec_lo, exec_lo, s18
	s_and_saveexec_b32 s18, s9
	s_cbranch_execz .LBB123_32
.LBB123_31:                             ;   in Loop: Header=BB123_4 Depth=1
	s_set_vgpr_msb 1                        ;  msbs: dst=0 src0=1 src1=0 src2=0
	ds_load_b128 v[6:9], v34 /*v290*/
	s_wait_dscnt 0x0
	ds_store_b128 v33 /*v289*/, v[6:9]
.LBB123_32:                             ;   in Loop: Header=BB123_4 Depth=1
	s_or_b32 exec_lo, exec_lo, s18
	s_wait_dscnt 0x0
	s_barrier_signal -1
	s_barrier_wait -1
	s_set_vgpr_msb 1                        ;  msbs: dst=0 src0=1 src1=0 src2=0
	ds_load_b128 v[6:9], v10 /*v266*/
	ds_load_b128 v[10:13], v13 /*v269*/
	ds_load_b128 v[14:17], v13 /*v269*/ offset:16
	ds_load_b128 v[18:21], v12 /*v268*/
	s_wait_dscnt 0x2
	s_set_vgpr_msb 0                        ;  msbs: dst=0 src0=0 src1=0 src2=0
	v_mul_f64_e32 v[22:23], v[12:13], v[8:9]
	v_mul_f64_e32 v[28:29], v[10:11], v[8:9]
	s_wait_dscnt 0x0
	v_mul_f64_e32 v[30:31], v[16:17], v[20:21]
	v_mul_f64_e32 v[32:33], v[14:15], v[20:21]
	s_delay_alu instid0(VALU_DEP_4) | instskip(NEXT) | instid1(VALU_DEP_4)
	v_fma_f64 v[34:35], v[10:11], v[6:7], -v[22:23]
	v_fmac_f64_e32 v[28:29], v[12:13], v[6:7]
	s_set_vgpr_msb 1                        ;  msbs: dst=0 src0=1 src1=0 src2=0
	ds_load_b128 v[6:9], v32 /*v288*/
	ds_load_b128 v[10:13], v13 /*v269*/ offset:32
	ds_load_b128 v[20:23], v13 /*v269*/ offset:48
	ds_load_b128 v[24:27], v34 /*v290*/
	s_set_vgpr_msb 0                        ;  msbs: dst=0 src0=0 src1=0 src2=0
	v_fma_f64 v[14:15], v[14:15], v[18:19], -v[30:31]
	v_fmac_f64_e32 v[32:33], v[16:17], v[18:19]
	s_wait_dscnt 0x0
	s_barrier_signal -1
	s_barrier_wait -1
	v_mul_f64_e32 v[36:37], v[12:13], v[8:9]
	v_mul_f64_e32 v[8:9], v[10:11], v[8:9]
	v_add_f64_e32 v[16:17], 0, v[34:35]
	v_add_f64_e32 v[18:19], 0, v[28:29]
	v_mul_f64_e32 v[28:29], v[22:23], v[26:27]
	v_mul_f64_e32 v[26:27], v[20:21], v[26:27]
	v_fma_f64 v[10:11], v[10:11], v[6:7], -v[36:37]
	v_fmac_f64_e32 v[8:9], v[12:13], v[6:7]
	v_add_f64_e32 v[6:7], v[16:17], v[14:15]
	v_add_f64_e32 v[12:13], v[18:19], v[32:33]
	v_fma_f64 v[14:15], v[20:21], v[24:25], -v[28:29]
	v_fmac_f64_e32 v[26:27], v[22:23], v[24:25]
	s_delay_alu instid0(VALU_DEP_4) | instskip(NEXT) | instid1(VALU_DEP_4)
	v_add_f64_e32 v[6:7], v[6:7], v[10:11]
	v_add_f64_e32 v[8:9], v[12:13], v[8:9]
	s_delay_alu instid0(VALU_DEP_2) | instskip(NEXT) | instid1(VALU_DEP_2)
	v_add_f64_e32 v[10:11], v[6:7], v[14:15]
	v_add_f64_e32 v[12:13], v[8:9], v[26:27]
	v_mov_b64_e32 v[6:7], 0
	v_mov_b64_e32 v[8:9], 0
	s_set_vgpr_msb 1                        ;  msbs: dst=0 src0=1 src1=0 src2=0
	ds_store_b128 v14 /*v270*/, v[10:13]
	s_wait_dscnt 0x0
	s_barrier_signal -1
	s_barrier_wait -1
	s_and_saveexec_b32 s18, s10
	s_set_vgpr_msb 0                        ;  msbs: dst=0 src0=0 src1=0 src2=0
	s_cbranch_execz .LBB123_34
; %bb.33:                               ;   in Loop: Header=BB123_4 Depth=1
	s_set_vgpr_msb 1                        ;  msbs: dst=0 src0=1 src1=0 src2=0
	ds_load_b128 v[6:9], v11 /*v267*/
	ds_load_b128 v[10:13], v11 /*v267*/ offset:16
	s_wait_dscnt 0x0
	s_set_vgpr_msb 0                        ;  msbs: dst=0 src0=0 src1=0 src2=0
	v_add_f64_e32 v[14:15], v[10:11], v[6:7]
	v_add_f64_e32 v[16:17], v[12:13], v[8:9]
	s_set_vgpr_msb 1                        ;  msbs: dst=0 src0=1 src1=0 src2=0
	ds_load_b128 v[6:9], v11 /*v267*/ offset:32
	ds_load_b128 v[10:13], v11 /*v267*/ offset:48
	s_wait_dscnt 0x1
	s_set_vgpr_msb 0                        ;  msbs: dst=0 src0=0 src1=0 src2=0
	v_add_f64_e32 v[6:7], v[14:15], v[6:7]
	v_add_f64_e32 v[8:9], v[16:17], v[8:9]
	s_wait_dscnt 0x0
	s_delay_alu instid0(VALU_DEP_2) | instskip(NEXT) | instid1(VALU_DEP_2)
	v_add_f64_e32 v[14:15], v[6:7], v[10:11]
	v_add_f64_e32 v[16:17], v[8:9], v[12:13]
	s_set_vgpr_msb 1                        ;  msbs: dst=0 src0=1 src1=0 src2=0
	ds_load_b128 v[6:9], v11 /*v267*/ offset:64
	ds_load_b128 v[10:13], v11 /*v267*/ offset:80
	s_wait_dscnt 0x1
	s_set_vgpr_msb 0                        ;  msbs: dst=0 src0=0 src1=0 src2=0
	v_add_f64_e32 v[6:7], v[14:15], v[6:7]
	v_add_f64_e32 v[8:9], v[16:17], v[8:9]
	s_wait_dscnt 0x0
	s_delay_alu instid0(VALU_DEP_2) | instskip(NEXT) | instid1(VALU_DEP_2)
	;; [unrolled: 11-line block ×3, first 2 shown]
	v_add_f64_e32 v[6:7], v[6:7], v[10:11]
	v_add_f64_e32 v[8:9], v[8:9], v[12:13]
.LBB123_34:                             ;   in Loop: Header=BB123_4 Depth=1
	s_or_b32 exec_lo, exec_lo, s18
	v_lshl_add_u64 v[14:15], s[52:53], 4, v[4:5]
	s_and_b32 vcc_lo, exec_lo, s69
	s_mov_b32 s18, -1
	s_barrier_signal -1
	s_delay_alu instid0(VALU_DEP_1)
	v_add_nc_u64_e32 v[12:13], 0x200, v[14:15]
	s_barrier_wait -1
                                        ; implicit-def: $vgpr10_vgpr11
	s_cbranch_vccz .LBB123_46
; %bb.35:                               ;   in Loop: Header=BB123_4 Depth=1
	s_and_saveexec_b32 s18, s12
	s_delay_alu instid0(SALU_CYCLE_1)
	s_xor_b32 s18, exec_lo, s18
; %bb.36:                               ;   in Loop: Header=BB123_4 Depth=1
	v_dual_mov_b32 v3, v2 :: v_dual_mov_b32 v4, v2
	v_mov_b32_e32 v5, v2
	s_set_vgpr_msb 1                        ;  msbs: dst=0 src0=1 src1=0 src2=0
	ds_store_b128 v8 /*v264*/, v[2:5]
; %bb.37:                               ;   in Loop: Header=BB123_4 Depth=1
	s_or_saveexec_b32 s18, s18
	s_set_vgpr_msb 0                        ;  msbs: dst=0 src0=0 src1=0 src2=0
	v_lshl_add_u64 v[4:5], v[210:211], 4, v[14:15]
	s_delay_alu instid0(VALU_DEP_1) | instskip(NEXT) | instid1(VALU_DEP_1)
	v_lshl_add_u64 v[4:5], s[26:27], 4, v[4:5]
	v_add_nc_u64_e32 v[4:5], -16, v[4:5]
	s_delay_alu instid0(VALU_DEP_1)
	v_dual_cndmask_b32 v11, v5, v13, s11 :: v_dual_cndmask_b32 v10, v4, v12, s11
	s_xor_b32 exec_lo, exec_lo, s18
	s_cbranch_execnz .LBB123_145
; %bb.38:                               ;   in Loop: Header=BB123_4 Depth=1
	s_or_b32 exec_lo, exec_lo, s18
	s_and_saveexec_b32 s18, s13
	s_delay_alu instid0(SALU_CYCLE_1)
	s_xor_b32 s18, exec_lo, s18
	s_cbranch_execnz .LBB123_146
.LBB123_39:                             ;   in Loop: Header=BB123_4 Depth=1
	s_and_not1_saveexec_b32 s18, s18
	s_cbranch_execnz .LBB123_147
.LBB123_40:                             ;   in Loop: Header=BB123_4 Depth=1
	s_or_b32 exec_lo, exec_lo, s18
	s_and_saveexec_b32 s18, s14
	s_delay_alu instid0(SALU_CYCLE_1)
	s_xor_b32 s18, exec_lo, s18
	s_cbranch_execnz .LBB123_148
.LBB123_41:                             ;   in Loop: Header=BB123_4 Depth=1
	s_and_not1_saveexec_b32 s18, s18
	s_cbranch_execnz .LBB123_149
.LBB123_42:                             ;   in Loop: Header=BB123_4 Depth=1
	s_or_b32 exec_lo, exec_lo, s18
	s_and_saveexec_b32 s18, s15
	s_delay_alu instid0(SALU_CYCLE_1)
	s_xor_b32 s18, exec_lo, s18
	s_cbranch_execnz .LBB123_150
.LBB123_43:                             ;   in Loop: Header=BB123_4 Depth=1
	s_and_not1_saveexec_b32 s18, s18
	s_cbranch_execz .LBB123_45
.LBB123_44:                             ;   in Loop: Header=BB123_4 Depth=1
	v_lshl_add_u64 v[4:5], s[50:51], 4, v[10:11]
	global_load_b128 v[16:19], v[4:5], off
	s_wait_loadcnt 0x0
	s_set_vgpr_msb 1                        ;  msbs: dst=0 src0=1 src1=0 src2=0
	ds_store_2addr_b64 v29 /*v285*/, v[16:17], v[18:19] offset1:1
.LBB123_45:                             ;   in Loop: Header=BB123_4 Depth=1
	s_wait_xcnt 0x0
	s_or_b32 exec_lo, exec_lo, s18
	s_set_vgpr_msb 0                        ;  msbs: dst=0 src0=0 src1=0 src2=0
	v_mov_b32_e32 v213, v2
	s_mov_b32 s18, 0
	s_delay_alu instid0(VALU_DEP_1) | instskip(NEXT) | instid1(VALU_DEP_1)
	v_add_nc_u64_e32 v[4:5], v[10:11], v[212:213]
	v_lshl_add_u64 v[4:5], s[56:57], 4, v[4:5]
	s_delay_alu instid0(VALU_DEP_1) | instskip(NEXT) | instid1(VALU_DEP_1)
	v_add_nc_u64_e32 v[4:5], 0x210, v[4:5]
	v_dual_cndmask_b32 v11, v5, v13, s11 :: v_dual_cndmask_b32 v10, v4, v12, s11
.LBB123_46:                             ;   in Loop: Header=BB123_4 Depth=1
	s_and_b32 vcc_lo, exec_lo, s18
	s_cbranch_vccz .LBB123_48
; %bb.47:                               ;   in Loop: Header=BB123_4 Depth=1
	v_lshl_add_u64 v[4:5], s[42:43], 4, v[14:15]
	s_delay_alu instid0(VALU_DEP_1) | instskip(NEXT) | instid1(VALU_DEP_1)
	v_add_nc_u64_e32 v[10:11], s[62:63], v[4:5]
	v_add_nc_u64_e32 v[26:27], s[62:63], v[10:11]
	s_clause 0x3
	global_load_b128 v[14:17], v[12:13], off
	global_load_b128 v[18:21], v[4:5], off offset:512
	global_load_b128 v[22:25], v[10:11], off offset:512
	;; [unrolled: 1-line block ×3, first 2 shown]
	s_wait_xcnt 0x1
	v_mov_b64_e32 v[10:11], v[12:13]
	s_wait_loadcnt 0x3
	s_set_vgpr_msb 1                        ;  msbs: dst=0 src0=1 src1=0 src2=0
	ds_store_2addr_b64 v8 /*v264*/, v[14:15], v[16:17] offset1:1
	s_wait_loadcnt 0x2
	ds_store_2addr_b64 v27 /*v283*/, v[18:19], v[20:21] offset1:1
	s_wait_loadcnt 0x1
	;; [unrolled: 2-line block ×3, first 2 shown]
	ds_store_2addr_b64 v29 /*v285*/, v[26:27], v[28:29] offset1:1
.LBB123_48:                             ;   in Loop: Header=BB123_4 Depth=1
	s_wait_dscnt 0x0
	s_barrier_signal -1
	s_barrier_wait -1
	s_wait_xcnt 0x0
	s_and_saveexec_b32 s18, s6
	s_set_vgpr_msb 0                        ;  msbs: dst=0 src0=0 src1=0 src2=0
	s_cbranch_execnz .LBB123_136
; %bb.49:                               ;   in Loop: Header=BB123_4 Depth=1
	s_or_b32 exec_lo, exec_lo, s18
	s_and_saveexec_b32 s18, s7
	s_cbranch_execnz .LBB123_137
.LBB123_50:                             ;   in Loop: Header=BB123_4 Depth=1
	s_or_b32 exec_lo, exec_lo, s18
	s_and_saveexec_b32 s18, s8
	s_cbranch_execnz .LBB123_138
.LBB123_51:                             ;   in Loop: Header=BB123_4 Depth=1
	s_or_b32 exec_lo, exec_lo, s18
	s_and_saveexec_b32 s18, s9
	s_cbranch_execz .LBB123_53
.LBB123_52:                             ;   in Loop: Header=BB123_4 Depth=1
	s_set_vgpr_msb 1                        ;  msbs: dst=0 src0=1 src1=0 src2=0
	ds_load_b128 v[12:15], v34 /*v290*/
	s_wait_dscnt 0x0
	ds_store_b128 v37 /*v293*/, v[12:15]
.LBB123_53:                             ;   in Loop: Header=BB123_4 Depth=1
	s_or_b32 exec_lo, exec_lo, s18
	s_wait_dscnt 0x0
	s_barrier_signal -1
	s_barrier_wait -1
	s_set_vgpr_msb 1                        ;  msbs: dst=0 src0=1 src1=0 src2=0
	ds_load_b128 v[12:15], v10 /*v266*/
	ds_load_b128 v[16:19], v13 /*v269*/ offset:512
	ds_load_b128 v[20:23], v13 /*v269*/ offset:528
	ds_load_b128 v[24:27], v12 /*v268*/
	s_wait_dscnt 0x2
	s_set_vgpr_msb 0                        ;  msbs: dst=0 src0=0 src1=0 src2=0
	v_mul_f64_e32 v[4:5], v[18:19], v[14:15]
	v_mul_f64_e32 v[34:35], v[16:17], v[14:15]
	s_wait_dscnt 0x0
	v_mul_f64_e32 v[36:37], v[22:23], v[26:27]
	v_mul_f64_e32 v[38:39], v[20:21], v[26:27]
	s_delay_alu instid0(VALU_DEP_4) | instskip(NEXT) | instid1(VALU_DEP_4)
	v_fma_f64 v[4:5], v[16:17], v[12:13], -v[4:5]
	v_fmac_f64_e32 v[34:35], v[18:19], v[12:13]
	s_set_vgpr_msb 1                        ;  msbs: dst=0 src0=1 src1=0 src2=0
	ds_load_b128 v[12:15], v32 /*v288*/
	ds_load_b128 v[16:19], v13 /*v269*/ offset:544
	ds_load_b128 v[26:29], v13 /*v269*/ offset:560
	ds_load_b128 v[30:33], v34 /*v290*/
	s_set_vgpr_msb 0                        ;  msbs: dst=0 src0=0 src1=0 src2=0
	v_fma_f64 v[20:21], v[20:21], v[24:25], -v[36:37]
	v_fmac_f64_e32 v[38:39], v[22:23], v[24:25]
	s_wait_dscnt 0x0
	s_barrier_signal -1
	s_barrier_wait -1
	v_mul_f64_e32 v[40:41], v[18:19], v[14:15]
	v_mul_f64_e32 v[14:15], v[16:17], v[14:15]
	;; [unrolled: 1-line block ×4, first 2 shown]
	v_add_f64_e32 v[4:5], 0, v[4:5]
	v_add_f64_e32 v[22:23], 0, v[34:35]
	v_fma_f64 v[16:17], v[16:17], v[12:13], -v[40:41]
	v_fmac_f64_e32 v[14:15], v[18:19], v[12:13]
	v_fma_f64 v[18:19], v[26:27], v[30:31], -v[24:25]
	v_fmac_f64_e32 v[32:33], v[28:29], v[30:31]
	v_add_f64_e32 v[4:5], v[4:5], v[20:21]
	v_add_f64_e32 v[12:13], v[22:23], v[38:39]
	s_delay_alu instid0(VALU_DEP_2) | instskip(NEXT) | instid1(VALU_DEP_2)
	v_add_f64_e32 v[4:5], v[4:5], v[16:17]
	v_add_f64_e32 v[14:15], v[12:13], v[14:15]
	s_delay_alu instid0(VALU_DEP_2) | instskip(NEXT) | instid1(VALU_DEP_2)
	v_add_f64_e32 v[12:13], v[4:5], v[18:19]
	v_add_f64_e32 v[14:15], v[14:15], v[32:33]
	s_set_vgpr_msb 1                        ;  msbs: dst=0 src0=1 src1=0 src2=0
	ds_store_b128 v14 /*v270*/, v[12:15]
	s_wait_dscnt 0x0
	s_barrier_signal -1
	s_barrier_wait -1
	s_and_saveexec_b32 s18, s16
	s_set_vgpr_msb 0                        ;  msbs: dst=0 src0=0 src1=0 src2=0
	s_cbranch_execz .LBB123_55
; %bb.54:                               ;   in Loop: Header=BB123_4 Depth=1
	s_set_vgpr_msb 1                        ;  msbs: dst=0 src0=1 src1=0 src2=0
	ds_load_b128 v[4:7], v11 /*v267*/
	ds_load_b128 v[12:15], v11 /*v267*/ offset:16
	s_wait_dscnt 0x0
	s_set_vgpr_msb 0                        ;  msbs: dst=0 src0=0 src1=0 src2=0
	v_add_f64_e32 v[8:9], v[12:13], v[4:5]
	v_add_f64_e32 v[16:17], v[14:15], v[6:7]
	s_set_vgpr_msb 1                        ;  msbs: dst=0 src0=1 src1=0 src2=0
	ds_load_b128 v[4:7], v11 /*v267*/ offset:32
	ds_load_b128 v[12:15], v11 /*v267*/ offset:48
	s_wait_dscnt 0x1
	s_set_vgpr_msb 0                        ;  msbs: dst=0 src0=0 src1=0 src2=0
	v_add_f64_e32 v[4:5], v[8:9], v[4:5]
	v_add_f64_e32 v[6:7], v[16:17], v[6:7]
	s_wait_dscnt 0x0
	s_delay_alu instid0(VALU_DEP_2) | instskip(NEXT) | instid1(VALU_DEP_2)
	v_add_f64_e32 v[8:9], v[4:5], v[12:13]
	v_add_f64_e32 v[16:17], v[6:7], v[14:15]
	s_set_vgpr_msb 1                        ;  msbs: dst=0 src0=1 src1=0 src2=0
	ds_load_b128 v[4:7], v11 /*v267*/ offset:64
	ds_load_b128 v[12:15], v11 /*v267*/ offset:80
	s_wait_dscnt 0x1
	s_set_vgpr_msb 0                        ;  msbs: dst=0 src0=0 src1=0 src2=0
	v_add_f64_e32 v[4:5], v[8:9], v[4:5]
	v_add_f64_e32 v[6:7], v[16:17], v[6:7]
	s_wait_dscnt 0x0
	s_delay_alu instid0(VALU_DEP_2) | instskip(NEXT) | instid1(VALU_DEP_2)
	;; [unrolled: 11-line block ×3, first 2 shown]
	v_add_f64_e32 v[6:7], v[4:5], v[12:13]
	v_add_f64_e32 v[8:9], v[8:9], v[14:15]
.LBB123_55:                             ;   in Loop: Header=BB123_4 Depth=1
	s_or_b32 exec_lo, exec_lo, s18
	v_add_nc_u64_e32 v[12:13], s[58:59], v[10:11]
	s_and_b32 vcc_lo, exec_lo, s69
	s_mov_b32 s18, -1
	s_barrier_signal -1
	s_barrier_wait -1
                                        ; implicit-def: $vgpr4_vgpr5
	s_cbranch_vccz .LBB123_67
; %bb.56:                               ;   in Loop: Header=BB123_4 Depth=1
	s_and_saveexec_b32 s18, s12
	s_delay_alu instid0(SALU_CYCLE_1)
	s_xor_b32 s18, exec_lo, s18
; %bb.57:                               ;   in Loop: Header=BB123_4 Depth=1
	v_dual_mov_b32 v3, v2 :: v_dual_mov_b32 v4, v2
	v_mov_b32_e32 v5, v2
	s_set_vgpr_msb 1                        ;  msbs: dst=0 src0=1 src1=0 src2=0
	ds_store_b128 v8 /*v264*/, v[2:5]
; %bb.58:                               ;   in Loop: Header=BB123_4 Depth=1
	s_or_saveexec_b32 s18, s18
	s_set_vgpr_msb 0                        ;  msbs: dst=0 src0=0 src1=0 src2=0
	v_lshl_add_u64 v[4:5], v[210:211], 4, v[10:11]
	s_delay_alu instid0(VALU_DEP_1) | instskip(NEXT) | instid1(VALU_DEP_1)
	v_lshl_add_u64 v[4:5], s[26:27], 4, v[4:5]
	v_add_nc_u64_e32 v[4:5], s[60:61], v[4:5]
	s_delay_alu instid0(VALU_DEP_1)
	v_dual_cndmask_b32 v15, v5, v13, s1 :: v_dual_cndmask_b32 v14, v4, v12, s1
	s_xor_b32 exec_lo, exec_lo, s18
	s_cbranch_execnz .LBB123_151
; %bb.59:                               ;   in Loop: Header=BB123_4 Depth=1
	s_or_b32 exec_lo, exec_lo, s18
	s_and_saveexec_b32 s18, s13
	s_delay_alu instid0(SALU_CYCLE_1)
	s_xor_b32 s18, exec_lo, s18
	s_cbranch_execnz .LBB123_152
.LBB123_60:                             ;   in Loop: Header=BB123_4 Depth=1
	s_and_not1_saveexec_b32 s18, s18
	s_cbranch_execnz .LBB123_153
.LBB123_61:                             ;   in Loop: Header=BB123_4 Depth=1
	s_or_b32 exec_lo, exec_lo, s18
	s_and_saveexec_b32 s18, s14
	s_delay_alu instid0(SALU_CYCLE_1)
	s_xor_b32 s18, exec_lo, s18
	s_cbranch_execnz .LBB123_154
.LBB123_62:                             ;   in Loop: Header=BB123_4 Depth=1
	s_and_not1_saveexec_b32 s18, s18
	s_cbranch_execnz .LBB123_155
.LBB123_63:                             ;   in Loop: Header=BB123_4 Depth=1
	s_or_b32 exec_lo, exec_lo, s18
	s_and_saveexec_b32 s18, s15
	s_delay_alu instid0(SALU_CYCLE_1)
	s_xor_b32 s18, exec_lo, s18
	s_cbranch_execnz .LBB123_156
.LBB123_64:                             ;   in Loop: Header=BB123_4 Depth=1
	s_and_not1_saveexec_b32 s18, s18
	s_cbranch_execz .LBB123_66
.LBB123_65:                             ;   in Loop: Header=BB123_4 Depth=1
	v_lshl_add_u64 v[4:5], s[50:51], 4, v[14:15]
	global_load_b128 v[16:19], v[4:5], off
	s_wait_loadcnt 0x0
	s_set_vgpr_msb 1                        ;  msbs: dst=0 src0=1 src1=0 src2=0
	ds_store_2addr_b64 v29 /*v285*/, v[16:17], v[18:19] offset1:1
.LBB123_66:                             ;   in Loop: Header=BB123_4 Depth=1
	s_wait_xcnt 0x0
	s_or_b32 exec_lo, exec_lo, s18
	s_set_vgpr_msb 0                        ;  msbs: dst=0 src0=0 src1=0 src2=0
	v_mov_b32_e32 v213, v2
	s_mov_b32 s18, 0
	s_delay_alu instid0(VALU_DEP_1) | instskip(NEXT) | instid1(VALU_DEP_1)
	v_add_nc_u64_e32 v[4:5], v[14:15], v[212:213]
	v_lshl_add_u64 v[4:5], s[56:57], 4, v[4:5]
	s_delay_alu instid0(VALU_DEP_1) | instskip(NEXT) | instid1(VALU_DEP_1)
	v_add_nc_u64_e32 v[4:5], 16, v[4:5]
	v_dual_cndmask_b32 v5, v5, v13, s1 :: v_dual_cndmask_b32 v4, v4, v12, s1
.LBB123_67:                             ;   in Loop: Header=BB123_4 Depth=1
	s_and_b32 vcc_lo, exec_lo, s18
	s_cbranch_vccz .LBB123_69
; %bb.68:                               ;   in Loop: Header=BB123_4 Depth=1
	v_lshl_add_u64 v[4:5], s[42:43], 4, v[10:11]
	s_delay_alu instid0(VALU_DEP_1) | instskip(NEXT) | instid1(VALU_DEP_1)
	v_add_nc_u64_e32 v[10:11], s[62:63], v[4:5]
	v_add_nc_u64_e32 v[26:27], s[62:63], v[10:11]
	s_clause 0x3
	global_load_b128 v[14:17], v[12:13], off
	global_load_b128 v[18:21], v[4:5], off offset:-512
	global_load_b128 v[22:25], v[10:11], off offset:-512
	;; [unrolled: 1-line block ×3, first 2 shown]
	s_wait_xcnt 0x2
	v_mov_b64_e32 v[4:5], v[12:13]
	s_wait_loadcnt 0x3
	s_set_vgpr_msb 1                        ;  msbs: dst=0 src0=1 src1=0 src2=0
	ds_store_2addr_b64 v8 /*v264*/, v[14:15], v[16:17] offset1:1
	s_wait_loadcnt 0x2
	ds_store_2addr_b64 v27 /*v283*/, v[18:19], v[20:21] offset1:1
	s_wait_loadcnt 0x1
	;; [unrolled: 2-line block ×3, first 2 shown]
	ds_store_2addr_b64 v29 /*v285*/, v[26:27], v[28:29] offset1:1
.LBB123_69:                             ;   in Loop: Header=BB123_4 Depth=1
	s_wait_dscnt 0x0
	s_barrier_signal -1
	s_barrier_wait -1
	s_wait_xcnt 0x1
	s_set_vgpr_msb 1                        ;  msbs: dst=0 src0=1 src1=0 src2=0
	ds_load_b128 v[10:13], v24 /*v280*/
	ds_load_b128 v[14:17], v17 /*v273*/
	ds_load_b128 v[18:21], v14 /*v270*/ offset:384
	ds_load_b128 v[22:25], v17 /*v273*/ offset:384
	s_wait_xcnt 0x0
	ds_load_b128 v[26:29], v17 /*v273*/ offset:128
	ds_load_b128 v[30:33], v14 /*v270*/ offset:128
	;; [unrolled: 1-line block ×4, first 2 shown]
	s_wait_dscnt 0x6
	s_set_vgpr_msb 0                        ;  msbs: dst=0 src0=0 src1=0 src2=0
	v_mul_f64_e32 v[44:45], v[12:13], v[16:17]
	v_mul_f64_e32 v[16:17], v[10:11], v[16:17]
	s_wait_dscnt 0x2
	v_mul_f64_e32 v[46:47], v[32:33], v[28:29]
	v_mul_f64_e32 v[28:29], v[30:31], v[28:29]
	s_delay_alu instid0(VALU_DEP_4) | instskip(NEXT) | instid1(VALU_DEP_4)
	v_fma_f64 v[10:11], v[10:11], v[14:15], -v[44:45]
	v_fmac_f64_e32 v[16:17], v[12:13], v[14:15]
	s_wait_dscnt 0x0
	v_mul_f64_e32 v[12:13], v[36:37], v[40:41]
	v_mul_f64_e32 v[14:15], v[34:35], v[40:41]
	v_fma_f64 v[30:31], v[30:31], v[26:27], -v[46:47]
	v_fmac_f64_e32 v[28:29], v[32:33], v[26:27]
	v_mul_f64_e32 v[26:27], v[20:21], v[24:25]
	v_mul_f64_e32 v[24:25], v[18:19], v[24:25]
	v_add_f64_e32 v[10:11], 0, v[10:11]
	v_add_f64_e32 v[16:17], 0, v[16:17]
	v_fma_f64 v[12:13], v[34:35], v[38:39], -v[12:13]
	v_fmac_f64_e32 v[14:15], v[36:37], v[38:39]
	v_fma_f64 v[18:19], v[18:19], v[22:23], -v[26:27]
	v_fmac_f64_e32 v[24:25], v[20:21], v[22:23]
	v_add_f64_e32 v[10:11], v[10:11], v[30:31]
	v_add_f64_e32 v[16:17], v[16:17], v[28:29]
	s_delay_alu instid0(VALU_DEP_2) | instskip(NEXT) | instid1(VALU_DEP_2)
	v_add_f64_e32 v[10:11], v[10:11], v[12:13]
	v_add_f64_e32 v[12:13], v[16:17], v[14:15]
	s_delay_alu instid0(VALU_DEP_2) | instskip(NEXT) | instid1(VALU_DEP_2)
	v_add_f64_e32 v[44:45], v[10:11], v[18:19]
	v_add_f64_e32 v[46:47], v[12:13], v[24:25]
	s_set_vgpr_msb 1                        ;  msbs: dst=0 src0=1 src1=0 src2=0
	ds_load_b128 v[34:37], v13 /*v269*/ offset:512
	ds_load_b128 v[26:29], v13 /*v269*/ offset:528
	;; [unrolled: 1-line block ×4, first 2 shown]
	ds_load_b128 v[38:41], v10 /*v266*/
	ds_load_b128 v[30:33], v12 /*v268*/
	;; [unrolled: 1-line block ×4, first 2 shown]
	s_wait_dscnt 0x0
	s_barrier_signal -1
	s_barrier_wait -1
	ds_store_b128 v14 /*v270*/, v[44:47]
	s_wait_dscnt 0x0
	s_barrier_signal -1
	s_barrier_wait -1
	s_and_saveexec_b32 s18, s16
	s_set_vgpr_msb 0                        ;  msbs: dst=0 src0=0 src1=0 src2=0
	s_cbranch_execz .LBB123_71
; %bb.70:                               ;   in Loop: Header=BB123_4 Depth=1
	s_set_vgpr_msb 1                        ;  msbs: dst=0 src0=1 src1=0 src2=0
	ds_load_b128 v[44:47], v11 /*v267*/
	ds_load_b128 v[48:51], v11 /*v267*/ offset:16
	s_wait_dscnt 0x1
	s_set_vgpr_msb 0                        ;  msbs: dst=0 src0=0 src1=0 src2=0
	v_add_f64_e32 v[6:7], v[6:7], v[44:45]
	v_add_f64_e32 v[8:9], v[8:9], v[46:47]
	s_wait_dscnt 0x0
	s_delay_alu instid0(VALU_DEP_2) | instskip(NEXT) | instid1(VALU_DEP_2)
	v_add_f64_e32 v[48:49], v[6:7], v[48:49]
	v_add_f64_e32 v[50:51], v[8:9], v[50:51]
	s_set_vgpr_msb 1                        ;  msbs: dst=0 src0=1 src1=0 src2=0
	ds_load_b128 v[6:9], v11 /*v267*/ offset:32
	ds_load_b128 v[44:47], v11 /*v267*/ offset:48
	s_wait_dscnt 0x1
	s_set_vgpr_msb 0                        ;  msbs: dst=0 src0=0 src1=0 src2=0
	v_add_f64_e32 v[6:7], v[48:49], v[6:7]
	v_add_f64_e32 v[8:9], v[50:51], v[8:9]
	s_wait_dscnt 0x0
	s_delay_alu instid0(VALU_DEP_2) | instskip(NEXT) | instid1(VALU_DEP_2)
	v_add_f64_e32 v[48:49], v[6:7], v[44:45]
	v_add_f64_e32 v[50:51], v[8:9], v[46:47]
	s_set_vgpr_msb 1                        ;  msbs: dst=0 src0=1 src1=0 src2=0
	ds_load_b128 v[6:9], v11 /*v267*/ offset:64
	;; [unrolled: 11-line block ×3, first 2 shown]
	ds_load_b128 v[44:47], v11 /*v267*/ offset:112
	s_wait_dscnt 0x1
	s_set_vgpr_msb 0                        ;  msbs: dst=0 src0=0 src1=0 src2=0
	v_add_f64_e32 v[6:7], v[48:49], v[6:7]
	v_add_f64_e32 v[8:9], v[50:51], v[8:9]
	s_wait_dscnt 0x0
	s_delay_alu instid0(VALU_DEP_2) | instskip(NEXT) | instid1(VALU_DEP_2)
	v_add_f64_e32 v[6:7], v[6:7], v[44:45]
	v_add_f64_e32 v[8:9], v[8:9], v[46:47]
.LBB123_71:                             ;   in Loop: Header=BB123_4 Depth=1
	s_or_b32 exec_lo, exec_lo, s18
	v_mul_f64_e32 v[44:45], v[36:37], v[40:41]
	v_mul_f64_e32 v[40:41], v[34:35], v[40:41]
	;; [unrolled: 1-line block ×4, first 2 shown]
	s_barrier_signal -1
	s_barrier_wait -1
	s_delay_alu instid0(VALU_DEP_4) | instskip(NEXT) | instid1(VALU_DEP_4)
	v_fma_f64 v[34:35], v[34:35], v[38:39], -v[44:45]
	v_fmac_f64_e32 v[40:41], v[36:37], v[38:39]
	v_mul_f64_e32 v[36:37], v[16:17], v[24:25]
	v_mul_f64_e32 v[24:25], v[14:15], v[24:25]
	v_fma_f64 v[26:27], v[26:27], v[30:31], -v[46:47]
	v_fmac_f64_e32 v[32:33], v[28:29], v[30:31]
	v_add_f64_e32 v[28:29], 0, v[34:35]
	v_add_f64_e32 v[30:31], 0, v[40:41]
	v_mul_f64_e32 v[34:35], v[12:13], v[20:21]
	v_mul_f64_e32 v[20:21], v[10:11], v[20:21]
	v_fma_f64 v[14:15], v[14:15], v[22:23], -v[36:37]
	v_fmac_f64_e32 v[24:25], v[16:17], v[22:23]
	v_add_f64_e32 v[16:17], v[28:29], v[26:27]
	v_add_f64_e32 v[22:23], v[30:31], v[32:33]
	v_fma_f64 v[10:11], v[10:11], v[18:19], -v[34:35]
	v_fmac_f64_e32 v[20:21], v[12:13], v[18:19]
	s_delay_alu instid0(VALU_DEP_4) | instskip(NEXT) | instid1(VALU_DEP_4)
	v_add_f64_e32 v[12:13], v[16:17], v[14:15]
	v_add_f64_e32 v[14:15], v[22:23], v[24:25]
	s_delay_alu instid0(VALU_DEP_2) | instskip(NEXT) | instid1(VALU_DEP_2)
	v_add_f64_e32 v[10:11], v[12:13], v[10:11]
	v_add_f64_e32 v[12:13], v[14:15], v[20:21]
	s_set_vgpr_msb 1                        ;  msbs: dst=0 src0=1 src1=0 src2=0
	ds_store_b128 v14 /*v270*/, v[10:13]
	s_wait_dscnt 0x0
	s_barrier_signal -1
	s_barrier_wait -1
	s_and_saveexec_b32 s18, s10
	s_set_vgpr_msb 0                        ;  msbs: dst=0 src0=0 src1=0 src2=0
	s_cbranch_execz .LBB123_73
; %bb.72:                               ;   in Loop: Header=BB123_4 Depth=1
	s_set_vgpr_msb 1                        ;  msbs: dst=0 src0=1 src1=0 src2=0
	ds_load_b128 v[10:13], v11 /*v267*/
	ds_load_b128 v[14:17], v11 /*v267*/ offset:16
	s_wait_dscnt 0x1
	s_set_vgpr_msb 0                        ;  msbs: dst=0 src0=0 src1=0 src2=0
	v_add_f64_e32 v[6:7], v[6:7], v[10:11]
	v_add_f64_e32 v[8:9], v[8:9], v[12:13]
	s_wait_dscnt 0x0
	s_delay_alu instid0(VALU_DEP_2) | instskip(NEXT) | instid1(VALU_DEP_2)
	v_add_f64_e32 v[14:15], v[6:7], v[14:15]
	v_add_f64_e32 v[16:17], v[8:9], v[16:17]
	s_set_vgpr_msb 1                        ;  msbs: dst=0 src0=1 src1=0 src2=0
	ds_load_b128 v[6:9], v11 /*v267*/ offset:32
	ds_load_b128 v[10:13], v11 /*v267*/ offset:48
	s_wait_dscnt 0x1
	s_set_vgpr_msb 0                        ;  msbs: dst=0 src0=0 src1=0 src2=0
	v_add_f64_e32 v[6:7], v[14:15], v[6:7]
	v_add_f64_e32 v[8:9], v[16:17], v[8:9]
	s_wait_dscnt 0x0
	s_delay_alu instid0(VALU_DEP_2) | instskip(NEXT) | instid1(VALU_DEP_2)
	v_add_f64_e32 v[14:15], v[6:7], v[10:11]
	v_add_f64_e32 v[16:17], v[8:9], v[12:13]
	s_set_vgpr_msb 1                        ;  msbs: dst=0 src0=1 src1=0 src2=0
	ds_load_b128 v[6:9], v11 /*v267*/ offset:64
	;; [unrolled: 11-line block ×3, first 2 shown]
	ds_load_b128 v[10:13], v11 /*v267*/ offset:112
	s_wait_dscnt 0x1
	s_set_vgpr_msb 0                        ;  msbs: dst=0 src0=0 src1=0 src2=0
	v_add_f64_e32 v[6:7], v[14:15], v[6:7]
	v_add_f64_e32 v[8:9], v[16:17], v[8:9]
	s_wait_dscnt 0x0
	s_delay_alu instid0(VALU_DEP_2) | instskip(NEXT) | instid1(VALU_DEP_2)
	v_add_f64_e32 v[6:7], v[6:7], v[10:11]
	v_add_f64_e32 v[8:9], v[8:9], v[12:13]
.LBB123_73:                             ;   in Loop: Header=BB123_4 Depth=1
	s_or_b32 exec_lo, exec_lo, s18
	s_mul_u64 s[18:19], s[24:25], s[34:35]
	s_and_not1_b32 vcc_lo, exec_lo, s45
	s_lshl_b64 s[18:19], s[18:19], 4
	s_delay_alu instid0(SALU_CYCLE_1)
	s_add_nc_u64 s[18:19], s[30:31], s[18:19]
	s_barrier_signal -1
	s_barrier_wait -1
	s_cbranch_vccnz .LBB123_131
; %bb.74:                               ;   in Loop: Header=BB123_4 Depth=1
	v_add_nc_u64_e32 v[220:221], v[4:5], v[0:1]
	v_add_nc_u64_e32 v[222:223], v[4:5], v[214:215]
	;; [unrolled: 1-line block ×18, first 2 shown]
	s_set_vgpr_msb 64                       ;  msbs: dst=1 src0=0 src1=0 src2=0
	v_add_nc_u64_e32 v[0:1] /*v[256:257]*/, v[4:5], v[196:197]
	v_add_nc_u64_e32 v[2:3] /*v[258:259]*/, v[4:5], v[198:199]
	v_lshl_add_u64 v[4:5] /*v[260:261]*/, s[54:55], 4, v[42:43]
	s_set_vgpr_msb 1                        ;  msbs: dst=0 src0=1 src1=0 src2=0
	v_mov_b32_e32 v213, v54 /*v310*/
	s_mov_b32 s66, s73
	s_mov_b32 s74, s46
	s_delay_alu instid0(SALU_CYCLE_1)
	s_cmp_eq_u32 s47, s74
	s_cselect_b32 s75, s68, 0
	s_and_saveexec_b32 s76, s0
	s_set_vgpr_msb 0                        ;  msbs: dst=0 src0=0 src1=0 src2=0
	s_cbranch_execz .LBB123_79
.LBB123_75:                             ;   in Loop: Header=BB123_4 Depth=1
	s_set_vgpr_msb 4                        ;  msbs: dst=0 src0=0 src1=1 src2=0
	v_cmp_le_i32_e32 vcc_lo, s75, v6 /*v262*/
	s_cmp_lg_u32 s75, 0
	s_cselect_b32 s67, -1, 0
	s_delay_alu instid0(SALU_CYCLE_1) | instskip(NEXT) | instid1(SALU_CYCLE_1)
	s_and_b32 s67, s67, vcc_lo
	s_and_saveexec_b32 s77, s67
	s_delay_alu instid0(SALU_CYCLE_1)
	s_xor_b32 s67, exec_lo, s77
; %bb.76:                               ;   in Loop: Header=BB123_4 Depth=1
	v_dual_mov_b32 v3, v2 :: v_dual_mov_b32 v4, v2
	v_mov_b32_e32 v5, v2
	s_set_vgpr_msb 1                        ;  msbs: dst=0 src0=1 src1=0 src2=0
	ds_store_b128 v38 /*v294*/, v[2:5]
; %bb.77:                               ;   in Loop: Header=BB123_4 Depth=1
	s_and_not1_saveexec_b32 s67, s67
	s_set_vgpr_msb 0                        ;  msbs: dst=0 src0=0 src1=0 src2=0
	s_cbranch_execz .LBB123_79
; %bb.78:                               ;   in Loop: Header=BB123_4 Depth=1
	s_ashr_i32 s67, s66, 31
	s_set_vgpr_msb 16                       ;  msbs: dst=0 src0=0 src1=0 src2=1
	v_lshl_add_u64 v[4:5], s[66:67], 4, v[4:5] /*v[260:261]*/
	global_load_b128 v[10:13], v[4:5], off
	s_wait_loadcnt 0x0
	s_set_vgpr_msb 1                        ;  msbs: dst=0 src0=1 src1=0 src2=0
	ds_store_2addr_b64 v38 /*v294*/, v[10:11], v[12:13] offset1:1
.LBB123_79:                             ;   Parent Loop BB123_4 Depth=1
                                        ; =>  This Inner Loop Header: Depth=2
	s_wait_xcnt 0x0
	s_or_b32 exec_lo, exec_lo, s76
	s_cmp_eq_u32 s75, 0
	s_set_vgpr_msb 0                        ;  msbs: dst=0 src0=0 src1=0 src2=0
	v_add_nc_u64_e32 v[4:5], v[220:221], v[176:177]
	s_cselect_b32 s67, -1, 0
	s_cmp_lg_u32 s75, 0
	s_wait_dscnt 0x0
	s_cselect_b32 s76, -1, 0
	s_barrier_signal -1
	s_and_b32 vcc_lo, exec_lo, s76
	s_barrier_wait -1
	s_cbranch_vccz .LBB123_87
; %bb.80:                               ;   in Loop: Header=BB123_79 Depth=2
	v_mov_b64_e32 v[10:11], 0
	v_mov_b64_e32 v[14:15], 0
	;; [unrolled: 1-line block ×3, first 2 shown]
	s_mov_b32 s77, exec_lo
	s_set_vgpr_msb 4                        ;  msbs: dst=0 src0=0 src1=1 src2=0
	v_cmpx_gt_i32_e64 s75, v15 /*v271*/
	s_set_vgpr_msb 0                        ;  msbs: dst=0 src0=0 src1=0 src2=0
	s_cbranch_execz .LBB123_82
; %bb.81:                               ;   in Loop: Header=BB123_79 Depth=2
	global_load_b128 v[14:17], v[4:5], off offset:-8
.LBB123_82:                             ;   in Loop: Header=BB123_79 Depth=2
	s_wait_xcnt 0x0
	s_or_b32 exec_lo, exec_lo, s77
	v_mov_b64_e32 v[12:13], 0
	s_mov_b32 s77, exec_lo
	s_set_vgpr_msb 4                        ;  msbs: dst=0 src0=0 src1=1 src2=0
	v_cmpx_gt_i32_e64 s75, v39 /*v295*/
	s_set_vgpr_msb 0                        ;  msbs: dst=0 src0=0 src1=0 src2=0
	s_cbranch_execz .LBB123_84
; %bb.83:                               ;   in Loop: Header=BB123_79 Depth=2
	v_add_nc_u64_e32 v[10:11], v[228:229], v[176:177]
	global_load_b128 v[10:13], v[10:11], off offset:-8
.LBB123_84:                             ;   in Loop: Header=BB123_79 Depth=2
	s_wait_xcnt 0x0
	s_or_b32 exec_lo, exec_lo, s77
	v_mov_b64_e32 v[18:19], 0
	v_mov_b64_e32 v[20:21], 0
	s_mov_b32 s77, exec_lo
	s_set_vgpr_msb 4                        ;  msbs: dst=0 src0=0 src1=1 src2=0
	v_cmpx_gt_i32_e64 s75, v40 /*v296*/
	s_set_vgpr_msb 0                        ;  msbs: dst=0 src0=0 src1=0 src2=0
	s_cbranch_execz .LBB123_86
; %bb.85:                               ;   in Loop: Header=BB123_79 Depth=2
	v_add_nc_u64_e32 v[18:19], v[232:233], v[176:177]
	global_load_b128 v[18:21], v[18:19], off offset:-8
.LBB123_86:                             ;   in Loop: Header=BB123_79 Depth=2
	s_wait_xcnt 0x0
	s_or_b32 exec_lo, exec_lo, s77
	s_set_vgpr_msb 4                        ;  msbs: dst=0 src0=0 src1=1 src2=0
	v_cmp_gt_i32_e64 s77, s75, v41 /*v297*/
	s_set_vgpr_msb 0                        ;  msbs: dst=0 src0=0 src1=0 src2=0
	s_branch .LBB123_89
.LBB123_87:                             ;   in Loop: Header=BB123_79 Depth=2
	s_mov_b32 s77, 0
                                        ; implicit-def: $vgpr20_vgpr21
                                        ; implicit-def: $vgpr12_vgpr13
                                        ; implicit-def: $vgpr16_vgpr17
	s_cbranch_execz .LBB123_89
; %bb.88:                               ;   in Loop: Header=BB123_79 Depth=2
	s_wait_loadcnt 0x0
	v_add_nc_u64_e32 v[10:11], v[228:229], v[176:177]
	v_add_nc_u64_e32 v[18:19], v[224:225], v[176:177]
	s_or_b32 s77, s77, exec_lo
	global_load_b128 v[14:17], v[4:5], off offset:-8
	global_load_b128 v[10:13], v[10:11], off offset:-8
	global_load_b128 v[18:21], v[18:19], off
.LBB123_89:                             ;   in Loop: Header=BB123_79 Depth=2
	v_mov_b64_e32 v[22:23], 0
	v_mov_b64_e32 v[24:25], 0
	s_wait_xcnt 0x0
	s_and_saveexec_b32 s78, s77
	s_cbranch_execz .LBB123_91
; %bb.90:                               ;   in Loop: Header=BB123_79 Depth=2
	v_add_nc_u64_e32 v[4:5], v[236:237], v[176:177]
	global_load_b128 v[22:25], v[4:5], off offset:-8
.LBB123_91:                             ;   in Loop: Header=BB123_79 Depth=2
	s_wait_xcnt 0x0
	s_or_b32 exec_lo, exec_lo, s78
	s_set_vgpr_msb 1                        ;  msbs: dst=0 src0=1 src1=0 src2=0
	ds_load_b128 v[30:33], v26 /*v282*/
	ds_load_b128 v[26:29], v18 /*v274*/
	v_cndmask_b32_e64 v3, 0, 1, s76
	s_and_not1_b32 vcc_lo, exec_lo, s76
	s_wait_loadcnt_dscnt 0x1
	s_set_vgpr_msb 0                        ;  msbs: dst=0 src0=0 src1=0 src2=0
	v_mul_f64_e32 v[4:5], v[16:17], v[32:33]
	v_mul_f64_e32 v[44:45], v[14:15], v[32:33]
	;; [unrolled: 1-line block ×8, first 2 shown]
	v_fma_f64 v[42:43], v[14:15], v[30:31], -v[4:5]
	v_fmac_f64_e32 v[44:45], v[16:17], v[30:31]
	v_fma_f64 v[46:47], v[10:11], v[30:31], -v[34:35]
	v_fmac_f64_e32 v[48:49], v[12:13], v[30:31]
	v_fma_f64 v[50:51], v[18:19], v[30:31], -v[36:37]
	v_fmac_f64_e32 v[52:53], v[20:21], v[30:31]
	v_fma_f64 v[54:55], v[22:23], v[30:31], -v[38:39]
	v_fmac_f64_e32 v[56:57], v[24:25], v[30:31]
	s_set_vgpr_msb 1                        ;  msbs: dst=0 src0=1 src1=0 src2=0
	ds_load_b128 v[38:41], v18 /*v274*/ offset:16
	ds_load_b128 v[34:37], v18 /*v274*/ offset:32
	;; [unrolled: 1-line block ×3, first 2 shown]
	s_set_vgpr_msb 0                        ;  msbs: dst=0 src0=0 src1=0 src2=0
	v_add_nc_u64_e32 v[4:5], v[240:241], v[176:177]
	s_set_vgpr_msb 1                        ;  msbs: dst=0 src0=1 src1=0 src2=0
	ds_store_b128 v19 /*v275*/, v[42:45]
	ds_store_b128 v19 /*v275*/, v[46:49] offset:1072
	ds_store_b128 v19 /*v275*/, v[50:53] offset:2144
	;; [unrolled: 1-line block ×3, first 2 shown]
	s_wait_dscnt 0x0
	s_barrier_signal -1
	s_barrier_wait -1
	ds_load_b128 v[130:133], v20 /*v276*/
	ds_load_b128 v[126:129], v20 /*v276*/ offset:16
	ds_load_b128 v[122:125], v20 /*v276*/ offset:32
	;; [unrolled: 1-line block ×3, first 2 shown]
	s_wait_dscnt 0x0
	s_barrier_signal -1
	s_barrier_wait -1
	s_set_vgpr_msb 0                        ;  msbs: dst=0 src0=0 src1=0 src2=0
	s_cbranch_vccnz .LBB123_99
; %bb.92:                               ;   in Loop: Header=BB123_79 Depth=2
	v_mov_b64_e32 v[42:43], 0
	v_mov_b64_e32 v[46:47], 0
	;; [unrolled: 1-line block ×3, first 2 shown]
	s_mov_b32 s76, exec_lo
	s_set_vgpr_msb 4                        ;  msbs: dst=0 src0=0 src1=1 src2=0
	v_cmpx_gt_i32_e64 s75, v42 /*v298*/
	s_set_vgpr_msb 0                        ;  msbs: dst=0 src0=0 src1=0 src2=0
	s_cbranch_execz .LBB123_94
; %bb.93:                               ;   in Loop: Header=BB123_79 Depth=2
	global_load_b128 v[46:49], v[4:5], off offset:-8
.LBB123_94:                             ;   in Loop: Header=BB123_79 Depth=2
	s_wait_xcnt 0x0
	s_or_b32 exec_lo, exec_lo, s76
	v_mov_b64_e32 v[44:45], 0
	s_mov_b32 s76, exec_lo
	s_set_vgpr_msb 4                        ;  msbs: dst=0 src0=0 src1=1 src2=0
	v_cmpx_gt_i32_e64 s75, v43 /*v299*/
	s_set_vgpr_msb 0                        ;  msbs: dst=0 src0=0 src1=0 src2=0
	s_cbranch_execz .LBB123_96
; %bb.95:                               ;   in Loop: Header=BB123_79 Depth=2
	v_add_nc_u64_e32 v[42:43], v[244:245], v[176:177]
	global_load_b128 v[42:45], v[42:43], off offset:-8
.LBB123_96:                             ;   in Loop: Header=BB123_79 Depth=2
	s_wait_xcnt 0x0
	s_or_b32 exec_lo, exec_lo, s76
	v_mov_b64_e32 v[50:51], 0
	v_mov_b64_e32 v[52:53], 0
	s_mov_b32 s76, exec_lo
	s_set_vgpr_msb 4                        ;  msbs: dst=0 src0=0 src1=1 src2=0
	v_cmpx_gt_i32_e64 s75, v44 /*v300*/
	s_set_vgpr_msb 0                        ;  msbs: dst=0 src0=0 src1=0 src2=0
	s_cbranch_execz .LBB123_98
; %bb.97:                               ;   in Loop: Header=BB123_79 Depth=2
	v_add_nc_u64_e32 v[50:51], v[248:249], v[176:177]
	global_load_b128 v[50:53], v[50:51], off offset:-8
.LBB123_98:                             ;   in Loop: Header=BB123_79 Depth=2
	s_wait_xcnt 0x0
	s_or_b32 exec_lo, exec_lo, s76
	s_set_vgpr_msb 4                        ;  msbs: dst=0 src0=0 src1=1 src2=0
	v_cmp_gt_i32_e64 s76, s75, v45 /*v301*/
	s_set_vgpr_msb 0                        ;  msbs: dst=0 src0=0 src1=0 src2=0
	s_branch .LBB123_101
.LBB123_99:                             ;   in Loop: Header=BB123_79 Depth=2
	s_mov_b32 s76, 0
                                        ; implicit-def: $vgpr52_vgpr53
                                        ; implicit-def: $vgpr44_vgpr45
                                        ; implicit-def: $vgpr48_vgpr49
	s_cbranch_execz .LBB123_101
; %bb.100:                              ;   in Loop: Header=BB123_79 Depth=2
	s_wait_loadcnt 0x0
	v_add_nc_u64_e32 v[42:43], v[244:245], v[176:177]
	v_add_nc_u64_e32 v[50:51], v[252:253], v[176:177]
	s_or_b32 s76, s76, exec_lo
	global_load_b128 v[46:49], v[4:5], off offset:-8
	global_load_b128 v[42:45], v[42:43], off offset:-8
	global_load_b128 v[50:53], v[50:51], off
.LBB123_101:                            ;   in Loop: Header=BB123_79 Depth=2
	v_mov_b64_e32 v[54:55], 0
	v_mov_b64_e32 v[56:57], 0
	s_wait_xcnt 0x0
	s_and_saveexec_b32 s77, s76
	s_cbranch_execz .LBB123_103
; %bb.102:                              ;   in Loop: Header=BB123_79 Depth=2
	s_set_vgpr_msb 1                        ;  msbs: dst=0 src0=1 src1=0 src2=0
	v_add_nc_u64_e32 v[4:5], v[0:1] /*v[256:257]*/, v[176:177]
	s_set_vgpr_msb 0                        ;  msbs: dst=0 src0=0 src1=0 src2=0
	global_load_b128 v[54:57], v[4:5], off offset:-8
.LBB123_103:                            ;   in Loop: Header=BB123_79 Depth=2
	s_wait_xcnt 0x0
	s_or_b32 exec_lo, exec_lo, s77
	s_set_vgpr_msb 1                        ;  msbs: dst=0 src0=1 src1=0 src2=0
	ds_load_b128 v[62:65], v26 /*v282*/
	ds_load_b128 v[58:61], v18 /*v274*/ offset:256
	v_cmp_ne_u32_e32 vcc_lo, 1, v3
	s_and_b32 vcc_lo, exec_lo, vcc_lo
	s_wait_loadcnt_dscnt 0x1
	s_set_vgpr_msb 0                        ;  msbs: dst=0 src0=0 src1=0 src2=0
	v_mul_f64_e32 v[4:5], v[48:49], v[64:65]
	v_mul_f64_e32 v[72:73], v[46:47], v[64:65]
	;; [unrolled: 1-line block ×8, first 2 shown]
	v_fma_f64 v[70:71], v[46:47], v[62:63], -v[4:5]
	v_fmac_f64_e32 v[72:73], v[48:49], v[62:63]
	v_fma_f64 v[78:79], v[42:43], v[62:63], -v[66:67]
	v_fmac_f64_e32 v[80:81], v[44:45], v[62:63]
	;; [unrolled: 2-line block ×4, first 2 shown]
	s_set_vgpr_msb 1                        ;  msbs: dst=0 src0=1 src1=0 src2=0
	ds_load_b128 v[74:77], v18 /*v274*/ offset:272
	ds_load_b128 v[66:69], v18 /*v274*/ offset:288
	;; [unrolled: 1-line block ×3, first 2 shown]
	v_add_nc_u64_e32 v[4:5], v[2:3] /*v[258:259]*/, v[176:177]
	ds_store_b128 v19 /*v275*/, v[70:73]
	ds_store_b128 v19 /*v275*/, v[78:81] offset:1072
	ds_store_b128 v19 /*v275*/, v[82:85] offset:2144
	;; [unrolled: 1-line block ×3, first 2 shown]
	s_wait_dscnt 0x0
	s_barrier_signal -1
	s_barrier_wait -1
	ds_load_b128 v[150:153], v20 /*v276*/
	ds_load_b128 v[146:149], v20 /*v276*/ offset:16
	ds_load_b128 v[142:145], v20 /*v276*/ offset:32
	;; [unrolled: 1-line block ×3, first 2 shown]
	s_wait_dscnt 0x0
	s_barrier_signal -1
	s_barrier_wait -1
	s_set_vgpr_msb 0                        ;  msbs: dst=0 src0=0 src1=0 src2=0
	s_cbranch_vccnz .LBB123_111
; %bb.104:                              ;   in Loop: Header=BB123_79 Depth=2
	v_mov_b64_e32 v[70:71], 0
	v_mov_b64_e32 v[78:79], 0
	;; [unrolled: 1-line block ×3, first 2 shown]
	s_mov_b32 s76, exec_lo
	s_set_vgpr_msb 4                        ;  msbs: dst=0 src0=0 src1=1 src2=0
	v_cmpx_gt_i32_e64 s75, v46 /*v302*/
	s_set_vgpr_msb 0                        ;  msbs: dst=0 src0=0 src1=0 src2=0
	s_cbranch_execz .LBB123_106
; %bb.105:                              ;   in Loop: Header=BB123_79 Depth=2
	global_load_b128 v[78:81], v[4:5], off offset:-8
.LBB123_106:                            ;   in Loop: Header=BB123_79 Depth=2
	s_wait_xcnt 0x0
	s_or_b32 exec_lo, exec_lo, s76
	v_mov_b64_e32 v[72:73], 0
	s_mov_b32 s76, exec_lo
	s_set_vgpr_msb 4                        ;  msbs: dst=0 src0=0 src1=1 src2=0
	v_cmpx_gt_i32_e64 s75, v47 /*v303*/
	s_set_vgpr_msb 0                        ;  msbs: dst=0 src0=0 src1=0 src2=0
	s_cbranch_execz .LBB123_108
; %bb.107:                              ;   in Loop: Header=BB123_79 Depth=2
	v_add_nc_u64_e32 v[70:71], v[254:255], v[176:177]
	global_load_b128 v[70:73], v[70:71], off
.LBB123_108:                            ;   in Loop: Header=BB123_79 Depth=2
	s_wait_xcnt 0x0
	s_or_b32 exec_lo, exec_lo, s76
	v_mov_b64_e32 v[82:83], 0
	v_mov_b64_e32 v[84:85], 0
	s_mov_b32 s76, exec_lo
	s_set_vgpr_msb 4                        ;  msbs: dst=0 src0=0 src1=1 src2=0
	v_cmpx_gt_i32_e64 s75, v48 /*v304*/
	s_set_vgpr_msb 0                        ;  msbs: dst=0 src0=0 src1=0 src2=0
	s_cbranch_execz .LBB123_110
; %bb.109:                              ;   in Loop: Header=BB123_79 Depth=2
	v_add_nc_u64_e32 v[82:83], v[250:251], v[176:177]
	global_load_b128 v[82:85], v[82:83], off
.LBB123_110:                            ;   in Loop: Header=BB123_79 Depth=2
	s_wait_xcnt 0x0
	s_or_b32 exec_lo, exec_lo, s76
	s_set_vgpr_msb 4                        ;  msbs: dst=0 src0=0 src1=1 src2=0
	v_cmp_gt_i32_e64 s76, s75, v49 /*v305*/
	s_set_vgpr_msb 0                        ;  msbs: dst=0 src0=0 src1=0 src2=0
	s_branch .LBB123_113
.LBB123_111:                            ;   in Loop: Header=BB123_79 Depth=2
	s_mov_b32 s76, 0
                                        ; implicit-def: $vgpr84_vgpr85
                                        ; implicit-def: $vgpr72_vgpr73
                                        ; implicit-def: $vgpr80_vgpr81
	s_cbranch_execz .LBB123_113
; %bb.112:                              ;   in Loop: Header=BB123_79 Depth=2
	s_wait_loadcnt 0x0
	v_add_nc_u64_e32 v[70:71], v[254:255], v[176:177]
	v_add_nc_u64_e32 v[82:83], v[246:247], v[176:177]
	s_or_b32 s76, s76, exec_lo
	global_load_b128 v[78:81], v[4:5], off offset:-8
	global_load_b128 v[70:73], v[70:71], off
	global_load_b128 v[82:85], v[82:83], off offset:-8
.LBB123_113:                            ;   in Loop: Header=BB123_79 Depth=2
	v_mov_b64_e32 v[86:87], 0
	v_mov_b64_e32 v[88:89], 0
	s_wait_xcnt 0x0
	s_and_saveexec_b32 s77, s76
	s_cbranch_execz .LBB123_115
; %bb.114:                              ;   in Loop: Header=BB123_79 Depth=2
	v_add_nc_u64_e32 v[4:5], v[242:243], v[176:177]
	global_load_b128 v[86:89], v[4:5], off
.LBB123_115:                            ;   in Loop: Header=BB123_79 Depth=2
	s_wait_xcnt 0x0
	s_or_b32 exec_lo, exec_lo, s77
	s_set_vgpr_msb 1                        ;  msbs: dst=0 src0=1 src1=0 src2=0
	ds_load_b128 v[94:97], v26 /*v282*/
	ds_load_b128 v[90:93], v18 /*v274*/ offset:512
	v_cmp_ne_u32_e32 vcc_lo, 1, v3
	s_and_b32 vcc_lo, exec_lo, vcc_lo
	s_wait_loadcnt_dscnt 0x1
	s_set_vgpr_msb 0                        ;  msbs: dst=0 src0=0 src1=0 src2=0
	v_mul_f64_e32 v[4:5], v[80:81], v[96:97]
	v_mul_f64_e32 v[108:109], v[78:79], v[96:97]
	;; [unrolled: 1-line block ×8, first 2 shown]
	v_fma_f64 v[106:107], v[78:79], v[94:95], -v[4:5]
	v_fmac_f64_e32 v[108:109], v[80:81], v[94:95]
	v_fma_f64 v[110:111], v[70:71], v[94:95], -v[98:99]
	v_fmac_f64_e32 v[112:113], v[72:73], v[94:95]
	;; [unrolled: 2-line block ×4, first 2 shown]
	s_set_vgpr_msb 1                        ;  msbs: dst=0 src0=1 src1=0 src2=0
	ds_load_b128 v[102:105], v18 /*v274*/ offset:528
	ds_load_b128 v[98:101], v18 /*v274*/ offset:544
	;; [unrolled: 1-line block ×3, first 2 shown]
	s_set_vgpr_msb 0                        ;  msbs: dst=0 src0=0 src1=0 src2=0
	v_add_nc_u64_e32 v[4:5], v[238:239], v[176:177]
	s_set_vgpr_msb 1                        ;  msbs: dst=0 src0=1 src1=0 src2=0
	ds_store_b128 v19 /*v275*/, v[106:109]
	ds_store_b128 v19 /*v275*/, v[110:113] offset:1072
	ds_store_b128 v19 /*v275*/, v[114:117] offset:2144
	;; [unrolled: 1-line block ×3, first 2 shown]
	s_wait_dscnt 0x0
	s_barrier_signal -1
	s_barrier_wait -1
	ds_load_b128 v[166:169], v20 /*v276*/
	ds_load_b128 v[162:165], v20 /*v276*/ offset:16
	ds_load_b128 v[158:161], v20 /*v276*/ offset:32
	;; [unrolled: 1-line block ×3, first 2 shown]
	s_wait_dscnt 0x0
	s_barrier_signal -1
	s_barrier_wait -1
	s_set_vgpr_msb 0                        ;  msbs: dst=0 src0=0 src1=0 src2=0
	s_cbranch_vccnz .LBB123_123
; %bb.116:                              ;   in Loop: Header=BB123_79 Depth=2
	v_mov_b64_e32 v[106:107], 0
	v_mov_b64_e32 v[110:111], 0
	;; [unrolled: 1-line block ×3, first 2 shown]
	s_mov_b32 s76, exec_lo
	s_set_vgpr_msb 4                        ;  msbs: dst=0 src0=0 src1=1 src2=0
	v_cmpx_gt_i32_e64 s75, v50 /*v306*/
	s_set_vgpr_msb 0                        ;  msbs: dst=0 src0=0 src1=0 src2=0
	s_cbranch_execz .LBB123_118
; %bb.117:                              ;   in Loop: Header=BB123_79 Depth=2
	global_load_b128 v[110:113], v[4:5], off
.LBB123_118:                            ;   in Loop: Header=BB123_79 Depth=2
	s_wait_xcnt 0x0
	s_or_b32 exec_lo, exec_lo, s76
	v_mov_b64_e32 v[108:109], 0
	s_mov_b32 s76, exec_lo
	s_set_vgpr_msb 4                        ;  msbs: dst=0 src0=0 src1=1 src2=0
	v_cmpx_gt_i32_e64 s75, v51 /*v307*/
	s_set_vgpr_msb 0                        ;  msbs: dst=0 src0=0 src1=0 src2=0
	s_cbranch_execz .LBB123_120
; %bb.119:                              ;   in Loop: Header=BB123_79 Depth=2
	v_add_nc_u64_e32 v[106:107], v[234:235], v[176:177]
	global_load_b128 v[106:109], v[106:107], off
.LBB123_120:                            ;   in Loop: Header=BB123_79 Depth=2
	s_wait_xcnt 0x0
	s_or_b32 exec_lo, exec_lo, s76
	v_mov_b64_e32 v[114:115], 0
	v_mov_b64_e32 v[116:117], 0
	s_mov_b32 s76, exec_lo
	s_set_vgpr_msb 4                        ;  msbs: dst=0 src0=0 src1=1 src2=0
	v_cmpx_gt_i32_e64 s75, v52 /*v308*/
	s_set_vgpr_msb 0                        ;  msbs: dst=0 src0=0 src1=0 src2=0
	s_cbranch_execz .LBB123_122
; %bb.121:                              ;   in Loop: Header=BB123_79 Depth=2
	v_add_nc_u64_e32 v[114:115], v[230:231], v[176:177]
	global_load_b128 v[114:117], v[114:115], off
.LBB123_122:                            ;   in Loop: Header=BB123_79 Depth=2
	s_wait_xcnt 0x0
	s_or_b32 exec_lo, exec_lo, s76
	s_set_vgpr_msb 4                        ;  msbs: dst=0 src0=0 src1=1 src2=0
	v_cmp_gt_i32_e64 s76, s75, v53 /*v309*/
	s_set_vgpr_msb 0                        ;  msbs: dst=0 src0=0 src1=0 src2=0
	s_branch .LBB123_125
.LBB123_123:                            ;   in Loop: Header=BB123_79 Depth=2
	s_mov_b32 s76, 0
                                        ; implicit-def: $vgpr116_vgpr117
                                        ; implicit-def: $vgpr108_vgpr109
                                        ; implicit-def: $vgpr112_vgpr113
	s_cbranch_execz .LBB123_125
; %bb.124:                              ;   in Loop: Header=BB123_79 Depth=2
	s_wait_loadcnt 0x0
	v_add_nc_u64_e32 v[106:107], v[234:235], v[176:177]
	v_add_nc_u64_e32 v[114:115], v[226:227], v[176:177]
	s_or_b32 s76, s76, exec_lo
	global_load_b128 v[110:113], v[4:5], off
	global_load_b128 v[106:109], v[106:107], off
	global_load_b128 v[114:117], v[114:115], off offset:-8
.LBB123_125:                            ;   in Loop: Header=BB123_79 Depth=2
	v_mov_b64_e32 v[134:135], 0
	v_mov_b64_e32 v[136:137], 0
	s_wait_xcnt 0x0
	s_and_saveexec_b32 s77, s76
	s_cbranch_execz .LBB123_127
; %bb.126:                              ;   in Loop: Header=BB123_79 Depth=2
	v_add_nc_u64_e32 v[4:5], v[222:223], v[176:177]
	global_load_b128 v[134:137], v[4:5], off
.LBB123_127:                            ;   in Loop: Header=BB123_79 Depth=2
	s_wait_xcnt 0x0
	s_or_b32 exec_lo, exec_lo, s77
	v_add_f64_e32 v[4:5], 0, v[166:167]
	v_add_f64_e32 v[166:167], 0, v[168:169]
	s_set_vgpr_msb 4                        ;  msbs: dst=0 src0=0 src1=1 src2=0
	v_cmp_gt_i32_e32 vcc_lo, s75, v6 /*v262*/
	s_or_b32 s67, s67, vcc_lo
	s_delay_alu instid0(SALU_CYCLE_1) | instskip(SKIP_1) | instid1(VALU_DEP_3)
	s_and_b32 s75, s17, s67
	s_set_vgpr_msb 0                        ;  msbs: dst=0 src0=0 src1=0 src2=0
	v_add_f64_e32 v[4:5], v[4:5], v[162:163]
	s_delay_alu instid0(VALU_DEP_3) | instskip(NEXT) | instid1(VALU_DEP_2)
	v_add_f64_e32 v[162:163], v[166:167], v[164:165]
	v_add_f64_e32 v[4:5], v[4:5], v[158:159]
	s_delay_alu instid0(VALU_DEP_2) | instskip(NEXT) | instid1(VALU_DEP_2)
	v_add_f64_e32 v[158:159], v[162:163], v[160:161]
	v_add_f64_e32 v[154:155], v[4:5], v[154:155]
	;; [unrolled: 1-line block ×4, first 2 shown]
	s_delay_alu instid0(VALU_DEP_4) | instskip(NEXT) | instid1(VALU_DEP_3)
	v_add_f64_e32 v[156:157], v[158:159], v[156:157]
	v_add_f64_e32 v[4:5], v[4:5], v[146:147]
	s_delay_alu instid0(VALU_DEP_3) | instskip(NEXT) | instid1(VALU_DEP_2)
	v_add_f64_e32 v[146:147], v[150:151], v[148:149]
	v_add_f64_e32 v[4:5], v[4:5], v[142:143]
	s_delay_alu instid0(VALU_DEP_2) | instskip(NEXT) | instid1(VALU_DEP_2)
	v_add_f64_e32 v[142:143], v[146:147], v[144:145]
	v_add_f64_e32 v[138:139], v[4:5], v[138:139]
	;; [unrolled: 1-line block ×4, first 2 shown]
	s_delay_alu instid0(VALU_DEP_4) | instskip(NEXT) | instid1(VALU_DEP_3)
	v_add_f64_e32 v[140:141], v[142:143], v[140:141]
	v_add_f64_e32 v[4:5], v[4:5], v[126:127]
	s_delay_alu instid0(VALU_DEP_3) | instskip(NEXT) | instid1(VALU_DEP_2)
	v_add_f64_e32 v[126:127], v[130:131], v[128:129]
	v_add_f64_e32 v[4:5], v[4:5], v[122:123]
	s_delay_alu instid0(VALU_DEP_2) | instskip(NEXT) | instid1(VALU_DEP_2)
	v_add_f64_e32 v[122:123], v[126:127], v[124:125]
	v_add_f64_e32 v[142:143], v[4:5], v[118:119]
	s_delay_alu instid0(VALU_DEP_2)
	v_add_f64_e32 v[144:145], v[122:123], v[120:121]
	s_set_vgpr_msb 1                        ;  msbs: dst=0 src0=1 src1=0 src2=0
	ds_load_b128 v[146:149], v26 /*v282*/
	ds_load_b128 v[130:133], v18 /*v274*/ offset:768
	ds_load_b128 v[126:129], v18 /*v274*/ offset:784
	;; [unrolled: 1-line block ×4, first 2 shown]
	s_wait_loadcnt_dscnt 0x4
	s_set_vgpr_msb 0                        ;  msbs: dst=0 src0=0 src1=0 src2=0
	v_mul_f64_e32 v[4:5], v[112:113], v[148:149]
	v_mul_f64_e32 v[152:153], v[110:111], v[148:149]
	s_delay_alu instid0(VALU_DEP_2) | instskip(NEXT) | instid1(VALU_DEP_2)
	v_fma_f64 v[150:151], v[110:111], v[146:147], -v[4:5]
	v_fmac_f64_e32 v[152:153], v[112:113], v[146:147]
	v_mul_f64_e32 v[4:5], v[108:109], v[148:149]
	s_set_vgpr_msb 1                        ;  msbs: dst=0 src0=1 src1=0 src2=0
	ds_store_b128 v19 /*v275*/, v[150:153]
	s_set_vgpr_msb 0                        ;  msbs: dst=0 src0=0 src1=0 src2=0
	v_mul_f64_e32 v[152:153], v[106:107], v[148:149]
	v_fma_f64 v[150:151], v[106:107], v[146:147], -v[4:5]
	v_mul_f64_e32 v[4:5], v[116:117], v[148:149]
	s_delay_alu instid0(VALU_DEP_3)
	v_fmac_f64_e32 v[152:153], v[108:109], v[146:147]
	s_set_vgpr_msb 1                        ;  msbs: dst=0 src0=1 src1=0 src2=0
	ds_store_b128 v19 /*v275*/, v[150:153] offset:1072
	s_set_vgpr_msb 0                        ;  msbs: dst=0 src0=0 src1=0 src2=0
	v_mul_f64_e32 v[152:153], v[114:115], v[148:149]
	v_fma_f64 v[150:151], v[114:115], v[146:147], -v[4:5]
	v_mul_f64_e32 v[4:5], v[136:137], v[148:149]
	s_delay_alu instid0(VALU_DEP_3)
	v_fmac_f64_e32 v[152:153], v[116:117], v[146:147]
	s_set_vgpr_msb 1                        ;  msbs: dst=0 src0=1 src1=0 src2=0
	ds_store_b128 v19 /*v275*/, v[150:153] offset:2144
	s_set_vgpr_msb 0                        ;  msbs: dst=0 src0=0 src1=0 src2=0
	v_mul_f64_e32 v[152:153], v[134:135], v[148:149]
	v_fma_f64 v[150:151], v[134:135], v[146:147], -v[4:5]
	s_delay_alu instid0(VALU_DEP_2)
	v_fmac_f64_e32 v[152:153], v[136:137], v[146:147]
	s_set_vgpr_msb 1                        ;  msbs: dst=0 src0=1 src1=0 src2=0
	ds_store_b128 v19 /*v275*/, v[150:153] offset:3216
	s_wait_dscnt 0x0
	s_barrier_signal -1
	s_barrier_wait -1
	ds_load_b128 v[146:149], v20 /*v276*/
	ds_load_b128 v[150:153], v20 /*v276*/ offset:16
	ds_load_b128 v[158:161], v20 /*v276*/ offset:32
	ds_load_b128 v[162:165], v20 /*v276*/ offset:48
	s_wait_dscnt 0x0
	s_barrier_signal -1
	s_barrier_wait -1
	v_add_f64_e32 v[4:5], 0, v[146:147]
	v_add_f64_e32 v[146:147], 0, v[148:149]
	s_set_vgpr_msb 0                        ;  msbs: dst=0 src0=0 src1=0 src2=0
	s_delay_alu instid0(VALU_DEP_2) | instskip(NEXT) | instid1(VALU_DEP_2)
	v_add_f64_e32 v[4:5], v[4:5], v[150:151]
	v_add_f64_e32 v[146:147], v[146:147], v[152:153]
	s_delay_alu instid0(VALU_DEP_2) | instskip(NEXT) | instid1(VALU_DEP_2)
	v_add_f64_e32 v[4:5], v[4:5], v[158:159]
	v_add_f64_e32 v[148:149], v[146:147], v[160:161]
	;; [unrolled: 3-line block ×3, first 2 shown]
	s_set_vgpr_msb 1                        ;  msbs: dst=0 src0=1 src1=0 src2=0
	ds_store_b128 v25 /*v281*/, v[142:145]
	ds_store_b128 v25 /*v281*/, v[138:141] offset:256
	ds_store_b128 v25 /*v281*/, v[154:157] offset:512
	;; [unrolled: 1-line block ×3, first 2 shown]
	s_wait_dscnt 0x0
	s_barrier_signal -1
	s_barrier_wait -1
	s_and_saveexec_b32 s67, s75
	s_set_vgpr_msb 0                        ;  msbs: dst=0 src0=0 src1=0 src2=0
	s_cbranch_execz .LBB123_129
; %bb.128:                              ;   in Loop: Header=BB123_79 Depth=2
	s_set_vgpr_msb 1                        ;  msbs: dst=0 src0=1 src1=0 src2=0
	ds_load_b128 v[138:141], v21 /*v277*/
	ds_load_b128 v[142:145], v21 /*v277*/ offset:16
	s_wait_dscnt 0x0
	s_set_vgpr_msb 0                        ;  msbs: dst=0 src0=0 src1=0 src2=0
	v_add_f64_e32 v[4:5], v[142:143], v[138:139]
	v_add_f64_e32 v[146:147], v[144:145], v[140:141]
	s_set_vgpr_msb 1                        ;  msbs: dst=0 src0=1 src1=0 src2=0
	ds_load_b128 v[138:141], v21 /*v277*/ offset:32
	ds_load_b128 v[142:145], v21 /*v277*/ offset:48
	s_wait_dscnt 0x1
	s_set_vgpr_msb 0                        ;  msbs: dst=0 src0=0 src1=0 src2=0
	v_add_f64_e32 v[4:5], v[4:5], v[138:139]
	v_add_f64_e32 v[138:139], v[146:147], v[140:141]
	s_wait_dscnt 0x0
	s_delay_alu instid0(VALU_DEP_2) | instskip(NEXT) | instid1(VALU_DEP_2)
	v_add_f64_e32 v[4:5], v[4:5], v[142:143]
	v_add_f64_e32 v[146:147], v[138:139], v[144:145]
	s_set_vgpr_msb 1                        ;  msbs: dst=0 src0=1 src1=0 src2=0
	ds_load_b128 v[138:141], v21 /*v277*/ offset:64
	ds_load_b128 v[142:145], v21 /*v277*/ offset:80
	s_wait_dscnt 0x1
	s_set_vgpr_msb 0                        ;  msbs: dst=0 src0=0 src1=0 src2=0
	v_add_f64_e32 v[4:5], v[4:5], v[138:139]
	v_add_f64_e32 v[138:139], v[146:147], v[140:141]
	s_wait_dscnt 0x0
	s_delay_alu instid0(VALU_DEP_2) | instskip(NEXT) | instid1(VALU_DEP_2)
	;; [unrolled: 11-line block ×6, first 2 shown]
	v_add_f64_e32 v[4:5], v[4:5], v[142:143]
	v_add_f64_e32 v[146:147], v[138:139], v[144:145]
	s_set_vgpr_msb 1                        ;  msbs: dst=0 src0=1 src1=0 src2=0
	ds_load_b128 v[138:141], v21 /*v277*/ offset:224
	ds_load_b128 v[142:145], v22 /*v278*/
	s_wait_dscnt 0x1
	s_set_vgpr_msb 0                        ;  msbs: dst=0 src0=0 src1=0 src2=0
	v_add_f64_e32 v[4:5], v[4:5], v[138:139]
	v_add_f64_e32 v[140:141], v[146:147], v[140:141]
	s_wait_dscnt 0x0
	s_delay_alu instid0(VALU_DEP_2) | instskip(NEXT) | instid1(VALU_DEP_2)
	v_add_f64_e32 v[138:139], v[4:5], v[142:143]
	v_add_f64_e32 v[140:141], v[140:141], v[144:145]
	global_store_b128 v213, v[138:141], s[18:19] scale_offset
.LBB123_129:                            ;   in Loop: Header=BB123_79 Depth=2
	s_wait_xcnt 0x0
	s_or_b32 exec_lo, exec_lo, s67
	v_mul_f64_e32 v[4:5], v[16:17], v[28:29]
	v_mul_f64_e32 v[28:29], v[14:15], v[28:29]
	v_mul_f64_e32 v[138:139], v[12:13], v[40:41]
	v_mul_f64_e32 v[40:41], v[10:11], v[40:41]
	v_add_nc_u64_e32 v[220:221], s[64:65], v[220:221]
	v_add_nc_u64_e32 v[222:223], s[64:65], v[222:223]
	;; [unrolled: 1-line block ×18, first 2 shown]
	s_set_vgpr_msb 0x44                     ;  msbs: dst=1 src0=0 src1=1 src2=0
	v_add_nc_u64_e32 v[0:1] /*v[256:257]*/, s[64:65], v[0:1] /*v[256:257]*/
	v_add_nc_u64_e32 v[2:3] /*v[258:259]*/, s[64:65], v[2:3] /*v[258:259]*/
	s_add_co_i32 s67, s74, 1
	s_add_co_i32 s74, s74, 2
	;; [unrolled: 1-line block ×3, first 2 shown]
	s_cmp_ge_u32 s74, s44
	s_wait_storecnt 0x0
	s_barrier_signal -1
	s_barrier_wait -1
	s_set_vgpr_msb 0                        ;  msbs: dst=0 src0=0 src1=0 src2=0
	v_dual_fma_f64 v[4:5], v[14:15], v[26:27], -v[4:5] :: v_dual_add_nc_u32 v213, 64, v213
	v_fmac_f64_e32 v[28:29], v[16:17], v[26:27]
	v_mul_f64_e32 v[14:15], v[20:21], v[36:37]
	v_mul_f64_e32 v[16:17], v[18:19], v[36:37]
	v_fma_f64 v[10:11], v[10:11], v[38:39], -v[138:139]
	v_fmac_f64_e32 v[40:41], v[12:13], v[38:39]
	v_mul_f64_e32 v[12:13], v[22:23], v[32:33]
	v_add_f64_e32 v[4:5], v[6:7], v[4:5]
	v_add_f64_e32 v[6:7], v[8:9], v[28:29]
	v_mul_f64_e32 v[8:9], v[24:25], v[32:33]
	v_fma_f64 v[14:15], v[18:19], v[34:35], -v[14:15]
	v_fmac_f64_e32 v[16:17], v[20:21], v[34:35]
	v_mul_f64_e32 v[18:19], v[46:47], v[60:61]
	v_fmac_f64_e32 v[12:13], v[24:25], v[30:31]
	v_add_f64_e32 v[4:5], v[4:5], v[10:11]
	v_mul_f64_e32 v[10:11], v[48:49], v[60:61]
	v_add_f64_e32 v[6:7], v[6:7], v[40:41]
	v_fma_f64 v[8:9], v[22:23], v[30:31], -v[8:9]
	v_fmac_f64_e32 v[18:19], v[48:49], v[58:59]
	v_add_f64_e32 v[4:5], v[4:5], v[14:15]
	v_mul_f64_e32 v[14:15], v[44:45], v[76:77]
	v_add_f64_e32 v[6:7], v[6:7], v[16:17]
	v_mul_f64_e32 v[16:17], v[42:43], v[76:77]
	v_fma_f64 v[10:11], v[46:47], v[58:59], -v[10:11]
	v_add_f64_e32 v[4:5], v[4:5], v[8:9]
	v_mul_f64_e32 v[8:9], v[52:53], v[68:69]
	v_add_f64_e32 v[6:7], v[6:7], v[12:13]
	v_mul_f64_e32 v[12:13], v[50:51], v[68:69]
	v_fma_f64 v[14:15], v[42:43], v[74:75], -v[14:15]
	v_fmac_f64_e32 v[16:17], v[44:45], v[74:75]
	v_add_f64_e32 v[4:5], v[4:5], v[10:11]
	v_mul_f64_e32 v[10:11], v[56:57], v[64:65]
	v_add_f64_e32 v[6:7], v[6:7], v[18:19]
	v_mul_f64_e32 v[18:19], v[54:55], v[64:65]
	v_fma_f64 v[8:9], v[50:51], v[66:67], -v[8:9]
	v_fmac_f64_e32 v[12:13], v[52:53], v[66:67]
	;; [unrolled: 6-line block ×10, first 2 shown]
	v_add_f64_e32 v[4:5], v[4:5], v[10:11]
	v_fma_f64 v[8:9], v[134:135], v[118:119], -v[8:9]
	v_add_f64_e32 v[6:7], v[6:7], v[18:19]
	v_fmac_f64_e32 v[12:13], v[136:137], v[118:119]
	s_delay_alu instid0(VALU_DEP_4) | instskip(NEXT) | instid1(VALU_DEP_3)
	v_add_f64_e32 v[4:5], v[4:5], v[14:15]
	v_add_f64_e32 v[10:11], v[6:7], v[16:17]
	s_delay_alu instid0(VALU_DEP_2) | instskip(NEXT) | instid1(VALU_DEP_2)
	v_add_f64_e32 v[6:7], v[4:5], v[8:9]
	v_add_f64_e32 v[8:9], v[10:11], v[12:13]
	s_cbranch_scc1 .LBB123_131
; %bb.130:                              ;   in Loop: Header=BB123_79 Depth=2
	s_mov_b32 s74, s67
	s_delay_alu instid0(SALU_CYCLE_1)
	s_cmp_eq_u32 s47, s74
	s_cselect_b32 s75, s68, 0
	s_and_saveexec_b32 s76, s0
	s_cbranch_execnz .LBB123_75
	s_branch .LBB123_79
.LBB123_131:                            ;   in Loop: Header=BB123_4 Depth=1
	s_set_vgpr_msb 1                        ;  msbs: dst=0 src0=1 src1=0 src2=0
	ds_store_b128 v23 /*v279*/, v[6:9]
	s_wait_dscnt 0x0
	s_barrier_signal -1
	s_barrier_wait -1
	s_and_saveexec_b32 s66, s72
	s_set_vgpr_msb 0                        ;  msbs: dst=0 src0=0 src1=0 src2=0
	s_cbranch_execz .LBB123_2
; %bb.132:                              ;   in Loop: Header=BB123_4 Depth=1
	s_set_vgpr_msb 1                        ;  msbs: dst=0 src0=1 src1=0 src2=0
	ds_load_b128 v[4:7], v7 /*v263*/ offset:1072
	ds_load_b128 v[8:11], v7 /*v263*/
	s_wait_dscnt 0x0
	s_set_vgpr_msb 0                        ;  msbs: dst=0 src0=0 src1=0 src2=0
	v_add_f64_e32 v[12:13], v[4:5], v[8:9]
	v_add_f64_e32 v[14:15], v[6:7], v[10:11]
	s_set_vgpr_msb 1                        ;  msbs: dst=0 src0=1 src1=0 src2=0
	ds_load_b128 v[4:7], v7 /*v263*/ offset:2144
	ds_load_b128 v[8:11], v7 /*v263*/ offset:3216
	s_wait_dscnt 0x1
	s_set_vgpr_msb 0                        ;  msbs: dst=0 src0=0 src1=0 src2=0
	v_add_f64_e32 v[4:5], v[12:13], v[4:5]
	v_add_f64_e32 v[6:7], v[14:15], v[6:7]
	s_wait_dscnt 0x0
	s_delay_alu instid0(VALU_DEP_2) | instskip(NEXT) | instid1(VALU_DEP_2)
	v_add_f64_e32 v[4:5], v[4:5], v[8:9]
	v_add_f64_e32 v[6:7], v[6:7], v[10:11]
	v_lshl_add_u64 v[8:9], v[170:171], 4, s[18:19]
	global_store_b128 v[8:9], v[4:7], off
	s_branch .LBB123_2
.LBB123_133:                            ;   in Loop: Header=BB123_4 Depth=1
	s_set_vgpr_msb 1                        ;  msbs: dst=0 src0=1 src1=0 src2=0
	ds_load_b128 v[6:9], v10 /*v266*/
	s_wait_dscnt 0x0
	ds_store_b128 v9 /*v265*/, v[6:9]
	s_or_b32 exec_lo, exec_lo, s18
	s_and_saveexec_b32 s18, s7
	s_set_vgpr_msb 0                        ;  msbs: dst=0 src0=0 src1=0 src2=0
	s_cbranch_execz .LBB123_29
.LBB123_134:                            ;   in Loop: Header=BB123_4 Depth=1
	s_set_vgpr_msb 1                        ;  msbs: dst=0 src0=1 src1=0 src2=0
	ds_load_b128 v[6:9], v12 /*v268*/
	s_wait_dscnt 0x0
	ds_store_b128 v30 /*v286*/, v[6:9]
	s_or_b32 exec_lo, exec_lo, s18
	s_and_saveexec_b32 s18, s8
	s_set_vgpr_msb 0                        ;  msbs: dst=0 src0=0 src1=0 src2=0
	s_cbranch_execz .LBB123_30
.LBB123_135:                            ;   in Loop: Header=BB123_4 Depth=1
	s_set_vgpr_msb 1                        ;  msbs: dst=0 src0=1 src1=0 src2=0
	ds_load_b128 v[6:9], v32 /*v288*/
	s_wait_dscnt 0x0
	ds_store_b128 v31 /*v287*/, v[6:9]
	s_or_b32 exec_lo, exec_lo, s18
	s_and_saveexec_b32 s18, s9
	s_set_vgpr_msb 0                        ;  msbs: dst=0 src0=0 src1=0 src2=0
	s_cbranch_execnz .LBB123_31
	s_branch .LBB123_32
.LBB123_136:                            ;   in Loop: Header=BB123_4 Depth=1
	s_set_vgpr_msb 1                        ;  msbs: dst=0 src0=1 src1=0 src2=0
	ds_load_b128 v[12:15], v10 /*v266*/
	s_wait_dscnt 0x0
	ds_store_b128 v16 /*v272*/, v[12:15]
	s_or_b32 exec_lo, exec_lo, s18
	s_and_saveexec_b32 s18, s7
	s_set_vgpr_msb 0                        ;  msbs: dst=0 src0=0 src1=0 src2=0
	s_cbranch_execz .LBB123_50
.LBB123_137:                            ;   in Loop: Header=BB123_4 Depth=1
	s_set_vgpr_msb 1                        ;  msbs: dst=0 src0=1 src1=0 src2=0
	ds_load_b128 v[12:15], v12 /*v268*/
	s_wait_dscnt 0x0
	ds_store_b128 v35 /*v291*/, v[12:15]
	s_or_b32 exec_lo, exec_lo, s18
	s_and_saveexec_b32 s18, s8
	s_set_vgpr_msb 0                        ;  msbs: dst=0 src0=0 src1=0 src2=0
	s_cbranch_execz .LBB123_51
.LBB123_138:                            ;   in Loop: Header=BB123_4 Depth=1
	s_set_vgpr_msb 1                        ;  msbs: dst=0 src0=1 src1=0 src2=0
	ds_load_b128 v[12:15], v32 /*v288*/
	s_wait_dscnt 0x0
	ds_store_b128 v36 /*v292*/, v[12:15]
	s_or_b32 exec_lo, exec_lo, s18
	s_and_saveexec_b32 s18, s9
	s_set_vgpr_msb 0                        ;  msbs: dst=0 src0=0 src1=0 src2=0
	s_cbranch_execnz .LBB123_52
	s_branch .LBB123_53
.LBB123_139:                            ;   in Loop: Header=BB123_4 Depth=1
	global_load_b128 v[10:13], v[8:9], off
	s_wait_loadcnt 0x0
	s_set_vgpr_msb 1                        ;  msbs: dst=0 src0=1 src1=0 src2=0
	ds_store_2addr_b64 v8 /*v264*/, v[10:11], v[12:13] offset1:1
	s_wait_xcnt 0x0
	s_or_b32 exec_lo, exec_lo, s18
	s_and_saveexec_b32 s18, s3
	s_delay_alu instid0(SALU_CYCLE_1)
	s_xor_b32 s18, exec_lo, s18
	s_set_vgpr_msb 0                        ;  msbs: dst=0 src0=0 src1=0 src2=0
	s_cbranch_execz .LBB123_18
.LBB123_140:                            ;   in Loop: Header=BB123_4 Depth=1
	v_dual_mov_b32 v3, v2 :: v_dual_mov_b32 v4, v2
	v_mov_b32_e32 v5, v2
	s_set_vgpr_msb 1                        ;  msbs: dst=0 src0=1 src1=0 src2=0
	ds_store_b128 v27 /*v283*/, v[2:5]
	s_and_not1_saveexec_b32 s18, s18
	s_set_vgpr_msb 0                        ;  msbs: dst=0 src0=0 src1=0 src2=0
	s_cbranch_execz .LBB123_19
.LBB123_141:                            ;   in Loop: Header=BB123_4 Depth=1
	v_lshl_add_u64 v[4:5], s[42:43], 4, v[8:9]
	global_load_b128 v[10:13], v[4:5], off
	s_wait_loadcnt 0x0
	s_set_vgpr_msb 1                        ;  msbs: dst=0 src0=1 src1=0 src2=0
	ds_store_2addr_b64 v27 /*v283*/, v[10:11], v[12:13] offset1:1
	s_wait_xcnt 0x0
	s_or_b32 exec_lo, exec_lo, s18
	s_and_saveexec_b32 s18, s4
	s_delay_alu instid0(SALU_CYCLE_1)
	s_xor_b32 s18, exec_lo, s18
	s_set_vgpr_msb 0                        ;  msbs: dst=0 src0=0 src1=0 src2=0
	s_cbranch_execz .LBB123_20
.LBB123_142:                            ;   in Loop: Header=BB123_4 Depth=1
	v_dual_mov_b32 v3, v2 :: v_dual_mov_b32 v4, v2
	v_mov_b32_e32 v5, v2
	s_set_vgpr_msb 1                        ;  msbs: dst=0 src0=1 src1=0 src2=0
	ds_store_b128 v28 /*v284*/, v[2:5]
	s_and_not1_saveexec_b32 s18, s18
	s_set_vgpr_msb 0                        ;  msbs: dst=0 src0=0 src1=0 src2=0
	s_cbranch_execz .LBB123_21
.LBB123_143:                            ;   in Loop: Header=BB123_4 Depth=1
	v_lshl_add_u64 v[4:5], s[48:49], 4, v[8:9]
	global_load_b128 v[10:13], v[4:5], off
	s_wait_loadcnt 0x0
	s_set_vgpr_msb 1                        ;  msbs: dst=0 src0=1 src1=0 src2=0
	ds_store_2addr_b64 v28 /*v284*/, v[10:11], v[12:13] offset1:1
	s_wait_xcnt 0x0
	s_or_b32 exec_lo, exec_lo, s18
	s_and_saveexec_b32 s18, s5
	s_delay_alu instid0(SALU_CYCLE_1)
	s_xor_b32 s18, exec_lo, s18
	s_set_vgpr_msb 0                        ;  msbs: dst=0 src0=0 src1=0 src2=0
	s_cbranch_execz .LBB123_22
.LBB123_144:                            ;   in Loop: Header=BB123_4 Depth=1
	v_dual_mov_b32 v3, v2 :: v_dual_mov_b32 v4, v2
	v_mov_b32_e32 v5, v2
	s_set_vgpr_msb 1                        ;  msbs: dst=0 src0=1 src1=0 src2=0
	ds_store_b128 v29 /*v285*/, v[2:5]
	s_and_not1_saveexec_b32 s18, s18
	s_set_vgpr_msb 0                        ;  msbs: dst=0 src0=0 src1=0 src2=0
	s_cbranch_execnz .LBB123_23
	s_branch .LBB123_24
.LBB123_145:                            ;   in Loop: Header=BB123_4 Depth=1
	global_load_b128 v[16:19], v[10:11], off
	s_wait_loadcnt 0x0
	s_set_vgpr_msb 1                        ;  msbs: dst=0 src0=1 src1=0 src2=0
	ds_store_2addr_b64 v8 /*v264*/, v[16:17], v[18:19] offset1:1
	s_wait_xcnt 0x0
	s_or_b32 exec_lo, exec_lo, s18
	s_and_saveexec_b32 s18, s13
	s_delay_alu instid0(SALU_CYCLE_1)
	s_xor_b32 s18, exec_lo, s18
	s_set_vgpr_msb 0                        ;  msbs: dst=0 src0=0 src1=0 src2=0
	s_cbranch_execz .LBB123_39
.LBB123_146:                            ;   in Loop: Header=BB123_4 Depth=1
	v_dual_mov_b32 v3, v2 :: v_dual_mov_b32 v4, v2
	v_mov_b32_e32 v5, v2
	s_set_vgpr_msb 1                        ;  msbs: dst=0 src0=1 src1=0 src2=0
	ds_store_b128 v27 /*v283*/, v[2:5]
	s_and_not1_saveexec_b32 s18, s18
	s_set_vgpr_msb 0                        ;  msbs: dst=0 src0=0 src1=0 src2=0
	s_cbranch_execz .LBB123_40
.LBB123_147:                            ;   in Loop: Header=BB123_4 Depth=1
	v_lshl_add_u64 v[4:5], s[42:43], 4, v[10:11]
	global_load_b128 v[16:19], v[4:5], off
	s_wait_loadcnt 0x0
	s_set_vgpr_msb 1                        ;  msbs: dst=0 src0=1 src1=0 src2=0
	ds_store_2addr_b64 v27 /*v283*/, v[16:17], v[18:19] offset1:1
	s_wait_xcnt 0x0
	s_or_b32 exec_lo, exec_lo, s18
	s_and_saveexec_b32 s18, s14
	s_delay_alu instid0(SALU_CYCLE_1)
	s_xor_b32 s18, exec_lo, s18
	s_set_vgpr_msb 0                        ;  msbs: dst=0 src0=0 src1=0 src2=0
	s_cbranch_execz .LBB123_41
.LBB123_148:                            ;   in Loop: Header=BB123_4 Depth=1
	v_dual_mov_b32 v3, v2 :: v_dual_mov_b32 v4, v2
	v_mov_b32_e32 v5, v2
	s_set_vgpr_msb 1                        ;  msbs: dst=0 src0=1 src1=0 src2=0
	ds_store_b128 v28 /*v284*/, v[2:5]
	s_and_not1_saveexec_b32 s18, s18
	s_set_vgpr_msb 0                        ;  msbs: dst=0 src0=0 src1=0 src2=0
	s_cbranch_execz .LBB123_42
.LBB123_149:                            ;   in Loop: Header=BB123_4 Depth=1
	v_lshl_add_u64 v[4:5], s[48:49], 4, v[10:11]
	global_load_b128 v[16:19], v[4:5], off
	s_wait_loadcnt 0x0
	s_set_vgpr_msb 1                        ;  msbs: dst=0 src0=1 src1=0 src2=0
	ds_store_2addr_b64 v28 /*v284*/, v[16:17], v[18:19] offset1:1
	s_wait_xcnt 0x0
	s_or_b32 exec_lo, exec_lo, s18
	s_and_saveexec_b32 s18, s15
	s_delay_alu instid0(SALU_CYCLE_1)
	s_xor_b32 s18, exec_lo, s18
	s_set_vgpr_msb 0                        ;  msbs: dst=0 src0=0 src1=0 src2=0
	s_cbranch_execz .LBB123_43
.LBB123_150:                            ;   in Loop: Header=BB123_4 Depth=1
	v_dual_mov_b32 v3, v2 :: v_dual_mov_b32 v4, v2
	v_mov_b32_e32 v5, v2
	s_set_vgpr_msb 1                        ;  msbs: dst=0 src0=1 src1=0 src2=0
	ds_store_b128 v29 /*v285*/, v[2:5]
	s_and_not1_saveexec_b32 s18, s18
	s_set_vgpr_msb 0                        ;  msbs: dst=0 src0=0 src1=0 src2=0
	s_cbranch_execnz .LBB123_44
	s_branch .LBB123_45
.LBB123_151:                            ;   in Loop: Header=BB123_4 Depth=1
	global_load_b128 v[16:19], v[14:15], off
	s_wait_loadcnt 0x0
	s_set_vgpr_msb 1                        ;  msbs: dst=0 src0=1 src1=0 src2=0
	ds_store_2addr_b64 v8 /*v264*/, v[16:17], v[18:19] offset1:1
	s_wait_xcnt 0x0
	s_or_b32 exec_lo, exec_lo, s18
	s_and_saveexec_b32 s18, s13
	s_delay_alu instid0(SALU_CYCLE_1)
	s_xor_b32 s18, exec_lo, s18
	s_set_vgpr_msb 0                        ;  msbs: dst=0 src0=0 src1=0 src2=0
	s_cbranch_execz .LBB123_60
.LBB123_152:                            ;   in Loop: Header=BB123_4 Depth=1
	v_dual_mov_b32 v3, v2 :: v_dual_mov_b32 v4, v2
	v_mov_b32_e32 v5, v2
	s_set_vgpr_msb 1                        ;  msbs: dst=0 src0=1 src1=0 src2=0
	ds_store_b128 v27 /*v283*/, v[2:5]
	s_and_not1_saveexec_b32 s18, s18
	s_set_vgpr_msb 0                        ;  msbs: dst=0 src0=0 src1=0 src2=0
	s_cbranch_execz .LBB123_61
.LBB123_153:                            ;   in Loop: Header=BB123_4 Depth=1
	v_lshl_add_u64 v[4:5], s[42:43], 4, v[14:15]
	global_load_b128 v[16:19], v[4:5], off
	s_wait_loadcnt 0x0
	s_set_vgpr_msb 1                        ;  msbs: dst=0 src0=1 src1=0 src2=0
	ds_store_2addr_b64 v27 /*v283*/, v[16:17], v[18:19] offset1:1
	s_wait_xcnt 0x0
	s_or_b32 exec_lo, exec_lo, s18
	s_and_saveexec_b32 s18, s14
	s_delay_alu instid0(SALU_CYCLE_1)
	s_xor_b32 s18, exec_lo, s18
	s_set_vgpr_msb 0                        ;  msbs: dst=0 src0=0 src1=0 src2=0
	s_cbranch_execz .LBB123_62
.LBB123_154:                            ;   in Loop: Header=BB123_4 Depth=1
	v_dual_mov_b32 v3, v2 :: v_dual_mov_b32 v4, v2
	v_mov_b32_e32 v5, v2
	s_set_vgpr_msb 1                        ;  msbs: dst=0 src0=1 src1=0 src2=0
	ds_store_b128 v28 /*v284*/, v[2:5]
	s_and_not1_saveexec_b32 s18, s18
	s_set_vgpr_msb 0                        ;  msbs: dst=0 src0=0 src1=0 src2=0
	s_cbranch_execz .LBB123_63
.LBB123_155:                            ;   in Loop: Header=BB123_4 Depth=1
	v_lshl_add_u64 v[4:5], s[48:49], 4, v[14:15]
	global_load_b128 v[16:19], v[4:5], off
	s_wait_loadcnt 0x0
	s_set_vgpr_msb 1                        ;  msbs: dst=0 src0=1 src1=0 src2=0
	ds_store_2addr_b64 v28 /*v284*/, v[16:17], v[18:19] offset1:1
	s_wait_xcnt 0x0
	s_or_b32 exec_lo, exec_lo, s18
	s_and_saveexec_b32 s18, s15
	s_delay_alu instid0(SALU_CYCLE_1)
	s_xor_b32 s18, exec_lo, s18
	s_set_vgpr_msb 0                        ;  msbs: dst=0 src0=0 src1=0 src2=0
	s_cbranch_execz .LBB123_64
.LBB123_156:                            ;   in Loop: Header=BB123_4 Depth=1
	v_dual_mov_b32 v3, v2 :: v_dual_mov_b32 v4, v2
	v_mov_b32_e32 v5, v2
	s_set_vgpr_msb 1                        ;  msbs: dst=0 src0=1 src1=0 src2=0
	ds_store_b128 v29 /*v285*/, v[2:5]
	s_and_not1_saveexec_b32 s18, s18
	s_set_vgpr_msb 0                        ;  msbs: dst=0 src0=0 src1=0 src2=0
	s_cbranch_execnz .LBB123_65
	s_branch .LBB123_66
.LBB123_157:
	s_sendmsg sendmsg(MSG_DEALLOC_VGPRS)
	s_endpgm
	.section	.rodata,"a",@progbits
	.p2align	6, 0x0
	.amdhsa_kernel _ZL26rocblas_hemvn_kernel_upperILb0ELi64ELi4ELi33ELi32ELi16EiPK19rocblas_complex_numIdES3_PS1_EviT6_lT7_lT5_lS6_lS7_lS5_lT8_i
		.amdhsa_group_segment_fixed_size 19200
		.amdhsa_private_segment_fixed_size 0
		.amdhsa_kernarg_size 376
		.amdhsa_user_sgpr_count 2
		.amdhsa_user_sgpr_dispatch_ptr 0
		.amdhsa_user_sgpr_queue_ptr 0
		.amdhsa_user_sgpr_kernarg_segment_ptr 1
		.amdhsa_user_sgpr_dispatch_id 0
		.amdhsa_user_sgpr_kernarg_preload_length 0
		.amdhsa_user_sgpr_kernarg_preload_offset 0
		.amdhsa_user_sgpr_private_segment_size 0
		.amdhsa_wavefront_size32 1
		.amdhsa_uses_dynamic_stack 0
		.amdhsa_enable_private_segment 0
		.amdhsa_system_sgpr_workgroup_id_x 1
		.amdhsa_system_sgpr_workgroup_id_y 0
		.amdhsa_system_sgpr_workgroup_id_z 1
		.amdhsa_system_sgpr_workgroup_info 0
		.amdhsa_system_vgpr_workitem_id 1
		.amdhsa_next_free_vgpr 311
		.amdhsa_next_free_sgpr 84
		.amdhsa_named_barrier_count 0
		.amdhsa_reserve_vcc 1
		.amdhsa_float_round_mode_32 0
		.amdhsa_float_round_mode_16_64 0
		.amdhsa_float_denorm_mode_32 3
		.amdhsa_float_denorm_mode_16_64 3
		.amdhsa_fp16_overflow 0
		.amdhsa_memory_ordered 1
		.amdhsa_forward_progress 1
		.amdhsa_inst_pref_size 81
		.amdhsa_round_robin_scheduling 0
		.amdhsa_exception_fp_ieee_invalid_op 0
		.amdhsa_exception_fp_denorm_src 0
		.amdhsa_exception_fp_ieee_div_zero 0
		.amdhsa_exception_fp_ieee_overflow 0
		.amdhsa_exception_fp_ieee_underflow 0
		.amdhsa_exception_fp_ieee_inexact 0
		.amdhsa_exception_int_div_zero 0
	.end_amdhsa_kernel
	.section	.text._ZL26rocblas_hemvn_kernel_upperILb0ELi64ELi4ELi33ELi32ELi16EiPK19rocblas_complex_numIdES3_PS1_EviT6_lT7_lT5_lS6_lS7_lS5_lT8_i,"axG",@progbits,_ZL26rocblas_hemvn_kernel_upperILb0ELi64ELi4ELi33ELi32ELi16EiPK19rocblas_complex_numIdES3_PS1_EviT6_lT7_lT5_lS6_lS7_lS5_lT8_i,comdat
.Lfunc_end123:
	.size	_ZL26rocblas_hemvn_kernel_upperILb0ELi64ELi4ELi33ELi32ELi16EiPK19rocblas_complex_numIdES3_PS1_EviT6_lT7_lT5_lS6_lS7_lS5_lT8_i, .Lfunc_end123-_ZL26rocblas_hemvn_kernel_upperILb0ELi64ELi4ELi33ELi32ELi16EiPK19rocblas_complex_numIdES3_PS1_EviT6_lT7_lT5_lS6_lS7_lS5_lT8_i
                                        ; -- End function
	.set _ZL26rocblas_hemvn_kernel_upperILb0ELi64ELi4ELi33ELi32ELi16EiPK19rocblas_complex_numIdES3_PS1_EviT6_lT7_lT5_lS6_lS7_lS5_lT8_i.num_vgpr, 311
	.set _ZL26rocblas_hemvn_kernel_upperILb0ELi64ELi4ELi33ELi32ELi16EiPK19rocblas_complex_numIdES3_PS1_EviT6_lT7_lT5_lS6_lS7_lS5_lT8_i.num_agpr, 0
	.set _ZL26rocblas_hemvn_kernel_upperILb0ELi64ELi4ELi33ELi32ELi16EiPK19rocblas_complex_numIdES3_PS1_EviT6_lT7_lT5_lS6_lS7_lS5_lT8_i.numbered_sgpr, 84
	.set _ZL26rocblas_hemvn_kernel_upperILb0ELi64ELi4ELi33ELi32ELi16EiPK19rocblas_complex_numIdES3_PS1_EviT6_lT7_lT5_lS6_lS7_lS5_lT8_i.num_named_barrier, 0
	.set _ZL26rocblas_hemvn_kernel_upperILb0ELi64ELi4ELi33ELi32ELi16EiPK19rocblas_complex_numIdES3_PS1_EviT6_lT7_lT5_lS6_lS7_lS5_lT8_i.private_seg_size, 0
	.set _ZL26rocblas_hemvn_kernel_upperILb0ELi64ELi4ELi33ELi32ELi16EiPK19rocblas_complex_numIdES3_PS1_EviT6_lT7_lT5_lS6_lS7_lS5_lT8_i.uses_vcc, 1
	.set _ZL26rocblas_hemvn_kernel_upperILb0ELi64ELi4ELi33ELi32ELi16EiPK19rocblas_complex_numIdES3_PS1_EviT6_lT7_lT5_lS6_lS7_lS5_lT8_i.uses_flat_scratch, 0
	.set _ZL26rocblas_hemvn_kernel_upperILb0ELi64ELi4ELi33ELi32ELi16EiPK19rocblas_complex_numIdES3_PS1_EviT6_lT7_lT5_lS6_lS7_lS5_lT8_i.has_dyn_sized_stack, 0
	.set _ZL26rocblas_hemvn_kernel_upperILb0ELi64ELi4ELi33ELi32ELi16EiPK19rocblas_complex_numIdES3_PS1_EviT6_lT7_lT5_lS6_lS7_lS5_lT8_i.has_recursion, 0
	.set _ZL26rocblas_hemvn_kernel_upperILb0ELi64ELi4ELi33ELi32ELi16EiPK19rocblas_complex_numIdES3_PS1_EviT6_lT7_lT5_lS6_lS7_lS5_lT8_i.has_indirect_call, 0
	.section	.AMDGPU.csdata,"",@progbits
; Kernel info:
; codeLenInByte = 10368
; TotalNumSgprs: 86
; NumVgprs: 311
; ScratchSize: 0
; MemoryBound: 1
; FloatMode: 240
; IeeeMode: 1
; LDSByteSize: 19200 bytes/workgroup (compile time only)
; SGPRBlocks: 0
; VGPRBlocks: 19
; NumSGPRsForWavesPerEU: 86
; NumVGPRsForWavesPerEU: 311
; NamedBarCnt: 0
; Occupancy: 3
; WaveLimiterHint : 0
; COMPUTE_PGM_RSRC2:SCRATCH_EN: 0
; COMPUTE_PGM_RSRC2:USER_SGPR: 2
; COMPUTE_PGM_RSRC2:TRAP_HANDLER: 0
; COMPUTE_PGM_RSRC2:TGID_X_EN: 1
; COMPUTE_PGM_RSRC2:TGID_Y_EN: 0
; COMPUTE_PGM_RSRC2:TGID_Z_EN: 1
; COMPUTE_PGM_RSRC2:TIDIG_COMP_CNT: 1
	.section	.text._ZL26rocblas_hemvn_kernel_upperILb0ELi64ELi4ELi33ELi32ELi16El19rocblas_complex_numIdEPKS1_PS1_EviT6_lT7_lT5_lS6_lS7_lS5_lT8_i,"axG",@progbits,_ZL26rocblas_hemvn_kernel_upperILb0ELi64ELi4ELi33ELi32ELi16El19rocblas_complex_numIdEPKS1_PS1_EviT6_lT7_lT5_lS6_lS7_lS5_lT8_i,comdat
	.globl	_ZL26rocblas_hemvn_kernel_upperILb0ELi64ELi4ELi33ELi32ELi16El19rocblas_complex_numIdEPKS1_PS1_EviT6_lT7_lT5_lS6_lS7_lS5_lT8_i ; -- Begin function _ZL26rocblas_hemvn_kernel_upperILb0ELi64ELi4ELi33ELi32ELi16El19rocblas_complex_numIdEPKS1_PS1_EviT6_lT7_lT5_lS6_lS7_lS5_lT8_i
	.p2align	8
	.type	_ZL26rocblas_hemvn_kernel_upperILb0ELi64ELi4ELi33ELi32ELi16El19rocblas_complex_numIdEPKS1_PS1_EviT6_lT7_lT5_lS6_lS7_lS5_lT8_i,@function
_ZL26rocblas_hemvn_kernel_upperILb0ELi64ELi4ELi33ELi32ELi16El19rocblas_complex_numIdEPKS1_PS1_EviT6_lT7_lT5_lS6_lS7_lS5_lT8_i: ; @_ZL26rocblas_hemvn_kernel_upperILb0ELi64ELi4ELi33ELi32ELi16El19rocblas_complex_numIdEPKS1_PS1_EviT6_lT7_lT5_lS6_lS7_lS5_lT8_i
; %bb.0:
	s_clause 0x1
	s_load_b64 s[2:3], s[0:1], 0x94
	s_load_b32 s33, s[0:1], 0x80
	s_bfe_u32 s4, ttmp6, 0x40014
	s_lshr_b32 s5, ttmp7, 16
	s_add_co_i32 s4, s4, 1
	s_bfe_u32 s6, ttmp6, 0x40008
	s_mul_i32 s4, s5, s4
	s_getreg_b32 s14, hwreg(HW_REG_IB_STS2, 6, 4)
	s_add_co_i32 s6, s6, s4
	s_mov_b32 s35, 0
	s_wait_kmcnt 0x0
	s_lshr_b32 s4, s2, 16
	s_and_b32 s2, s2, 0xffff
	s_and_b32 s3, s3, 0xffff
	s_mul_i32 s2, s4, s2
	s_cmp_eq_u32 s14, 0
	s_mul_i32 s2, s2, s3
	s_cselect_b32 s34, s5, s6
	s_cmp_lg_u32 s2, 0x100
	s_cselect_b32 s2, -1, 0
	s_cmp_ge_u32 s34, s33
	s_cselect_b32 s3, -1, 0
	s_delay_alu instid0(SALU_CYCLE_1) | instskip(NEXT) | instid1(SALU_CYCLE_1)
	s_or_b32 s2, s2, s3
	s_and_b32 vcc_lo, exec_lo, s2
	s_cbranch_vccnz .LBB124_155
; %bb.1:
	s_clause 0x1
	s_load_b32 s2, s[0:1], 0x0
	s_load_b128 s[8:11], s[0:1], 0x8
	s_bfe_u32 s15, ttmp6, 0x4000c
	s_load_b512 s[16:31], s[0:1], 0x20
	s_add_co_i32 s15, s15, 1
	v_bfe_u32 v1, v0, 10, 10
	s_add_nc_u64 s[36:37], s[0:1], 0x88
	s_and_b32 s3, ttmp6, 15
	s_clause 0x1
	s_load_b64 s[12:13], s[0:1], 0x78
	s_load_b128 s[4:7], s[0:1], 0x60
	s_wait_xcnt 0x0
	s_mul_i32 s1, ttmp9, s15
	s_set_vgpr_msb 64                       ;  msbs: dst=1 src0=0 src1=0 src2=0
	v_and_b32_e32 v6 /*v262*/, 0x3ff, v0
	s_add_co_i32 s1, s3, s1
	s_set_vgpr_msb 0                        ;  msbs: dst=0 src0=0 src1=0 src2=0
	v_dual_mov_b32 v2, 0 :: v_dual_bitop2_b32 v4, 31, v0 bitop3:0x40
	v_lshlrev_b32_e32 v6, 6, v1
	s_load_b32 s36, s[36:37], 0x0
	s_set_vgpr_msb 4                        ;  msbs: dst=0 src0=0 src1=1 src2=0
	v_lshlrev_b32_e32 v186, 4, v6 /*v262*/
	s_wait_xcnt 0x0
	s_mov_b32 s37, s35
	v_dual_mov_b32 v7, v2 :: v_dual_mov_b32 v5, v2
	s_wait_kmcnt 0x0
	s_ashr_i32 s3, s2, 31
	v_cmp_neq_f64_e64 s8, s[8:9], 0
	v_cmp_neq_f64_e64 s9, s[10:11], 0
	s_cmp_eq_u32 s14, 0
	s_set_vgpr_msb 0                        ;  msbs: dst=0 src0=0 src1=0 src2=0
	v_add_nc_u64_e32 v[8:9], 0x200, v[6:7]
	s_cselect_b32 s38, ttmp9, s1
	v_add_nc_u64_e32 v[10:11], 0x530, v[6:7]
	s_lshl_b32 s56, s38, 6
	s_set_vgpr_msb 4                        ;  msbs: dst=0 src0=0 src1=1 src2=0
	v_dual_add_nc_u32 v3, v6, v6 /*v262*/ :: v_dual_add_nc_u32 v188, s56, v6 /*v262*/
	s_lshr_b32 s1, s3, 26
	s_set_vgpr_msb 0                        ;  msbs: dst=0 src0=0 src1=0 src2=0
	v_mul_u64_e32 v[8:9], s[20:21], v[8:9]
	s_add_co_i32 s1, s2, s1
	v_dual_lshrrev_b32 v44, 5, v3 :: v_dual_ashrrev_i32 v189, 31, v188
	v_mul_u64_e32 v[10:11], s[20:21], v[10:11]
	s_and_not1_b32 s1, s1, 63
	s_add_co_i32 s10, s36, -1
	s_delay_alu instid0(VALU_DEP_2)
	v_mad_nc_u64_u32 v[24:25], s20, v44, v[4:5]
	v_mul_u64_e32 v[20:21], s[28:29], v[188:189]
	v_cmp_neq_f64_e64 s50, s[4:5], 1.0
	v_cmp_neq_f64_e64 s54, s[6:7], 0
	s_lshl_b64 s[4:5], s[26:27], 4
	s_lshl_b64 s[6:7], s[18:19], 4
	s_sub_co_i32 s60, s2, s1
	s_add_nc_u64 s[6:7], s[16:17], s[6:7]
	v_add_nc_u64_e32 v[12:13], 0x220, v[6:7]
	s_add_nc_u64 s[4:5], s[24:25], s[4:5]
	v_add_nc_u64_e32 v[16:17], 0x210, v[6:7]
	v_mad_u32 v25, s21, v44, v25
	v_add_nc_u64_e32 v[22:23], 0x230, v[6:7]
	v_add_nc_u64_e32 v[26:27], 0x300, v[6:7]
	;; [unrolled: 1-line block ×4, first 2 shown]
	s_or_b32 s51, s8, s9
	s_cmp_eq_u32 s38, s10
	v_add_nc_u64_e32 v[38:39], 0x330, v[6:7]
	s_cselect_b32 s18, s60, 0
	v_add_nc_u64_e32 v[40:41], 0x400, v[6:7]
	s_cmp_lg_u32 s18, 0
	v_lshlrev_b64_e32 v[24:25], 4, v[24:25]
	s_cselect_b32 s61, -1, 0
	s_cmp_eq_u32 s18, 0
	v_mul_u64_e32 v[12:13], s[20:21], v[12:13]
	s_cselect_b32 s1, -1, 0
	s_ashr_i32 s57, s56, 31
	s_ashr_i32 s39, s38, 31
	s_lshl_b64 s[8:9], s[56:57], 4
	s_mul_u64 s[24:25], s[36:37], s[2:3]
	s_add_nc_u64 s[6:7], s[6:7], s[8:9]
	v_add_nc_u64_e32 v[14:15], 0x520, v[6:7]
	v_add_nc_u64_e32 v[42:43], s[6:7], v[24:25]
	v_lshl_add_u64 v[190:191], v[20:21], 4, s[4:5]
	s_mul_u64 s[4:5], s[2:3], s[38:39]
	v_add_nc_u64_e32 v[18:19], 0x510, v[6:7]
	s_lshl_b64 s[2:3], s[4:5], 4
	s_mul_u64 s[4:5], s[20:21], s[56:57]
	v_add_nc_u64_e32 v[20:21], 0x500, v[6:7]
	v_lshl_add_u64 v[192:193], s[4:5], 4, v[42:43]
	v_lshlrev_b32_e32 v42, 2, v44
	v_add_nc_u64_e32 v[28:29], 0x430, v[6:7]
	v_add_nc_u64_e32 v[32:33], 0x420, v[6:7]
	;; [unrolled: 1-line block ×3, first 2 shown]
	v_mul_u64_e32 v[16:17], s[20:21], v[16:17]
	v_mul_u64_e32 v[22:23], s[20:21], v[22:23]
	;; [unrolled: 1-line block ×7, first 2 shown]
	v_sub_nc_u64_e32 v[194:195], v[8:9], v[24:25]
	v_sub_nc_u64_e32 v[196:197], v[10:11], v[24:25]
	v_dual_add_nc_u32 v8, 8, v44 :: v_dual_bitop2_b32 v45, 3, v42 bitop3:0x54
	v_dual_add_nc_u32 v9, 16, v44 :: v_dual_add_nc_u32 v10, 24, v44
	v_mul_u64_e32 v[14:15], s[20:21], v[14:15]
	v_mul_u64_e32 v[18:19], s[20:21], v[18:19]
	;; [unrolled: 1-line block ×6, first 2 shown]
	s_sub_co_i32 s16, s18, 32
	s_add_nc_u64 s[26:27], s[12:13], s[2:3]
	v_or_b32_e32 v11, 32, v4
	v_cmp_le_i32_e64 s5, s18, v8
	v_cmp_le_i32_e64 s6, s18, v9
	;; [unrolled: 1-line block ×3, first 2 shown]
	v_lshlrev_b32_e32 v8, 6, v44
	v_cmp_le_i32_e64 s7, s18, v10
	v_cmp_le_i32_e64 s12, s16, v9
	v_lshrrev_b32_e32 v9, 4, v3
	v_cmp_le_i32_e64 s13, s16, v10
	v_and_b32_e32 v10, 48, v0
	v_cmp_gt_u32_e64 s11, 32, v3
	s_set_vgpr_msb 64                       ;  msbs: dst=1 src0=0 src1=0 src2=0
	v_add_nc_u32_e32 v8 /*v264*/, 0x4300, v6
	s_set_vgpr_msb 0                        ;  msbs: dst=0 src0=0 src1=0 src2=0
	v_dual_lshlrev_b32 v6, 6, v9 :: v_dual_bitop2_b32 v0, 15, v0 bitop3:0x40
	v_cmp_gt_u32_e64 s14, 64, v3
	v_lshlrev_b32_e32 v3, 4, v10
	v_or_b32_e32 v10, 0xf0, v186
	v_dual_lshlrev_b32 v7, 4, v4 :: v_dual_bitop2_b32 v43, 2, v42 bitop3:0x54
	s_set_vgpr_msb 64                       ;  msbs: dst=1 src0=0 src1=0 src2=0
	v_mad_u32_u24 v9 /*v265*/, 0x430, v0, v6
	v_mad_u32_u24 v10 /*v266*/, 0x430, v0, v3
	;; [unrolled: 1-line block ×3, first 2 shown]
	s_set_vgpr_msb 0                        ;  msbs: dst=0 src0=0 src1=0 src2=0
	v_mul_u32_u24_e32 v0, 33, v4
	v_mul_i32_i24_e32 v3, 0xffffffd0, v44
	v_sub_nc_u64_e32 v[198:199], v[12:13], v[24:25]
	v_or_b32_e32 v12, 1, v42
	v_cmp_gt_i32_e64 s8, s18, v11
	s_set_vgpr_msb 64                       ;  msbs: dst=1 src0=0 src1=0 src2=0
	v_lshlrev_b32_e32 v14 /*v270*/, 4, v0
	s_set_vgpr_msb 0                        ;  msbs: dst=0 src0=0 src1=0 src2=0
	v_lshlrev_b32_e32 v0, 4, v44
	v_lshl_or_b32 v11, v4, 9, v7
	s_set_vgpr_msb 4                        ;  msbs: dst=0 src0=0 src1=1 src2=0
	v_cmp_gt_i32_e32 vcc_lo, s18, v6 /*v262*/
	s_set_vgpr_msb 0                        ;  msbs: dst=0 src0=0 src1=0 src2=0
	v_sub_nc_u64_e32 v[202:203], v[16:17], v[24:25]
	s_set_vgpr_msb 0x41                     ;  msbs: dst=1 src0=1 src1=0 src2=0
	v_add_nc_u32_e32 v17 /*v273*/, v14 /*v270*/, v8
	s_set_vgpr_msb 0                        ;  msbs: dst=0 src0=0 src1=0 src2=0
	v_sub_nc_u64_e32 v[206:207], v[22:23], v[24:25]
	v_sub_nc_u64_e32 v[210:211], v[26:27], v[24:25]
	;; [unrolled: 1-line block ×6, first 2 shown]
	s_set_vgpr_msb 0x41                     ;  msbs: dst=1 src0=1 src1=0 src2=0
	v_add_nc_u32_e32 v19 /*v275*/, 0x4700, v0
	v_dual_add_nc_u32 v24 /*v280*/, v17 /*v273*/, v3 :: v_dual_add_nc_u32 v18 /*v274*/, v14 /*v270*/, v0
	s_set_vgpr_msb 0                        ;  msbs: dst=0 src0=0 src1=0 src2=0
	v_mul_i32_i24_e32 v0, 0xffffffd0, v9
	s_set_vgpr_msb 64                       ;  msbs: dst=1 src0=0 src1=0 src2=0
	v_mad_u32_u24 v7 /*v263*/, 0x210, v44, v7
	v_dual_add_nc_u32 v12 /*v268*/, v11, v8 :: v_dual_lshlrev_b32 v20 /*v276*/, 2, v1
	v_mad_u32_u24 v13 /*v269*/, 0x210, v12, v7
	s_or_b32 s52, s1, vcc_lo
	s_add_co_i32 s37, s38, 1
	v_cmp_eq_u32_e64 s0, 0, v1
	s_xor_b32 s62, s52, -1
	s_ashr_i32 s19, s18, 31
	s_set_vgpr_msb 0                        ;  msbs: dst=0 src0=0 src1=0 src2=0
	v_sub_nc_u64_e32 v[200:201], v[14:15], v[24:25]
	v_sub_nc_u64_e32 v[204:205], v[18:19], v[24:25]
	;; [unrolled: 1-line block ×6, first 2 shown]
	s_lshl_b64 s[40:41], s[20:21], 7
	s_lshl_b64 s[42:43], s[20:21], 8
	;; [unrolled: 1-line block ×3, first 2 shown]
	s_set_vgpr_msb 0x41                     ;  msbs: dst=1 src0=1 src1=0 src2=0
	v_mad_u32_u24 v21 /*v277*/, 0x10c0, v1, v186
	v_mad_u32_u24 v22 /*v278*/, 0x430, v1, v186
	v_add_nc_u32_e32 v25 /*v281*/, v9 /*v265*/, v0
	s_set_vgpr_msb 0                        ;  msbs: dst=0 src0=0 src1=0 src2=0
	v_sub_nc_u64_e32 v[0:1], 0, v[4:5]
	s_cmp_lt_u32 s37, s36
	v_cmp_gt_i32_e64 s1, s18, v4
	v_cmp_le_i32_e64 s2, s18, v44
	v_cmp_gt_u32_e64 s3, v43, v4
	v_cmp_gt_u32_e64 s4, v45, v4
	;; [unrolled: 1-line block ×3, first 2 shown]
	v_cmp_ge_u32_e64 s15, v42, v4
	s_set_vgpr_msb 64                       ;  msbs: dst=1 src0=0 src1=0 src2=0
	v_mad_u32_u24 v15 /*v271*/, 0x840, v44, v7
	v_cmp_le_i32_e64 s16, s16, v44
	v_add_nc_u32_e32 v16 /*v272*/, 0x4700, v8
	v_cmp_eq_u32_e64 s17, 1, v44
	v_cndmask_b32_e64 v23 /*v279*/, 0, 1, s51
	s_set_vgpr_msb 0                        ;  msbs: dst=0 src0=0 src1=0 src2=0
	v_dual_mov_b32 v187, v2 :: v_dual_bitop2_b32 v194, 8, v194 bitop3:0x54
	v_dual_lshlrev_b32 v226, 4, v4 :: v_dual_bitop2_b32 v202, 8, v202 bitop3:0x54
	v_or_b32_e32 v206, 8, v206
	v_or_b32_e32 v210, 8, v210
	;; [unrolled: 1-line block ×6, first 2 shown]
	s_set_vgpr_msb 64                       ;  msbs: dst=1 src0=0 src1=0 src2=0
	v_add_nc_u32_e32 v26 /*v282*/, 0x4700, v186
	s_set_vgpr_msb 0x44                     ;  msbs: dst=1 src0=0 src1=1 src2=0
	v_add_nc_u32_e32 v27 /*v283*/, 0x1080, v7 /*v263*/
	v_add_nc_u32_e32 v28 /*v284*/, 0x2100, v7 /*v263*/
	;; [unrolled: 1-line block ×3, first 2 shown]
	v_dual_add_nc_u32 v30 /*v286*/, 16, v12 /*v268*/ :: v_dual_add_nc_u32 v31 /*v287*/, 32, v12 /*v268*/
	v_add_nc_u32_e32 v32 /*v288*/, 0x210, v13 /*v269*/
	v_dual_add_nc_u32 v33 /*v289*/, 48, v12 /*v268*/ :: v_dual_add_nc_u32 v35 /*v291*/, 16, v17 /*v273*/
	v_add_nc_u32_e32 v34 /*v290*/, 0x420, v13 /*v269*/
	v_dual_add_nc_u32 v36 /*v292*/, 32, v17 /*v273*/ :: v_dual_add_nc_u32 v37 /*v293*/, 48, v17 /*v273*/
	s_set_vgpr_msb 64                       ;  msbs: dst=1 src0=0 src1=0 src2=0
	v_add_nc_u32_e32 v38 /*v294*/, 0x4300, v186
	s_set_vgpr_msb 0x44                     ;  msbs: dst=1 src0=0 src1=1 src2=0
	v_dual_add_nc_u32 v42 /*v298*/, 16, v20 /*v276*/ :: v_dual_bitop2_b32 v39 /*v295*/, 1, v20 /*v276*/ bitop3:0x54
	v_dual_add_nc_u32 v43 /*v299*/, 17, v20 /*v276*/ :: v_dual_bitop2_b32 v40 /*v296*/, 2, v20 /*v276*/ bitop3:0x54
	;; [unrolled: 1-line block ×3, first 2 shown]
	v_dual_add_nc_u32 v45 /*v301*/, 19, v20 /*v276*/ :: v_dual_add_nc_u32 v46 /*v302*/, 32, v20 /*v276*/
	v_dual_add_nc_u32 v47 /*v303*/, 33, v20 /*v276*/ :: v_dual_add_nc_u32 v48 /*v304*/, 34, v20 /*v276*/
	;; [unrolled: 1-line block ×4, first 2 shown]
	v_add_nc_u32_e32 v53 /*v309*/, 51, v20 /*v276*/
	s_mul_u64 s[48:49], s[28:29], s[56:57]
	s_cselect_b32 s37, -1, 0
	s_or_b32 s55, s51, s50
	s_mul_u64 s[44:45], s[20:21], 0x180
	s_sub_nc_u64 s[48:49], 0, s[48:49]
	s_add_co_i32 s39, s36, -2
	s_and_b32 s63, s0, s52
	s_mov_b64 s[50:51], 0xfffffffffffffe00
	s_mov_b64 s[52:53], 0xfffffffffffffdf0
	s_or_b32 s64, s55, s54
	s_sub_nc_u64 s[54:55], 0, s[18:19]
	s_add_co_i32 s65, s56, 64
	s_lshl_b64 s[20:21], s[20:21], 10
	s_set_vgpr_msb 0                        ;  msbs: dst=0 src0=0 src1=0 src2=0
	s_branch .LBB124_4
.LBB124_2:                              ;   in Loop: Header=BB124_4 Depth=1
	s_wait_xcnt 0x0
	s_or_b32 exec_lo, exec_lo, s58
.LBB124_3:                              ;   in Loop: Header=BB124_4 Depth=1
	s_add_co_i32 s34, s34, 0x10000
	s_delay_alu instid0(SALU_CYCLE_1)
	s_cmp_lt_u32 s34, s33
	s_cbranch_scc0 .LBB124_155
.LBB124_4:                              ; =>This Loop Header: Depth=1
                                        ;     Child Loop BB124_77 Depth 2
	s_and_not1_b32 vcc_lo, exec_lo, s64
	s_cbranch_vccnz .LBB124_3
; %bb.5:                                ;   in Loop: Header=BB124_4 Depth=1
	s_set_vgpr_msb 4                        ;  msbs: dst=0 src0=0 src1=1 src2=0
	v_cmp_ne_u32_e32 vcc_lo, 1, v23 /*v279*/
	s_set_vgpr_msb 0                        ;  msbs: dst=0 src0=0 src1=0 src2=0
	s_cbranch_vccnz .LBB124_3
; %bb.6:                                ;   in Loop: Header=BB124_4 Depth=1
	s_mul_u64 s[56:57], s[30:31], s[34:35]
	s_delay_alu instid0(SALU_CYCLE_1)
	v_lshl_add_u64 v[42:43], s[56:57], 4, v[190:191]
	s_and_saveexec_b32 s56, s0
	s_cbranch_execz .LBB124_11
; %bb.7:                                ;   in Loop: Header=BB124_4 Depth=1
	s_and_saveexec_b32 s57, s62
	s_delay_alu instid0(SALU_CYCLE_1)
	s_xor_b32 s57, exec_lo, s57
; %bb.8:                                ;   in Loop: Header=BB124_4 Depth=1
	v_dual_mov_b32 v3, v2 :: v_dual_mov_b32 v4, v2
	v_mov_b32_e32 v5, v2
	s_set_vgpr_msb 1                        ;  msbs: dst=0 src0=1 src1=0 src2=0
	ds_store_b128 v26 /*v282*/, v[2:5]
; %bb.9:                                ;   in Loop: Header=BB124_4 Depth=1
	s_and_not1_saveexec_b32 s57, s57
	s_set_vgpr_msb 0                        ;  msbs: dst=0 src0=0 src1=0 src2=0
	s_cbranch_execz .LBB124_11
; %bb.10:                               ;   in Loop: Header=BB124_4 Depth=1
	global_load_b128 v[4:7], v[42:43], off
	s_wait_loadcnt 0x0
	s_set_vgpr_msb 1                        ;  msbs: dst=0 src0=1 src1=0 src2=0
	ds_store_2addr_b64 v26 /*v282*/, v[4:5], v[6:7] offset1:1
.LBB124_11:                             ;   in Loop: Header=BB124_4 Depth=1
	s_wait_xcnt 0x0
	s_or_b32 exec_lo, exec_lo, s56
	s_mul_u64 s[56:57], s[22:23], s[34:35]
	s_and_b32 vcc_lo, exec_lo, s61
	s_set_vgpr_msb 0                        ;  msbs: dst=0 src0=0 src1=0 src2=0
	v_lshl_add_u64 v[6:7], s[56:57], 4, v[192:193]
	s_mov_b32 s56, -1
                                        ; implicit-def: $vgpr4_vgpr5
	s_cbranch_vccz .LBB124_23
; %bb.12:                               ;   in Loop: Header=BB124_4 Depth=1
	s_and_saveexec_b32 s56, s2
	s_delay_alu instid0(SALU_CYCLE_1)
	s_xor_b32 s56, exec_lo, s56
; %bb.13:                               ;   in Loop: Header=BB124_4 Depth=1
	v_dual_mov_b32 v3, v2 :: v_dual_mov_b32 v4, v2
	v_mov_b32_e32 v5, v2
	s_set_vgpr_msb 1                        ;  msbs: dst=0 src0=1 src1=0 src2=0
	ds_store_b128 v7 /*v263*/, v[2:5]
; %bb.14:                               ;   in Loop: Header=BB124_4 Depth=1
	s_or_saveexec_b32 s56, s56
	s_set_vgpr_msb 0                        ;  msbs: dst=0 src0=0 src1=0 src2=0
	v_lshl_add_u64 v[4:5], v[0:1], 4, v[6:7]
	s_delay_alu instid0(VALU_DEP_1) | instskip(NEXT) | instid1(VALU_DEP_1)
	v_lshl_add_u64 v[4:5], s[18:19], 4, v[4:5]
	v_add_nc_u64_e32 v[4:5], -16, v[4:5]
	s_delay_alu instid0(VALU_DEP_1)
	v_dual_cndmask_b32 v9, v5, v7, s1 :: v_dual_cndmask_b32 v8, v4, v6, s1
	s_xor_b32 exec_lo, exec_lo, s56
	s_cbranch_execnz .LBB124_137
; %bb.15:                               ;   in Loop: Header=BB124_4 Depth=1
	s_or_b32 exec_lo, exec_lo, s56
	s_and_saveexec_b32 s56, s5
	s_delay_alu instid0(SALU_CYCLE_1)
	s_xor_b32 s56, exec_lo, s56
	s_cbranch_execnz .LBB124_138
.LBB124_16:                             ;   in Loop: Header=BB124_4 Depth=1
	s_and_not1_saveexec_b32 s56, s56
	s_cbranch_execnz .LBB124_139
.LBB124_17:                             ;   in Loop: Header=BB124_4 Depth=1
	s_or_b32 exec_lo, exec_lo, s56
	s_and_saveexec_b32 s56, s6
	s_delay_alu instid0(SALU_CYCLE_1)
	s_xor_b32 s56, exec_lo, s56
	s_cbranch_execnz .LBB124_140
.LBB124_18:                             ;   in Loop: Header=BB124_4 Depth=1
	s_and_not1_saveexec_b32 s56, s56
	s_cbranch_execnz .LBB124_141
.LBB124_19:                             ;   in Loop: Header=BB124_4 Depth=1
	s_or_b32 exec_lo, exec_lo, s56
	s_and_saveexec_b32 s56, s7
	s_delay_alu instid0(SALU_CYCLE_1)
	s_xor_b32 s56, exec_lo, s56
	s_cbranch_execnz .LBB124_142
.LBB124_20:                             ;   in Loop: Header=BB124_4 Depth=1
	s_and_not1_saveexec_b32 s56, s56
	s_cbranch_execz .LBB124_22
.LBB124_21:                             ;   in Loop: Header=BB124_4 Depth=1
	v_add_nc_u64_e32 v[4:5], s[44:45], v[8:9]
	global_load_b128 v[10:13], v[4:5], off
	s_wait_loadcnt 0x0
	s_set_vgpr_msb 1                        ;  msbs: dst=0 src0=1 src1=0 src2=0
	ds_store_2addr_b64 v29 /*v285*/, v[10:11], v[12:13] offset1:1
.LBB124_22:                             ;   in Loop: Header=BB124_4 Depth=1
	s_wait_xcnt 0x0
	s_or_b32 exec_lo, exec_lo, s56
	s_set_vgpr_msb 0                        ;  msbs: dst=0 src0=0 src1=0 src2=0
	v_mov_b32_e32 v227, v2
	s_mov_b32 s56, 0
	s_delay_alu instid0(VALU_DEP_1) | instskip(NEXT) | instid1(VALU_DEP_1)
	v_add_nc_u64_e32 v[4:5], v[8:9], v[226:227]
	v_lshl_add_u64 v[4:5], s[54:55], 4, v[4:5]
	s_delay_alu instid0(VALU_DEP_1) | instskip(NEXT) | instid1(VALU_DEP_1)
	v_add_nc_u64_e32 v[4:5], 16, v[4:5]
	v_dual_cndmask_b32 v5, v5, v7, s1 :: v_dual_cndmask_b32 v4, v4, v6, s1
.LBB124_23:                             ;   in Loop: Header=BB124_4 Depth=1
	s_and_b32 vcc_lo, exec_lo, s56
	s_cbranch_vccz .LBB124_25
; %bb.24:                               ;   in Loop: Header=BB124_4 Depth=1
	v_add_nc_u64_e32 v[4:5], s[40:41], v[6:7]
	s_delay_alu instid0(VALU_DEP_1) | instskip(NEXT) | instid1(VALU_DEP_1)
	v_add_nc_u64_e32 v[16:17], s[40:41], v[4:5]
	v_add_nc_u64_e32 v[20:21], s[40:41], v[16:17]
	s_clause 0x3
	global_load_b128 v[8:11], v[6:7], off
	global_load_b128 v[12:15], v[4:5], off
	;; [unrolled: 1-line block ×4, first 2 shown]
	s_wait_xcnt 0x2
	v_mov_b64_e32 v[4:5], v[6:7]
	s_wait_loadcnt 0x3
	s_set_vgpr_msb 1                        ;  msbs: dst=0 src0=1 src1=0 src2=0
	ds_store_2addr_b64 v7 /*v263*/, v[8:9], v[10:11] offset1:1
	s_wait_loadcnt 0x2
	ds_store_2addr_b64 v27 /*v283*/, v[12:13], v[14:15] offset1:1
	s_wait_loadcnt 0x1
	;; [unrolled: 2-line block ×3, first 2 shown]
	ds_store_2addr_b64 v29 /*v285*/, v[20:21], v[22:23] offset1:1
.LBB124_25:                             ;   in Loop: Header=BB124_4 Depth=1
	s_wait_dscnt 0x0
	s_barrier_signal -1
	s_barrier_wait -1
	s_wait_xcnt 0x0
	s_and_saveexec_b32 s56, s9
	s_set_vgpr_msb 0                        ;  msbs: dst=0 src0=0 src1=0 src2=0
	s_cbranch_execnz .LBB124_131
; %bb.26:                               ;   in Loop: Header=BB124_4 Depth=1
	s_or_b32 exec_lo, exec_lo, s56
	s_and_saveexec_b32 s56, s15
	s_cbranch_execnz .LBB124_132
.LBB124_27:                             ;   in Loop: Header=BB124_4 Depth=1
	s_or_b32 exec_lo, exec_lo, s56
	s_and_saveexec_b32 s56, s3
	s_cbranch_execnz .LBB124_133
.LBB124_28:                             ;   in Loop: Header=BB124_4 Depth=1
	s_or_b32 exec_lo, exec_lo, s56
	s_and_saveexec_b32 s56, s4
	s_cbranch_execz .LBB124_30
.LBB124_29:                             ;   in Loop: Header=BB124_4 Depth=1
	s_set_vgpr_msb 1                        ;  msbs: dst=0 src0=1 src1=0 src2=0
	ds_load_b128 v[6:9], v34 /*v290*/
	s_wait_dscnt 0x0
	ds_store_b128 v33 /*v289*/, v[6:9]
.LBB124_30:                             ;   in Loop: Header=BB124_4 Depth=1
	s_or_b32 exec_lo, exec_lo, s56
	s_wait_dscnt 0x0
	s_barrier_signal -1
	s_barrier_wait -1
	s_set_vgpr_msb 1                        ;  msbs: dst=0 src0=1 src1=0 src2=0
	ds_load_b128 v[6:9], v15 /*v271*/
	ds_load_b128 v[10:13], v16 /*v272*/
	ds_load_b128 v[14:17], v16 /*v272*/ offset:16
	ds_load_b128 v[18:21], v13 /*v269*/
	s_wait_dscnt 0x2
	s_set_vgpr_msb 0                        ;  msbs: dst=0 src0=0 src1=0 src2=0
	v_mul_f64_e32 v[22:23], v[12:13], v[8:9]
	v_mul_f64_e32 v[28:29], v[10:11], v[8:9]
	s_wait_dscnt 0x0
	v_mul_f64_e32 v[30:31], v[16:17], v[20:21]
	v_mul_f64_e32 v[32:33], v[14:15], v[20:21]
	s_delay_alu instid0(VALU_DEP_4) | instskip(NEXT) | instid1(VALU_DEP_4)
	v_fma_f64 v[34:35], v[10:11], v[6:7], -v[22:23]
	v_fmac_f64_e32 v[28:29], v[12:13], v[6:7]
	s_set_vgpr_msb 1                        ;  msbs: dst=0 src0=1 src1=0 src2=0
	ds_load_b128 v[6:9], v32 /*v288*/
	ds_load_b128 v[10:13], v16 /*v272*/ offset:32
	ds_load_b128 v[20:23], v16 /*v272*/ offset:48
	ds_load_b128 v[24:27], v34 /*v290*/
	s_set_vgpr_msb 0                        ;  msbs: dst=0 src0=0 src1=0 src2=0
	v_fma_f64 v[14:15], v[14:15], v[18:19], -v[30:31]
	v_fmac_f64_e32 v[32:33], v[16:17], v[18:19]
	s_wait_dscnt 0x0
	s_barrier_signal -1
	s_barrier_wait -1
	v_mul_f64_e32 v[36:37], v[12:13], v[8:9]
	v_mul_f64_e32 v[8:9], v[10:11], v[8:9]
	v_add_f64_e32 v[16:17], 0, v[34:35]
	v_add_f64_e32 v[18:19], 0, v[28:29]
	v_mul_f64_e32 v[28:29], v[22:23], v[26:27]
	v_mul_f64_e32 v[26:27], v[20:21], v[26:27]
	v_fma_f64 v[10:11], v[10:11], v[6:7], -v[36:37]
	v_fmac_f64_e32 v[8:9], v[12:13], v[6:7]
	v_add_f64_e32 v[6:7], v[16:17], v[14:15]
	v_add_f64_e32 v[12:13], v[18:19], v[32:33]
	v_fma_f64 v[14:15], v[20:21], v[24:25], -v[28:29]
	v_fmac_f64_e32 v[26:27], v[22:23], v[24:25]
	s_delay_alu instid0(VALU_DEP_4) | instskip(NEXT) | instid1(VALU_DEP_4)
	v_add_f64_e32 v[6:7], v[6:7], v[10:11]
	v_add_f64_e32 v[8:9], v[12:13], v[8:9]
	s_delay_alu instid0(VALU_DEP_2) | instskip(NEXT) | instid1(VALU_DEP_2)
	v_add_f64_e32 v[10:11], v[6:7], v[14:15]
	v_add_f64_e32 v[12:13], v[8:9], v[26:27]
	v_mov_b64_e32 v[6:7], 0
	v_mov_b64_e32 v[8:9], 0
	s_set_vgpr_msb 1                        ;  msbs: dst=0 src0=1 src1=0 src2=0
	ds_store_b128 v18 /*v274*/, v[10:13]
	s_wait_dscnt 0x0
	s_barrier_signal -1
	s_barrier_wait -1
	s_and_saveexec_b32 s56, s11
	s_set_vgpr_msb 0                        ;  msbs: dst=0 src0=0 src1=0 src2=0
	s_cbranch_execz .LBB124_32
; %bb.31:                               ;   in Loop: Header=BB124_4 Depth=1
	s_set_vgpr_msb 1                        ;  msbs: dst=0 src0=1 src1=0 src2=0
	ds_load_b128 v[6:9], v14 /*v270*/
	ds_load_b128 v[10:13], v14 /*v270*/ offset:16
	s_wait_dscnt 0x0
	s_set_vgpr_msb 0                        ;  msbs: dst=0 src0=0 src1=0 src2=0
	v_add_f64_e32 v[14:15], v[10:11], v[6:7]
	v_add_f64_e32 v[16:17], v[12:13], v[8:9]
	s_set_vgpr_msb 1                        ;  msbs: dst=0 src0=1 src1=0 src2=0
	ds_load_b128 v[6:9], v14 /*v270*/ offset:32
	ds_load_b128 v[10:13], v14 /*v270*/ offset:48
	s_wait_dscnt 0x1
	s_set_vgpr_msb 0                        ;  msbs: dst=0 src0=0 src1=0 src2=0
	v_add_f64_e32 v[6:7], v[14:15], v[6:7]
	v_add_f64_e32 v[8:9], v[16:17], v[8:9]
	s_wait_dscnt 0x0
	s_delay_alu instid0(VALU_DEP_2) | instskip(NEXT) | instid1(VALU_DEP_2)
	v_add_f64_e32 v[14:15], v[6:7], v[10:11]
	v_add_f64_e32 v[16:17], v[8:9], v[12:13]
	s_set_vgpr_msb 1                        ;  msbs: dst=0 src0=1 src1=0 src2=0
	ds_load_b128 v[6:9], v14 /*v270*/ offset:64
	ds_load_b128 v[10:13], v14 /*v270*/ offset:80
	s_wait_dscnt 0x1
	s_set_vgpr_msb 0                        ;  msbs: dst=0 src0=0 src1=0 src2=0
	v_add_f64_e32 v[6:7], v[14:15], v[6:7]
	v_add_f64_e32 v[8:9], v[16:17], v[8:9]
	s_wait_dscnt 0x0
	s_delay_alu instid0(VALU_DEP_2) | instskip(NEXT) | instid1(VALU_DEP_2)
	;; [unrolled: 11-line block ×3, first 2 shown]
	v_add_f64_e32 v[6:7], v[6:7], v[10:11]
	v_add_f64_e32 v[8:9], v[8:9], v[12:13]
.LBB124_32:                             ;   in Loop: Header=BB124_4 Depth=1
	s_or_b32 exec_lo, exec_lo, s56
	v_lshl_add_u64 v[14:15], s[46:47], 4, v[4:5]
	s_and_b32 vcc_lo, exec_lo, s61
	s_mov_b32 s56, -1
	s_barrier_signal -1
	s_delay_alu instid0(VALU_DEP_1)
	v_add_nc_u64_e32 v[12:13], 0x200, v[14:15]
	s_barrier_wait -1
                                        ; implicit-def: $vgpr10_vgpr11
	s_cbranch_vccz .LBB124_44
; %bb.33:                               ;   in Loop: Header=BB124_4 Depth=1
	s_and_saveexec_b32 s56, s16
	s_delay_alu instid0(SALU_CYCLE_1)
	s_xor_b32 s56, exec_lo, s56
; %bb.34:                               ;   in Loop: Header=BB124_4 Depth=1
	v_dual_mov_b32 v3, v2 :: v_dual_mov_b32 v4, v2
	v_mov_b32_e32 v5, v2
	s_set_vgpr_msb 1                        ;  msbs: dst=0 src0=1 src1=0 src2=0
	ds_store_b128 v7 /*v263*/, v[2:5]
; %bb.35:                               ;   in Loop: Header=BB124_4 Depth=1
	s_or_saveexec_b32 s56, s56
	s_set_vgpr_msb 0                        ;  msbs: dst=0 src0=0 src1=0 src2=0
	v_lshl_add_u64 v[4:5], v[0:1], 4, v[14:15]
	s_delay_alu instid0(VALU_DEP_1) | instskip(NEXT) | instid1(VALU_DEP_1)
	v_lshl_add_u64 v[4:5], s[18:19], 4, v[4:5]
	v_add_nc_u64_e32 v[4:5], -16, v[4:5]
	s_delay_alu instid0(VALU_DEP_1)
	v_dual_cndmask_b32 v11, v5, v13, s8 :: v_dual_cndmask_b32 v10, v4, v12, s8
	s_xor_b32 exec_lo, exec_lo, s56
	s_cbranch_execnz .LBB124_143
; %bb.36:                               ;   in Loop: Header=BB124_4 Depth=1
	s_or_b32 exec_lo, exec_lo, s56
	s_and_saveexec_b32 s56, s10
	s_delay_alu instid0(SALU_CYCLE_1)
	s_xor_b32 s56, exec_lo, s56
	s_cbranch_execnz .LBB124_144
.LBB124_37:                             ;   in Loop: Header=BB124_4 Depth=1
	s_and_not1_saveexec_b32 s56, s56
	s_cbranch_execnz .LBB124_145
.LBB124_38:                             ;   in Loop: Header=BB124_4 Depth=1
	s_or_b32 exec_lo, exec_lo, s56
	s_and_saveexec_b32 s56, s12
	s_delay_alu instid0(SALU_CYCLE_1)
	s_xor_b32 s56, exec_lo, s56
	s_cbranch_execnz .LBB124_146
.LBB124_39:                             ;   in Loop: Header=BB124_4 Depth=1
	s_and_not1_saveexec_b32 s56, s56
	s_cbranch_execnz .LBB124_147
.LBB124_40:                             ;   in Loop: Header=BB124_4 Depth=1
	s_or_b32 exec_lo, exec_lo, s56
	s_and_saveexec_b32 s56, s13
	s_delay_alu instid0(SALU_CYCLE_1)
	s_xor_b32 s56, exec_lo, s56
	s_cbranch_execnz .LBB124_148
.LBB124_41:                             ;   in Loop: Header=BB124_4 Depth=1
	s_and_not1_saveexec_b32 s56, s56
	s_cbranch_execz .LBB124_43
.LBB124_42:                             ;   in Loop: Header=BB124_4 Depth=1
	v_add_nc_u64_e32 v[4:5], s[44:45], v[10:11]
	global_load_b128 v[16:19], v[4:5], off
	s_wait_loadcnt 0x0
	s_set_vgpr_msb 1                        ;  msbs: dst=0 src0=1 src1=0 src2=0
	ds_store_2addr_b64 v29 /*v285*/, v[16:17], v[18:19] offset1:1
.LBB124_43:                             ;   in Loop: Header=BB124_4 Depth=1
	s_wait_xcnt 0x0
	s_or_b32 exec_lo, exec_lo, s56
	s_set_vgpr_msb 0                        ;  msbs: dst=0 src0=0 src1=0 src2=0
	v_mov_b32_e32 v227, v2
	s_mov_b32 s56, 0
	s_delay_alu instid0(VALU_DEP_1) | instskip(NEXT) | instid1(VALU_DEP_1)
	v_add_nc_u64_e32 v[4:5], v[10:11], v[226:227]
	v_lshl_add_u64 v[4:5], s[54:55], 4, v[4:5]
	s_delay_alu instid0(VALU_DEP_1) | instskip(NEXT) | instid1(VALU_DEP_1)
	v_add_nc_u64_e32 v[4:5], 0x210, v[4:5]
	v_dual_cndmask_b32 v11, v5, v13, s8 :: v_dual_cndmask_b32 v10, v4, v12, s8
.LBB124_44:                             ;   in Loop: Header=BB124_4 Depth=1
	s_and_b32 vcc_lo, exec_lo, s56
	s_cbranch_vccz .LBB124_46
; %bb.45:                               ;   in Loop: Header=BB124_4 Depth=1
	v_add_nc_u64_e32 v[4:5], s[40:41], v[14:15]
	s_delay_alu instid0(VALU_DEP_1) | instskip(NEXT) | instid1(VALU_DEP_1)
	v_add_nc_u64_e32 v[10:11], s[40:41], v[4:5]
	v_add_nc_u64_e32 v[26:27], s[40:41], v[10:11]
	s_clause 0x3
	global_load_b128 v[14:17], v[12:13], off
	global_load_b128 v[18:21], v[4:5], off offset:512
	global_load_b128 v[22:25], v[10:11], off offset:512
	;; [unrolled: 1-line block ×3, first 2 shown]
	s_wait_xcnt 0x1
	v_mov_b64_e32 v[10:11], v[12:13]
	s_wait_loadcnt 0x3
	s_set_vgpr_msb 1                        ;  msbs: dst=0 src0=1 src1=0 src2=0
	ds_store_2addr_b64 v7 /*v263*/, v[14:15], v[16:17] offset1:1
	s_wait_loadcnt 0x2
	ds_store_2addr_b64 v27 /*v283*/, v[18:19], v[20:21] offset1:1
	s_wait_loadcnt 0x1
	ds_store_2addr_b64 v28 /*v284*/, v[22:23], v[24:25] offset1:1
	s_wait_loadcnt 0x0
	ds_store_2addr_b64 v29 /*v285*/, v[26:27], v[28:29] offset1:1
.LBB124_46:                             ;   in Loop: Header=BB124_4 Depth=1
	s_wait_dscnt 0x0
	s_barrier_signal -1
	s_barrier_wait -1
	s_wait_xcnt 0x0
	s_and_saveexec_b32 s56, s9
	s_set_vgpr_msb 0                        ;  msbs: dst=0 src0=0 src1=0 src2=0
	s_cbranch_execnz .LBB124_134
; %bb.47:                               ;   in Loop: Header=BB124_4 Depth=1
	s_or_b32 exec_lo, exec_lo, s56
	s_and_saveexec_b32 s56, s15
	s_cbranch_execnz .LBB124_135
.LBB124_48:                             ;   in Loop: Header=BB124_4 Depth=1
	s_or_b32 exec_lo, exec_lo, s56
	s_and_saveexec_b32 s56, s3
	s_cbranch_execnz .LBB124_136
.LBB124_49:                             ;   in Loop: Header=BB124_4 Depth=1
	s_or_b32 exec_lo, exec_lo, s56
	s_and_saveexec_b32 s56, s4
	s_cbranch_execz .LBB124_51
.LBB124_50:                             ;   in Loop: Header=BB124_4 Depth=1
	s_set_vgpr_msb 1                        ;  msbs: dst=0 src0=1 src1=0 src2=0
	ds_load_b128 v[12:15], v34 /*v290*/
	s_wait_dscnt 0x0
	ds_store_b128 v37 /*v293*/, v[12:15]
.LBB124_51:                             ;   in Loop: Header=BB124_4 Depth=1
	s_or_b32 exec_lo, exec_lo, s56
	s_wait_dscnt 0x0
	s_barrier_signal -1
	s_barrier_wait -1
	s_set_vgpr_msb 1                        ;  msbs: dst=0 src0=1 src1=0 src2=0
	ds_load_b128 v[12:15], v15 /*v271*/
	ds_load_b128 v[16:19], v16 /*v272*/ offset:512
	ds_load_b128 v[20:23], v16 /*v272*/ offset:528
	ds_load_b128 v[24:27], v13 /*v269*/
	s_wait_dscnt 0x2
	s_set_vgpr_msb 0                        ;  msbs: dst=0 src0=0 src1=0 src2=0
	v_mul_f64_e32 v[4:5], v[18:19], v[14:15]
	v_mul_f64_e32 v[34:35], v[16:17], v[14:15]
	s_wait_dscnt 0x0
	v_mul_f64_e32 v[36:37], v[22:23], v[26:27]
	v_mul_f64_e32 v[38:39], v[20:21], v[26:27]
	s_delay_alu instid0(VALU_DEP_4) | instskip(NEXT) | instid1(VALU_DEP_4)
	v_fma_f64 v[4:5], v[16:17], v[12:13], -v[4:5]
	v_fmac_f64_e32 v[34:35], v[18:19], v[12:13]
	s_set_vgpr_msb 1                        ;  msbs: dst=0 src0=1 src1=0 src2=0
	ds_load_b128 v[12:15], v32 /*v288*/
	ds_load_b128 v[16:19], v16 /*v272*/ offset:544
	ds_load_b128 v[26:29], v16 /*v272*/ offset:560
	ds_load_b128 v[30:33], v34 /*v290*/
	s_set_vgpr_msb 0                        ;  msbs: dst=0 src0=0 src1=0 src2=0
	v_fma_f64 v[20:21], v[20:21], v[24:25], -v[36:37]
	v_fmac_f64_e32 v[38:39], v[22:23], v[24:25]
	s_wait_dscnt 0x0
	s_barrier_signal -1
	s_barrier_wait -1
	v_mul_f64_e32 v[40:41], v[18:19], v[14:15]
	v_mul_f64_e32 v[14:15], v[16:17], v[14:15]
	;; [unrolled: 1-line block ×4, first 2 shown]
	v_add_f64_e32 v[4:5], 0, v[4:5]
	v_add_f64_e32 v[22:23], 0, v[34:35]
	v_fma_f64 v[16:17], v[16:17], v[12:13], -v[40:41]
	v_fmac_f64_e32 v[14:15], v[18:19], v[12:13]
	v_fma_f64 v[18:19], v[26:27], v[30:31], -v[24:25]
	v_fmac_f64_e32 v[32:33], v[28:29], v[30:31]
	v_add_f64_e32 v[4:5], v[4:5], v[20:21]
	v_add_f64_e32 v[12:13], v[22:23], v[38:39]
	s_delay_alu instid0(VALU_DEP_2) | instskip(NEXT) | instid1(VALU_DEP_2)
	v_add_f64_e32 v[4:5], v[4:5], v[16:17]
	v_add_f64_e32 v[14:15], v[12:13], v[14:15]
	s_delay_alu instid0(VALU_DEP_2) | instskip(NEXT) | instid1(VALU_DEP_2)
	v_add_f64_e32 v[12:13], v[4:5], v[18:19]
	v_add_f64_e32 v[14:15], v[14:15], v[32:33]
	s_set_vgpr_msb 1                        ;  msbs: dst=0 src0=1 src1=0 src2=0
	ds_store_b128 v18 /*v274*/, v[12:15]
	s_wait_dscnt 0x0
	s_barrier_signal -1
	s_barrier_wait -1
	s_and_saveexec_b32 s56, s17
	s_set_vgpr_msb 0                        ;  msbs: dst=0 src0=0 src1=0 src2=0
	s_cbranch_execz .LBB124_53
; %bb.52:                               ;   in Loop: Header=BB124_4 Depth=1
	s_set_vgpr_msb 1                        ;  msbs: dst=0 src0=1 src1=0 src2=0
	ds_load_b128 v[4:7], v14 /*v270*/
	ds_load_b128 v[12:15], v14 /*v270*/ offset:16
	s_wait_dscnt 0x0
	s_set_vgpr_msb 0                        ;  msbs: dst=0 src0=0 src1=0 src2=0
	v_add_f64_e32 v[8:9], v[12:13], v[4:5]
	v_add_f64_e32 v[16:17], v[14:15], v[6:7]
	s_set_vgpr_msb 1                        ;  msbs: dst=0 src0=1 src1=0 src2=0
	ds_load_b128 v[4:7], v14 /*v270*/ offset:32
	ds_load_b128 v[12:15], v14 /*v270*/ offset:48
	s_wait_dscnt 0x1
	s_set_vgpr_msb 0                        ;  msbs: dst=0 src0=0 src1=0 src2=0
	v_add_f64_e32 v[4:5], v[8:9], v[4:5]
	v_add_f64_e32 v[6:7], v[16:17], v[6:7]
	s_wait_dscnt 0x0
	s_delay_alu instid0(VALU_DEP_2) | instskip(NEXT) | instid1(VALU_DEP_2)
	v_add_f64_e32 v[8:9], v[4:5], v[12:13]
	v_add_f64_e32 v[16:17], v[6:7], v[14:15]
	s_set_vgpr_msb 1                        ;  msbs: dst=0 src0=1 src1=0 src2=0
	ds_load_b128 v[4:7], v14 /*v270*/ offset:64
	ds_load_b128 v[12:15], v14 /*v270*/ offset:80
	s_wait_dscnt 0x1
	s_set_vgpr_msb 0                        ;  msbs: dst=0 src0=0 src1=0 src2=0
	v_add_f64_e32 v[4:5], v[8:9], v[4:5]
	v_add_f64_e32 v[6:7], v[16:17], v[6:7]
	s_wait_dscnt 0x0
	s_delay_alu instid0(VALU_DEP_2) | instskip(NEXT) | instid1(VALU_DEP_2)
	;; [unrolled: 11-line block ×3, first 2 shown]
	v_add_f64_e32 v[6:7], v[4:5], v[12:13]
	v_add_f64_e32 v[8:9], v[8:9], v[14:15]
.LBB124_53:                             ;   in Loop: Header=BB124_4 Depth=1
	s_or_b32 exec_lo, exec_lo, s56
	v_add_nc_u64_e32 v[12:13], s[50:51], v[10:11]
	s_and_b32 vcc_lo, exec_lo, s61
	s_mov_b32 s56, -1
	s_barrier_signal -1
	s_barrier_wait -1
                                        ; implicit-def: $vgpr4_vgpr5
	s_cbranch_vccz .LBB124_65
; %bb.54:                               ;   in Loop: Header=BB124_4 Depth=1
	s_and_saveexec_b32 s56, s16
	s_delay_alu instid0(SALU_CYCLE_1)
	s_xor_b32 s56, exec_lo, s56
; %bb.55:                               ;   in Loop: Header=BB124_4 Depth=1
	v_dual_mov_b32 v3, v2 :: v_dual_mov_b32 v4, v2
	v_mov_b32_e32 v5, v2
	s_set_vgpr_msb 1                        ;  msbs: dst=0 src0=1 src1=0 src2=0
	ds_store_b128 v7 /*v263*/, v[2:5]
; %bb.56:                               ;   in Loop: Header=BB124_4 Depth=1
	s_or_saveexec_b32 s56, s56
	s_set_vgpr_msb 0                        ;  msbs: dst=0 src0=0 src1=0 src2=0
	v_lshl_add_u64 v[4:5], v[0:1], 4, v[10:11]
	s_delay_alu instid0(VALU_DEP_1) | instskip(NEXT) | instid1(VALU_DEP_1)
	v_lshl_add_u64 v[4:5], s[18:19], 4, v[4:5]
	v_add_nc_u64_e32 v[4:5], s[52:53], v[4:5]
	s_delay_alu instid0(VALU_DEP_1)
	v_dual_cndmask_b32 v15, v5, v13, s1 :: v_dual_cndmask_b32 v14, v4, v12, s1
	s_xor_b32 exec_lo, exec_lo, s56
	s_cbranch_execnz .LBB124_149
; %bb.57:                               ;   in Loop: Header=BB124_4 Depth=1
	s_or_b32 exec_lo, exec_lo, s56
	s_and_saveexec_b32 s56, s10
	s_delay_alu instid0(SALU_CYCLE_1)
	s_xor_b32 s56, exec_lo, s56
	s_cbranch_execnz .LBB124_150
.LBB124_58:                             ;   in Loop: Header=BB124_4 Depth=1
	s_and_not1_saveexec_b32 s56, s56
	s_cbranch_execnz .LBB124_151
.LBB124_59:                             ;   in Loop: Header=BB124_4 Depth=1
	s_or_b32 exec_lo, exec_lo, s56
	s_and_saveexec_b32 s56, s12
	s_delay_alu instid0(SALU_CYCLE_1)
	s_xor_b32 s56, exec_lo, s56
	s_cbranch_execnz .LBB124_152
.LBB124_60:                             ;   in Loop: Header=BB124_4 Depth=1
	s_and_not1_saveexec_b32 s56, s56
	s_cbranch_execnz .LBB124_153
.LBB124_61:                             ;   in Loop: Header=BB124_4 Depth=1
	s_or_b32 exec_lo, exec_lo, s56
	s_and_saveexec_b32 s56, s13
	s_delay_alu instid0(SALU_CYCLE_1)
	s_xor_b32 s56, exec_lo, s56
	s_cbranch_execnz .LBB124_154
.LBB124_62:                             ;   in Loop: Header=BB124_4 Depth=1
	s_and_not1_saveexec_b32 s56, s56
	s_cbranch_execz .LBB124_64
.LBB124_63:                             ;   in Loop: Header=BB124_4 Depth=1
	v_add_nc_u64_e32 v[4:5], s[44:45], v[14:15]
	global_load_b128 v[16:19], v[4:5], off
	s_wait_loadcnt 0x0
	s_set_vgpr_msb 1                        ;  msbs: dst=0 src0=1 src1=0 src2=0
	ds_store_2addr_b64 v29 /*v285*/, v[16:17], v[18:19] offset1:1
.LBB124_64:                             ;   in Loop: Header=BB124_4 Depth=1
	s_wait_xcnt 0x0
	s_or_b32 exec_lo, exec_lo, s56
	s_set_vgpr_msb 0                        ;  msbs: dst=0 src0=0 src1=0 src2=0
	v_mov_b32_e32 v227, v2
	s_mov_b32 s56, 0
	s_delay_alu instid0(VALU_DEP_1) | instskip(NEXT) | instid1(VALU_DEP_1)
	v_add_nc_u64_e32 v[4:5], v[14:15], v[226:227]
	v_lshl_add_u64 v[4:5], s[54:55], 4, v[4:5]
	s_delay_alu instid0(VALU_DEP_1) | instskip(NEXT) | instid1(VALU_DEP_1)
	v_add_nc_u64_e32 v[4:5], 16, v[4:5]
	v_dual_cndmask_b32 v5, v5, v13, s1 :: v_dual_cndmask_b32 v4, v4, v12, s1
.LBB124_65:                             ;   in Loop: Header=BB124_4 Depth=1
	s_and_b32 vcc_lo, exec_lo, s56
	s_cbranch_vccz .LBB124_67
; %bb.66:                               ;   in Loop: Header=BB124_4 Depth=1
	v_add_nc_u64_e32 v[4:5], s[40:41], v[10:11]
	s_delay_alu instid0(VALU_DEP_1) | instskip(NEXT) | instid1(VALU_DEP_1)
	v_add_nc_u64_e32 v[10:11], s[40:41], v[4:5]
	v_add_nc_u64_e32 v[26:27], s[40:41], v[10:11]
	s_clause 0x3
	global_load_b128 v[14:17], v[12:13], off
	global_load_b128 v[18:21], v[4:5], off offset:-512
	global_load_b128 v[22:25], v[10:11], off offset:-512
	;; [unrolled: 1-line block ×3, first 2 shown]
	s_wait_xcnt 0x2
	v_mov_b64_e32 v[4:5], v[12:13]
	s_wait_loadcnt 0x3
	s_set_vgpr_msb 1                        ;  msbs: dst=0 src0=1 src1=0 src2=0
	ds_store_2addr_b64 v7 /*v263*/, v[14:15], v[16:17] offset1:1
	s_wait_loadcnt 0x2
	ds_store_2addr_b64 v27 /*v283*/, v[18:19], v[20:21] offset1:1
	s_wait_loadcnt 0x1
	ds_store_2addr_b64 v28 /*v284*/, v[22:23], v[24:25] offset1:1
	s_wait_loadcnt 0x0
	ds_store_2addr_b64 v29 /*v285*/, v[26:27], v[28:29] offset1:1
.LBB124_67:                             ;   in Loop: Header=BB124_4 Depth=1
	s_wait_dscnt 0x0
	s_barrier_signal -1
	s_barrier_wait -1
	s_wait_xcnt 0x1
	s_set_vgpr_msb 1                        ;  msbs: dst=0 src0=1 src1=0 src2=0
	ds_load_b128 v[10:13], v24 /*v280*/
	ds_load_b128 v[14:17], v19 /*v275*/
	ds_load_b128 v[18:21], v18 /*v274*/ offset:384
	ds_load_b128 v[22:25], v19 /*v275*/ offset:384
	s_wait_xcnt 0x0
	ds_load_b128 v[26:29], v19 /*v275*/ offset:128
	ds_load_b128 v[30:33], v18 /*v274*/ offset:128
	;; [unrolled: 1-line block ×4, first 2 shown]
	s_wait_dscnt 0x6
	s_set_vgpr_msb 0                        ;  msbs: dst=0 src0=0 src1=0 src2=0
	v_mul_f64_e32 v[44:45], v[12:13], v[16:17]
	v_mul_f64_e32 v[16:17], v[10:11], v[16:17]
	s_wait_dscnt 0x2
	v_mul_f64_e32 v[46:47], v[32:33], v[28:29]
	v_mul_f64_e32 v[28:29], v[30:31], v[28:29]
	s_delay_alu instid0(VALU_DEP_4) | instskip(NEXT) | instid1(VALU_DEP_4)
	v_fma_f64 v[10:11], v[10:11], v[14:15], -v[44:45]
	v_fmac_f64_e32 v[16:17], v[12:13], v[14:15]
	s_wait_dscnt 0x0
	v_mul_f64_e32 v[12:13], v[36:37], v[40:41]
	v_mul_f64_e32 v[14:15], v[34:35], v[40:41]
	v_fma_f64 v[30:31], v[30:31], v[26:27], -v[46:47]
	v_fmac_f64_e32 v[28:29], v[32:33], v[26:27]
	v_mul_f64_e32 v[26:27], v[20:21], v[24:25]
	v_mul_f64_e32 v[24:25], v[18:19], v[24:25]
	v_add_f64_e32 v[10:11], 0, v[10:11]
	v_add_f64_e32 v[16:17], 0, v[16:17]
	v_fma_f64 v[12:13], v[34:35], v[38:39], -v[12:13]
	v_fmac_f64_e32 v[14:15], v[36:37], v[38:39]
	v_fma_f64 v[18:19], v[18:19], v[22:23], -v[26:27]
	v_fmac_f64_e32 v[24:25], v[20:21], v[22:23]
	v_add_f64_e32 v[10:11], v[10:11], v[30:31]
	v_add_f64_e32 v[16:17], v[16:17], v[28:29]
	s_delay_alu instid0(VALU_DEP_2) | instskip(NEXT) | instid1(VALU_DEP_2)
	v_add_f64_e32 v[10:11], v[10:11], v[12:13]
	v_add_f64_e32 v[12:13], v[16:17], v[14:15]
	s_delay_alu instid0(VALU_DEP_2) | instskip(NEXT) | instid1(VALU_DEP_2)
	v_add_f64_e32 v[44:45], v[10:11], v[18:19]
	v_add_f64_e32 v[46:47], v[12:13], v[24:25]
	s_set_vgpr_msb 1                        ;  msbs: dst=0 src0=1 src1=0 src2=0
	ds_load_b128 v[34:37], v16 /*v272*/ offset:512
	ds_load_b128 v[26:29], v16 /*v272*/ offset:528
	;; [unrolled: 1-line block ×4, first 2 shown]
	ds_load_b128 v[38:41], v15 /*v271*/
	ds_load_b128 v[30:33], v13 /*v269*/
	;; [unrolled: 1-line block ×4, first 2 shown]
	s_wait_dscnt 0x0
	s_barrier_signal -1
	s_barrier_wait -1
	ds_store_b128 v18 /*v274*/, v[44:47]
	s_wait_dscnt 0x0
	s_barrier_signal -1
	s_barrier_wait -1
	s_and_saveexec_b32 s56, s17
	s_set_vgpr_msb 0                        ;  msbs: dst=0 src0=0 src1=0 src2=0
	s_cbranch_execz .LBB124_69
; %bb.68:                               ;   in Loop: Header=BB124_4 Depth=1
	s_set_vgpr_msb 1                        ;  msbs: dst=0 src0=1 src1=0 src2=0
	ds_load_b128 v[44:47], v14 /*v270*/
	ds_load_b128 v[48:51], v14 /*v270*/ offset:16
	s_wait_dscnt 0x1
	s_set_vgpr_msb 0                        ;  msbs: dst=0 src0=0 src1=0 src2=0
	v_add_f64_e32 v[6:7], v[6:7], v[44:45]
	v_add_f64_e32 v[8:9], v[8:9], v[46:47]
	s_wait_dscnt 0x0
	s_delay_alu instid0(VALU_DEP_2) | instskip(NEXT) | instid1(VALU_DEP_2)
	v_add_f64_e32 v[48:49], v[6:7], v[48:49]
	v_add_f64_e32 v[50:51], v[8:9], v[50:51]
	s_set_vgpr_msb 1                        ;  msbs: dst=0 src0=1 src1=0 src2=0
	ds_load_b128 v[6:9], v14 /*v270*/ offset:32
	ds_load_b128 v[44:47], v14 /*v270*/ offset:48
	s_wait_dscnt 0x1
	s_set_vgpr_msb 0                        ;  msbs: dst=0 src0=0 src1=0 src2=0
	v_add_f64_e32 v[6:7], v[48:49], v[6:7]
	v_add_f64_e32 v[8:9], v[50:51], v[8:9]
	s_wait_dscnt 0x0
	s_delay_alu instid0(VALU_DEP_2) | instskip(NEXT) | instid1(VALU_DEP_2)
	v_add_f64_e32 v[48:49], v[6:7], v[44:45]
	v_add_f64_e32 v[50:51], v[8:9], v[46:47]
	s_set_vgpr_msb 1                        ;  msbs: dst=0 src0=1 src1=0 src2=0
	ds_load_b128 v[6:9], v14 /*v270*/ offset:64
	;; [unrolled: 11-line block ×3, first 2 shown]
	ds_load_b128 v[44:47], v14 /*v270*/ offset:112
	s_wait_dscnt 0x1
	s_set_vgpr_msb 0                        ;  msbs: dst=0 src0=0 src1=0 src2=0
	v_add_f64_e32 v[6:7], v[48:49], v[6:7]
	v_add_f64_e32 v[8:9], v[50:51], v[8:9]
	s_wait_dscnt 0x0
	s_delay_alu instid0(VALU_DEP_2) | instskip(NEXT) | instid1(VALU_DEP_2)
	v_add_f64_e32 v[6:7], v[6:7], v[44:45]
	v_add_f64_e32 v[8:9], v[8:9], v[46:47]
.LBB124_69:                             ;   in Loop: Header=BB124_4 Depth=1
	s_or_b32 exec_lo, exec_lo, s56
	v_mul_f64_e32 v[44:45], v[36:37], v[40:41]
	v_mul_f64_e32 v[40:41], v[34:35], v[40:41]
	;; [unrolled: 1-line block ×4, first 2 shown]
	s_barrier_signal -1
	s_barrier_wait -1
	s_delay_alu instid0(VALU_DEP_4) | instskip(NEXT) | instid1(VALU_DEP_4)
	v_fma_f64 v[34:35], v[34:35], v[38:39], -v[44:45]
	v_fmac_f64_e32 v[40:41], v[36:37], v[38:39]
	v_mul_f64_e32 v[36:37], v[16:17], v[24:25]
	v_mul_f64_e32 v[24:25], v[14:15], v[24:25]
	v_fma_f64 v[26:27], v[26:27], v[30:31], -v[46:47]
	v_fmac_f64_e32 v[32:33], v[28:29], v[30:31]
	v_add_f64_e32 v[28:29], 0, v[34:35]
	v_add_f64_e32 v[30:31], 0, v[40:41]
	v_mul_f64_e32 v[34:35], v[12:13], v[20:21]
	v_mul_f64_e32 v[20:21], v[10:11], v[20:21]
	v_fma_f64 v[14:15], v[14:15], v[22:23], -v[36:37]
	v_fmac_f64_e32 v[24:25], v[16:17], v[22:23]
	v_add_f64_e32 v[16:17], v[28:29], v[26:27]
	v_add_f64_e32 v[22:23], v[30:31], v[32:33]
	v_fma_f64 v[10:11], v[10:11], v[18:19], -v[34:35]
	v_fmac_f64_e32 v[20:21], v[12:13], v[18:19]
	s_delay_alu instid0(VALU_DEP_4) | instskip(NEXT) | instid1(VALU_DEP_4)
	v_add_f64_e32 v[12:13], v[16:17], v[14:15]
	v_add_f64_e32 v[14:15], v[22:23], v[24:25]
	s_delay_alu instid0(VALU_DEP_2) | instskip(NEXT) | instid1(VALU_DEP_2)
	v_add_f64_e32 v[10:11], v[12:13], v[10:11]
	v_add_f64_e32 v[12:13], v[14:15], v[20:21]
	s_set_vgpr_msb 1                        ;  msbs: dst=0 src0=1 src1=0 src2=0
	ds_store_b128 v18 /*v274*/, v[10:13]
	s_wait_dscnt 0x0
	s_barrier_signal -1
	s_barrier_wait -1
	s_and_saveexec_b32 s56, s11
	s_set_vgpr_msb 0                        ;  msbs: dst=0 src0=0 src1=0 src2=0
	s_cbranch_execz .LBB124_71
; %bb.70:                               ;   in Loop: Header=BB124_4 Depth=1
	s_set_vgpr_msb 1                        ;  msbs: dst=0 src0=1 src1=0 src2=0
	ds_load_b128 v[10:13], v14 /*v270*/
	ds_load_b128 v[14:17], v14 /*v270*/ offset:16
	s_wait_dscnt 0x1
	s_set_vgpr_msb 0                        ;  msbs: dst=0 src0=0 src1=0 src2=0
	v_add_f64_e32 v[6:7], v[6:7], v[10:11]
	v_add_f64_e32 v[8:9], v[8:9], v[12:13]
	s_wait_dscnt 0x0
	s_delay_alu instid0(VALU_DEP_2) | instskip(NEXT) | instid1(VALU_DEP_2)
	v_add_f64_e32 v[14:15], v[6:7], v[14:15]
	v_add_f64_e32 v[16:17], v[8:9], v[16:17]
	s_set_vgpr_msb 1                        ;  msbs: dst=0 src0=1 src1=0 src2=0
	ds_load_b128 v[6:9], v14 /*v270*/ offset:32
	ds_load_b128 v[10:13], v14 /*v270*/ offset:48
	s_wait_dscnt 0x1
	s_set_vgpr_msb 0                        ;  msbs: dst=0 src0=0 src1=0 src2=0
	v_add_f64_e32 v[6:7], v[14:15], v[6:7]
	v_add_f64_e32 v[8:9], v[16:17], v[8:9]
	s_wait_dscnt 0x0
	s_delay_alu instid0(VALU_DEP_2) | instskip(NEXT) | instid1(VALU_DEP_2)
	v_add_f64_e32 v[14:15], v[6:7], v[10:11]
	v_add_f64_e32 v[16:17], v[8:9], v[12:13]
	s_set_vgpr_msb 1                        ;  msbs: dst=0 src0=1 src1=0 src2=0
	ds_load_b128 v[6:9], v14 /*v270*/ offset:64
	;; [unrolled: 11-line block ×3, first 2 shown]
	ds_load_b128 v[10:13], v14 /*v270*/ offset:112
	s_wait_dscnt 0x1
	s_set_vgpr_msb 0                        ;  msbs: dst=0 src0=0 src1=0 src2=0
	v_add_f64_e32 v[6:7], v[14:15], v[6:7]
	v_add_f64_e32 v[8:9], v[16:17], v[8:9]
	s_wait_dscnt 0x0
	s_delay_alu instid0(VALU_DEP_2) | instskip(NEXT) | instid1(VALU_DEP_2)
	v_add_f64_e32 v[6:7], v[6:7], v[10:11]
	v_add_f64_e32 v[8:9], v[8:9], v[12:13]
.LBB124_71:                             ;   in Loop: Header=BB124_4 Depth=1
	s_or_b32 exec_lo, exec_lo, s56
	s_mul_u64 s[56:57], s[24:25], s[34:35]
	s_and_not1_b32 vcc_lo, exec_lo, s37
	s_lshl_b64 s[56:57], s[56:57], 4
	s_delay_alu instid0(SALU_CYCLE_1)
	s_add_nc_u64 s[56:57], s[26:27], s[56:57]
	s_barrier_signal -1
	s_barrier_wait -1
	s_cbranch_vccnz .LBB124_129
; %bb.72:                               ;   in Loop: Header=BB124_4 Depth=1
	v_add_nc_u64_e32 v[228:229], v[4:5], v[194:195]
	v_add_nc_u64_e32 v[230:231], v[4:5], v[196:197]
	;; [unrolled: 1-line block ×14, first 2 shown]
	s_set_vgpr_msb 64                       ;  msbs: dst=1 src0=0 src1=0 src2=0
	v_add_nc_u64_e32 v[0:1] /*v[256:257]*/, v[4:5], v[222:223]
	v_add_nc_u64_e32 v[2:3] /*v[258:259]*/, v[4:5], v[224:225]
	v_lshl_add_u64 v[4:5] /*v[260:261]*/, s[48:49], 4, v[42:43]
	s_mov_b32 s58, s65
	s_mov_b32 s66, s38
	s_delay_alu instid0(SALU_CYCLE_1)
	s_cmp_eq_u32 s39, s66
	s_cselect_b32 s67, s60, 0
	s_and_saveexec_b32 s68, s0
	s_set_vgpr_msb 0                        ;  msbs: dst=0 src0=0 src1=0 src2=0
	s_cbranch_execz .LBB124_77
.LBB124_73:                             ;   in Loop: Header=BB124_4 Depth=1
	s_set_vgpr_msb 4                        ;  msbs: dst=0 src0=0 src1=1 src2=0
	v_cmp_le_i32_e32 vcc_lo, s67, v6 /*v262*/
	s_cmp_lg_u32 s67, 0
	s_cselect_b32 s59, -1, 0
	s_delay_alu instid0(SALU_CYCLE_1) | instskip(NEXT) | instid1(SALU_CYCLE_1)
	s_and_b32 s59, s59, vcc_lo
	s_and_saveexec_b32 s69, s59
	s_delay_alu instid0(SALU_CYCLE_1)
	s_xor_b32 s59, exec_lo, s69
; %bb.74:                               ;   in Loop: Header=BB124_4 Depth=1
	v_dual_mov_b32 v3, v2 :: v_dual_mov_b32 v4, v2
	v_mov_b32_e32 v5, v2
	s_set_vgpr_msb 1                        ;  msbs: dst=0 src0=1 src1=0 src2=0
	ds_store_b128 v38 /*v294*/, v[2:5]
; %bb.75:                               ;   in Loop: Header=BB124_4 Depth=1
	s_and_not1_saveexec_b32 s59, s59
	s_set_vgpr_msb 0                        ;  msbs: dst=0 src0=0 src1=0 src2=0
	s_cbranch_execz .LBB124_77
; %bb.76:                               ;   in Loop: Header=BB124_4 Depth=1
	s_ashr_i32 s59, s58, 31
	s_delay_alu instid0(SALU_CYCLE_1)
	s_mul_u64 s[70:71], s[28:29], s[58:59]
	s_set_vgpr_msb 16                       ;  msbs: dst=0 src0=0 src1=0 src2=1
	v_lshl_add_u64 v[4:5], s[70:71], 4, v[4:5] /*v[260:261]*/
	global_load_b128 v[10:13], v[4:5], off
	s_wait_loadcnt 0x0
	s_set_vgpr_msb 1                        ;  msbs: dst=0 src0=1 src1=0 src2=0
	ds_store_2addr_b64 v38 /*v294*/, v[10:11], v[12:13] offset1:1
.LBB124_77:                             ;   Parent Loop BB124_4 Depth=1
                                        ; =>  This Inner Loop Header: Depth=2
	s_wait_xcnt 0x0
	s_or_b32 exec_lo, exec_lo, s68
	s_cmp_eq_u32 s67, 0
	s_set_vgpr_msb 0                        ;  msbs: dst=0 src0=0 src1=0 src2=0
	v_add_nc_u64_e32 v[4:5], v[228:229], v[186:187]
	s_cselect_b32 s59, -1, 0
	s_cmp_lg_u32 s67, 0
	s_wait_dscnt 0x0
	s_cselect_b32 s68, -1, 0
	s_barrier_signal -1
	s_and_b32 vcc_lo, exec_lo, s68
	s_barrier_wait -1
	s_cbranch_vccz .LBB124_85
; %bb.78:                               ;   in Loop: Header=BB124_77 Depth=2
	v_mov_b64_e32 v[10:11], 0
	v_mov_b64_e32 v[14:15], 0
	;; [unrolled: 1-line block ×3, first 2 shown]
	s_mov_b32 s69, exec_lo
	s_set_vgpr_msb 4                        ;  msbs: dst=0 src0=0 src1=1 src2=0
	v_cmpx_gt_i32_e64 s67, v20 /*v276*/
	s_set_vgpr_msb 0                        ;  msbs: dst=0 src0=0 src1=0 src2=0
	s_cbranch_execz .LBB124_80
; %bb.79:                               ;   in Loop: Header=BB124_77 Depth=2
	global_load_b128 v[14:17], v[4:5], off offset:-8
.LBB124_80:                             ;   in Loop: Header=BB124_77 Depth=2
	s_wait_xcnt 0x0
	s_or_b32 exec_lo, exec_lo, s69
	v_mov_b64_e32 v[12:13], 0
	s_mov_b32 s69, exec_lo
	s_set_vgpr_msb 4                        ;  msbs: dst=0 src0=0 src1=1 src2=0
	v_cmpx_gt_i32_e64 s67, v39 /*v295*/
	s_set_vgpr_msb 0                        ;  msbs: dst=0 src0=0 src1=0 src2=0
	s_cbranch_execz .LBB124_82
; %bb.81:                               ;   in Loop: Header=BB124_77 Depth=2
	v_add_nc_u64_e32 v[10:11], v[236:237], v[186:187]
	global_load_b128 v[10:13], v[10:11], off offset:-8
.LBB124_82:                             ;   in Loop: Header=BB124_77 Depth=2
	s_wait_xcnt 0x0
	s_or_b32 exec_lo, exec_lo, s69
	v_mov_b64_e32 v[18:19], 0
	v_mov_b64_e32 v[20:21], 0
	s_mov_b32 s69, exec_lo
	s_set_vgpr_msb 4                        ;  msbs: dst=0 src0=0 src1=1 src2=0
	v_cmpx_gt_i32_e64 s67, v40 /*v296*/
	s_set_vgpr_msb 0                        ;  msbs: dst=0 src0=0 src1=0 src2=0
	s_cbranch_execz .LBB124_84
; %bb.83:                               ;   in Loop: Header=BB124_77 Depth=2
	v_add_nc_u64_e32 v[18:19], v[232:233], v[186:187]
	global_load_b128 v[18:21], v[18:19], off
.LBB124_84:                             ;   in Loop: Header=BB124_77 Depth=2
	s_wait_xcnt 0x0
	s_or_b32 exec_lo, exec_lo, s69
	s_set_vgpr_msb 4                        ;  msbs: dst=0 src0=0 src1=1 src2=0
	v_cmp_gt_i32_e64 s69, s67, v41 /*v297*/
	s_set_vgpr_msb 0                        ;  msbs: dst=0 src0=0 src1=0 src2=0
	s_branch .LBB124_87
.LBB124_85:                             ;   in Loop: Header=BB124_77 Depth=2
	s_mov_b32 s69, 0
                                        ; implicit-def: $vgpr20_vgpr21
                                        ; implicit-def: $vgpr12_vgpr13
                                        ; implicit-def: $vgpr16_vgpr17
	s_cbranch_execz .LBB124_87
; %bb.86:                               ;   in Loop: Header=BB124_77 Depth=2
	s_wait_loadcnt 0x0
	v_add_nc_u64_e32 v[10:11], v[236:237], v[186:187]
	v_add_nc_u64_e32 v[18:19], v[232:233], v[186:187]
	s_or_b32 s69, s69, exec_lo
	global_load_b128 v[14:17], v[4:5], off offset:-8
	global_load_b128 v[10:13], v[10:11], off offset:-8
	global_load_b128 v[18:21], v[18:19], off
.LBB124_87:                             ;   in Loop: Header=BB124_77 Depth=2
	v_mov_b64_e32 v[22:23], 0
	v_mov_b64_e32 v[24:25], 0
	s_wait_xcnt 0x0
	s_and_saveexec_b32 s70, s69
	s_cbranch_execz .LBB124_89
; %bb.88:                               ;   in Loop: Header=BB124_77 Depth=2
	v_add_nc_u64_e32 v[4:5], v[240:241], v[186:187]
	global_load_b128 v[22:25], v[4:5], off offset:-8
.LBB124_89:                             ;   in Loop: Header=BB124_77 Depth=2
	s_wait_xcnt 0x0
	s_or_b32 exec_lo, exec_lo, s70
	s_set_vgpr_msb 1                        ;  msbs: dst=0 src0=1 src1=0 src2=0
	ds_load_b128 v[30:33], v26 /*v282*/
	ds_load_b128 v[26:29], v8 /*v264*/
	v_cndmask_b32_e64 v3, 0, 1, s68
	s_and_not1_b32 vcc_lo, exec_lo, s68
	s_wait_loadcnt_dscnt 0x1
	s_set_vgpr_msb 0                        ;  msbs: dst=0 src0=0 src1=0 src2=0
	v_mul_f64_e32 v[4:5], v[16:17], v[32:33]
	v_mul_f64_e32 v[44:45], v[14:15], v[32:33]
	;; [unrolled: 1-line block ×8, first 2 shown]
	v_fma_f64 v[42:43], v[14:15], v[30:31], -v[4:5]
	v_fmac_f64_e32 v[44:45], v[16:17], v[30:31]
	v_fma_f64 v[46:47], v[10:11], v[30:31], -v[34:35]
	v_fmac_f64_e32 v[48:49], v[12:13], v[30:31]
	;; [unrolled: 2-line block ×4, first 2 shown]
	s_set_vgpr_msb 1                        ;  msbs: dst=0 src0=1 src1=0 src2=0
	ds_load_b128 v[38:41], v8 /*v264*/ offset:16
	ds_load_b128 v[34:37], v8 /*v264*/ offset:32
	;; [unrolled: 1-line block ×3, first 2 shown]
	s_set_vgpr_msb 0                        ;  msbs: dst=0 src0=0 src1=0 src2=0
	v_add_nc_u64_e32 v[4:5], v[244:245], v[186:187]
	s_set_vgpr_msb 1                        ;  msbs: dst=0 src0=1 src1=0 src2=0
	ds_store_b128 v21 /*v277*/, v[42:45]
	ds_store_b128 v21 /*v277*/, v[46:49] offset:1072
	ds_store_b128 v21 /*v277*/, v[50:53] offset:2144
	;; [unrolled: 1-line block ×3, first 2 shown]
	s_wait_dscnt 0x0
	s_barrier_signal -1
	s_barrier_wait -1
	ds_load_b128 v[98:101], v9 /*v265*/
	ds_load_b128 v[94:97], v9 /*v265*/ offset:16
	ds_load_b128 v[90:93], v9 /*v265*/ offset:32
	;; [unrolled: 1-line block ×3, first 2 shown]
	s_wait_dscnt 0x0
	s_barrier_signal -1
	s_barrier_wait -1
	s_set_vgpr_msb 0                        ;  msbs: dst=0 src0=0 src1=0 src2=0
	s_cbranch_vccnz .LBB124_97
; %bb.90:                               ;   in Loop: Header=BB124_77 Depth=2
	v_mov_b64_e32 v[42:43], 0
	v_mov_b64_e32 v[46:47], 0
	;; [unrolled: 1-line block ×3, first 2 shown]
	s_mov_b32 s68, exec_lo
	s_set_vgpr_msb 4                        ;  msbs: dst=0 src0=0 src1=1 src2=0
	v_cmpx_gt_i32_e64 s67, v42 /*v298*/
	s_set_vgpr_msb 0                        ;  msbs: dst=0 src0=0 src1=0 src2=0
	s_cbranch_execz .LBB124_92
; %bb.91:                               ;   in Loop: Header=BB124_77 Depth=2
	global_load_b128 v[46:49], v[4:5], off offset:-8
.LBB124_92:                             ;   in Loop: Header=BB124_77 Depth=2
	s_wait_xcnt 0x0
	s_or_b32 exec_lo, exec_lo, s68
	v_mov_b64_e32 v[44:45], 0
	s_mov_b32 s68, exec_lo
	s_set_vgpr_msb 4                        ;  msbs: dst=0 src0=0 src1=1 src2=0
	v_cmpx_gt_i32_e64 s67, v43 /*v299*/
	s_set_vgpr_msb 0                        ;  msbs: dst=0 src0=0 src1=0 src2=0
	s_cbranch_execz .LBB124_94
; %bb.93:                               ;   in Loop: Header=BB124_77 Depth=2
	v_add_nc_u64_e32 v[42:43], v[248:249], v[186:187]
	global_load_b128 v[42:45], v[42:43], off offset:-8
.LBB124_94:                             ;   in Loop: Header=BB124_77 Depth=2
	s_wait_xcnt 0x0
	s_or_b32 exec_lo, exec_lo, s68
	v_mov_b64_e32 v[50:51], 0
	v_mov_b64_e32 v[52:53], 0
	s_mov_b32 s68, exec_lo
	s_set_vgpr_msb 4                        ;  msbs: dst=0 src0=0 src1=1 src2=0
	v_cmpx_gt_i32_e64 s67, v44 /*v300*/
	s_set_vgpr_msb 0                        ;  msbs: dst=0 src0=0 src1=0 src2=0
	s_cbranch_execz .LBB124_96
; %bb.95:                               ;   in Loop: Header=BB124_77 Depth=2
	v_add_nc_u64_e32 v[50:51], v[252:253], v[186:187]
	global_load_b128 v[50:53], v[50:51], off offset:-8
.LBB124_96:                             ;   in Loop: Header=BB124_77 Depth=2
	s_wait_xcnt 0x0
	s_or_b32 exec_lo, exec_lo, s68
	s_set_vgpr_msb 4                        ;  msbs: dst=0 src0=0 src1=1 src2=0
	v_cmp_gt_i32_e64 s68, s67, v45 /*v301*/
	s_set_vgpr_msb 0                        ;  msbs: dst=0 src0=0 src1=0 src2=0
	s_branch .LBB124_99
.LBB124_97:                             ;   in Loop: Header=BB124_77 Depth=2
	s_mov_b32 s68, 0
                                        ; implicit-def: $vgpr52_vgpr53
                                        ; implicit-def: $vgpr44_vgpr45
                                        ; implicit-def: $vgpr48_vgpr49
	s_cbranch_execz .LBB124_99
; %bb.98:                               ;   in Loop: Header=BB124_77 Depth=2
	s_wait_loadcnt 0x0
	v_add_nc_u64_e32 v[42:43], v[248:249], v[186:187]
	v_add_nc_u64_e32 v[50:51], v[252:253], v[186:187]
	s_or_b32 s68, s68, exec_lo
	global_load_b128 v[46:49], v[4:5], off offset:-8
	global_load_b128 v[42:45], v[42:43], off offset:-8
	;; [unrolled: 1-line block ×3, first 2 shown]
.LBB124_99:                             ;   in Loop: Header=BB124_77 Depth=2
	v_mov_b64_e32 v[54:55], 0
	v_mov_b64_e32 v[56:57], 0
	s_wait_xcnt 0x0
	s_and_saveexec_b32 s69, s68
	s_cbranch_execz .LBB124_101
; %bb.100:                              ;   in Loop: Header=BB124_77 Depth=2
	s_set_vgpr_msb 1                        ;  msbs: dst=0 src0=1 src1=0 src2=0
	v_add_nc_u64_e32 v[4:5], v[0:1] /*v[256:257]*/, v[186:187]
	s_set_vgpr_msb 0                        ;  msbs: dst=0 src0=0 src1=0 src2=0
	global_load_b128 v[54:57], v[4:5], off offset:-8
.LBB124_101:                            ;   in Loop: Header=BB124_77 Depth=2
	s_wait_xcnt 0x0
	s_or_b32 exec_lo, exec_lo, s69
	s_set_vgpr_msb 1                        ;  msbs: dst=0 src0=1 src1=0 src2=0
	ds_load_b128 v[62:65], v26 /*v282*/
	ds_load_b128 v[58:61], v8 /*v264*/ offset:256
	v_cmp_ne_u32_e32 vcc_lo, 1, v3
	s_and_b32 vcc_lo, exec_lo, vcc_lo
	s_wait_loadcnt_dscnt 0x1
	s_set_vgpr_msb 0                        ;  msbs: dst=0 src0=0 src1=0 src2=0
	v_mul_f64_e32 v[4:5], v[48:49], v[64:65]
	v_mul_f64_e32 v[72:73], v[46:47], v[64:65]
	;; [unrolled: 1-line block ×8, first 2 shown]
	v_fma_f64 v[70:71], v[46:47], v[62:63], -v[4:5]
	v_fmac_f64_e32 v[72:73], v[48:49], v[62:63]
	v_fma_f64 v[78:79], v[42:43], v[62:63], -v[66:67]
	v_fmac_f64_e32 v[80:81], v[44:45], v[62:63]
	;; [unrolled: 2-line block ×4, first 2 shown]
	s_set_vgpr_msb 1                        ;  msbs: dst=0 src0=1 src1=0 src2=0
	ds_load_b128 v[74:77], v8 /*v264*/ offset:272
	ds_load_b128 v[66:69], v8 /*v264*/ offset:288
	;; [unrolled: 1-line block ×3, first 2 shown]
	v_add_nc_u64_e32 v[4:5], v[2:3] /*v[258:259]*/, v[186:187]
	ds_store_b128 v21 /*v277*/, v[70:73]
	ds_store_b128 v21 /*v277*/, v[78:81] offset:1072
	ds_store_b128 v21 /*v277*/, v[82:85] offset:2144
	;; [unrolled: 1-line block ×3, first 2 shown]
	s_wait_dscnt 0x0
	s_barrier_signal -1
	s_barrier_wait -1
	ds_load_b128 v[150:153], v9 /*v265*/
	ds_load_b128 v[146:149], v9 /*v265*/ offset:16
	ds_load_b128 v[138:141], v9 /*v265*/ offset:32
	;; [unrolled: 1-line block ×3, first 2 shown]
	s_wait_dscnt 0x0
	s_barrier_signal -1
	s_barrier_wait -1
	s_set_vgpr_msb 0                        ;  msbs: dst=0 src0=0 src1=0 src2=0
	s_cbranch_vccnz .LBB124_109
; %bb.102:                              ;   in Loop: Header=BB124_77 Depth=2
	v_mov_b64_e32 v[70:71], 0
	v_mov_b64_e32 v[78:79], 0
	v_mov_b64_e32 v[80:81], 0
	s_mov_b32 s68, exec_lo
	s_set_vgpr_msb 4                        ;  msbs: dst=0 src0=0 src1=1 src2=0
	v_cmpx_gt_i32_e64 s67, v46 /*v302*/
	s_set_vgpr_msb 0                        ;  msbs: dst=0 src0=0 src1=0 src2=0
	s_cbranch_execz .LBB124_104
; %bb.103:                              ;   in Loop: Header=BB124_77 Depth=2
	global_load_b128 v[78:81], v[4:5], off offset:-8
.LBB124_104:                            ;   in Loop: Header=BB124_77 Depth=2
	s_wait_xcnt 0x0
	s_or_b32 exec_lo, exec_lo, s68
	v_mov_b64_e32 v[72:73], 0
	s_mov_b32 s68, exec_lo
	s_set_vgpr_msb 4                        ;  msbs: dst=0 src0=0 src1=1 src2=0
	v_cmpx_gt_i32_e64 s67, v47 /*v303*/
	s_set_vgpr_msb 0                        ;  msbs: dst=0 src0=0 src1=0 src2=0
	s_cbranch_execz .LBB124_106
; %bb.105:                              ;   in Loop: Header=BB124_77 Depth=2
	v_add_nc_u64_e32 v[70:71], v[254:255], v[186:187]
	global_load_b128 v[70:73], v[70:71], off
.LBB124_106:                            ;   in Loop: Header=BB124_77 Depth=2
	s_wait_xcnt 0x0
	s_or_b32 exec_lo, exec_lo, s68
	v_mov_b64_e32 v[82:83], 0
	v_mov_b64_e32 v[84:85], 0
	s_mov_b32 s68, exec_lo
	s_set_vgpr_msb 4                        ;  msbs: dst=0 src0=0 src1=1 src2=0
	v_cmpx_gt_i32_e64 s67, v48 /*v304*/
	s_set_vgpr_msb 0                        ;  msbs: dst=0 src0=0 src1=0 src2=0
	s_cbranch_execz .LBB124_108
; %bb.107:                              ;   in Loop: Header=BB124_77 Depth=2
	v_add_nc_u64_e32 v[82:83], v[250:251], v[186:187]
	global_load_b128 v[82:85], v[82:83], off
.LBB124_108:                            ;   in Loop: Header=BB124_77 Depth=2
	s_wait_xcnt 0x0
	s_or_b32 exec_lo, exec_lo, s68
	s_set_vgpr_msb 4                        ;  msbs: dst=0 src0=0 src1=1 src2=0
	v_cmp_gt_i32_e64 s68, s67, v49 /*v305*/
	s_set_vgpr_msb 0                        ;  msbs: dst=0 src0=0 src1=0 src2=0
	s_branch .LBB124_111
.LBB124_109:                            ;   in Loop: Header=BB124_77 Depth=2
	s_mov_b32 s68, 0
                                        ; implicit-def: $vgpr84_vgpr85
                                        ; implicit-def: $vgpr72_vgpr73
                                        ; implicit-def: $vgpr80_vgpr81
	s_cbranch_execz .LBB124_111
; %bb.110:                              ;   in Loop: Header=BB124_77 Depth=2
	s_wait_loadcnt 0x0
	v_add_nc_u64_e32 v[70:71], v[254:255], v[186:187]
	v_add_nc_u64_e32 v[82:83], v[250:251], v[186:187]
	s_or_b32 s68, s68, exec_lo
	global_load_b128 v[78:81], v[4:5], off offset:-8
	global_load_b128 v[70:73], v[70:71], off
	global_load_b128 v[82:85], v[82:83], off
.LBB124_111:                            ;   in Loop: Header=BB124_77 Depth=2
	v_mov_b64_e32 v[102:103], 0
	v_mov_b64_e32 v[104:105], 0
	s_wait_xcnt 0x0
	s_and_saveexec_b32 s69, s68
	s_cbranch_execz .LBB124_113
; %bb.112:                              ;   in Loop: Header=BB124_77 Depth=2
	v_add_nc_u64_e32 v[4:5], v[246:247], v[186:187]
	global_load_b128 v[102:105], v[4:5], off
.LBB124_113:                            ;   in Loop: Header=BB124_77 Depth=2
	s_wait_xcnt 0x0
	s_or_b32 exec_lo, exec_lo, s69
	s_set_vgpr_msb 1                        ;  msbs: dst=0 src0=1 src1=0 src2=0
	ds_load_b128 v[106:109], v26 /*v282*/
	v_cmp_ne_u32_e32 vcc_lo, 1, v3
	s_and_b32 vcc_lo, exec_lo, vcc_lo
	s_wait_loadcnt_dscnt 0x0
	s_set_vgpr_msb 0                        ;  msbs: dst=0 src0=0 src1=0 src2=0
	v_mul_f64_e32 v[4:5], v[80:81], v[108:109]
	v_mul_f64_e32 v[120:121], v[78:79], v[108:109]
	v_mul_f64_e32 v[110:111], v[72:73], v[108:109]
	v_mul_f64_e32 v[128:129], v[70:71], v[108:109]
	v_mul_f64_e32 v[112:113], v[84:85], v[108:109]
	v_mul_f64_e32 v[132:133], v[82:83], v[108:109]
	v_mul_f64_e32 v[114:115], v[104:105], v[108:109]
	v_mul_f64_e32 v[144:145], v[102:103], v[108:109]
	v_fma_f64 v[118:119], v[78:79], v[106:107], -v[4:5]
	v_fmac_f64_e32 v[120:121], v[80:81], v[106:107]
	v_fma_f64 v[126:127], v[70:71], v[106:107], -v[110:111]
	v_fmac_f64_e32 v[128:129], v[72:73], v[106:107]
	;; [unrolled: 2-line block ×4, first 2 shown]
	s_set_vgpr_msb 1                        ;  msbs: dst=0 src0=1 src1=0 src2=0
	ds_load_b128 v[122:125], v8 /*v264*/ offset:512
	ds_load_b128 v[114:117], v8 /*v264*/ offset:528
	ds_load_b128 v[110:113], v8 /*v264*/ offset:544
	ds_load_b128 v[106:109], v8 /*v264*/ offset:560
	s_set_vgpr_msb 0                        ;  msbs: dst=0 src0=0 src1=0 src2=0
	v_add_nc_u64_e32 v[4:5], v[242:243], v[186:187]
	s_set_vgpr_msb 1                        ;  msbs: dst=0 src0=1 src1=0 src2=0
	ds_store_b128 v21 /*v277*/, v[118:121]
	ds_store_b128 v21 /*v277*/, v[126:129] offset:1072
	ds_store_b128 v21 /*v277*/, v[130:133] offset:2144
	ds_store_b128 v21 /*v277*/, v[142:145] offset:3216
	s_wait_dscnt 0x0
	s_barrier_signal -1
	s_barrier_wait -1
	ds_load_b128 v[182:185], v9 /*v265*/
	ds_load_b128 v[178:181], v9 /*v265*/ offset:16
	ds_load_b128 v[174:177], v9 /*v265*/ offset:32
	;; [unrolled: 1-line block ×3, first 2 shown]
	s_wait_dscnt 0x0
	s_barrier_signal -1
	s_barrier_wait -1
	s_set_vgpr_msb 0                        ;  msbs: dst=0 src0=0 src1=0 src2=0
	s_cbranch_vccnz .LBB124_121
; %bb.114:                              ;   in Loop: Header=BB124_77 Depth=2
	v_mov_b64_e32 v[118:119], 0
	v_mov_b64_e32 v[126:127], 0
	;; [unrolled: 1-line block ×3, first 2 shown]
	s_mov_b32 s68, exec_lo
	s_set_vgpr_msb 4                        ;  msbs: dst=0 src0=0 src1=1 src2=0
	v_cmpx_gt_i32_e64 s67, v50 /*v306*/
	s_set_vgpr_msb 0                        ;  msbs: dst=0 src0=0 src1=0 src2=0
	s_cbranch_execz .LBB124_116
; %bb.115:                              ;   in Loop: Header=BB124_77 Depth=2
	global_load_b128 v[126:129], v[4:5], off
.LBB124_116:                            ;   in Loop: Header=BB124_77 Depth=2
	s_wait_xcnt 0x0
	s_or_b32 exec_lo, exec_lo, s68
	v_mov_b64_e32 v[120:121], 0
	s_mov_b32 s68, exec_lo
	s_set_vgpr_msb 4                        ;  msbs: dst=0 src0=0 src1=1 src2=0
	v_cmpx_gt_i32_e64 s67, v51 /*v307*/
	s_set_vgpr_msb 0                        ;  msbs: dst=0 src0=0 src1=0 src2=0
	s_cbranch_execz .LBB124_118
; %bb.117:                              ;   in Loop: Header=BB124_77 Depth=2
	v_add_nc_u64_e32 v[118:119], v[238:239], v[186:187]
	global_load_b128 v[118:121], v[118:119], off
.LBB124_118:                            ;   in Loop: Header=BB124_77 Depth=2
	s_wait_xcnt 0x0
	s_or_b32 exec_lo, exec_lo, s68
	v_mov_b64_e32 v[130:131], 0
	v_mov_b64_e32 v[132:133], 0
	s_mov_b32 s68, exec_lo
	s_set_vgpr_msb 4                        ;  msbs: dst=0 src0=0 src1=1 src2=0
	v_cmpx_gt_i32_e64 s67, v52 /*v308*/
	s_set_vgpr_msb 0                        ;  msbs: dst=0 src0=0 src1=0 src2=0
	s_cbranch_execz .LBB124_120
; %bb.119:                              ;   in Loop: Header=BB124_77 Depth=2
	v_add_nc_u64_e32 v[130:131], v[234:235], v[186:187]
	global_load_b128 v[130:133], v[130:131], off
.LBB124_120:                            ;   in Loop: Header=BB124_77 Depth=2
	s_wait_xcnt 0x0
	s_or_b32 exec_lo, exec_lo, s68
	s_set_vgpr_msb 4                        ;  msbs: dst=0 src0=0 src1=1 src2=0
	v_cmp_gt_i32_e64 s68, s67, v53 /*v309*/
	s_set_vgpr_msb 0                        ;  msbs: dst=0 src0=0 src1=0 src2=0
	s_branch .LBB124_123
.LBB124_121:                            ;   in Loop: Header=BB124_77 Depth=2
	s_mov_b32 s68, 0
                                        ; implicit-def: $vgpr132_vgpr133
                                        ; implicit-def: $vgpr120_vgpr121
                                        ; implicit-def: $vgpr128_vgpr129
	s_cbranch_execz .LBB124_123
; %bb.122:                              ;   in Loop: Header=BB124_77 Depth=2
	s_wait_loadcnt 0x0
	v_add_nc_u64_e32 v[118:119], v[238:239], v[186:187]
	v_add_nc_u64_e32 v[130:131], v[234:235], v[186:187]
	s_or_b32 s68, s68, exec_lo
	global_load_b128 v[126:129], v[4:5], off
	global_load_b128 v[118:121], v[118:119], off
	;; [unrolled: 1-line block ×3, first 2 shown]
.LBB124_123:                            ;   in Loop: Header=BB124_77 Depth=2
	v_mov_b64_e32 v[142:143], 0
	v_mov_b64_e32 v[144:145], 0
	s_wait_xcnt 0x0
	s_and_saveexec_b32 s69, s68
	s_cbranch_execz .LBB124_125
; %bb.124:                              ;   in Loop: Header=BB124_77 Depth=2
	v_add_nc_u64_e32 v[4:5], v[230:231], v[186:187]
	global_load_b128 v[142:145], v[4:5], off
.LBB124_125:                            ;   in Loop: Header=BB124_77 Depth=2
	s_wait_xcnt 0x0
	s_or_b32 exec_lo, exec_lo, s69
	s_set_vgpr_msb 1                        ;  msbs: dst=0 src0=1 src1=0 src2=0
	ds_load_b128 v[158:161], v26 /*v282*/
	ds_load_b128 v[154:157], v8 /*v264*/ offset:768
	v_add_f64_e32 v[150:151], 0, v[150:151]
	v_add_f64_e32 v[152:153], 0, v[152:153]
	s_set_vgpr_msb 4                        ;  msbs: dst=0 src0=0 src1=1 src2=0
	v_cmp_gt_i32_e32 vcc_lo, s67, v6 /*v262*/
	s_or_b32 s59, s59, vcc_lo
	s_delay_alu instid0(SALU_CYCLE_1)
	s_and_b32 s67, s14, s59
	s_wait_loadcnt_dscnt 0x1
	s_set_vgpr_msb 0                        ;  msbs: dst=0 src0=0 src1=0 src2=0
	v_mul_f64_e32 v[4:5], v[128:129], v[160:161]
	s_set_vgpr_msb 64                       ;  msbs: dst=1 src0=0 src1=0 src2=0
	v_mul_f64_e32 v[56:57] /*v[312:313]*/, v[126:127], v[160:161]
	s_set_vgpr_msb 0                        ;  msbs: dst=0 src0=0 src1=0 src2=0
	v_mul_f64_e32 v[162:163], v[120:121], v[160:161]
	s_set_vgpr_msb 64                       ;  msbs: dst=1 src0=0 src1=0 src2=0
	v_mul_f64_e32 v[60:61] /*v[316:317]*/, v[118:119], v[160:161]
	;; [unrolled: 4-line block ×4, first 2 shown]
	s_set_vgpr_msb 0                        ;  msbs: dst=0 src0=0 src1=0 src2=0
	v_add_f64_e32 v[146:147], v[150:151], v[146:147]
	v_add_f64_e32 v[148:149], v[152:153], v[148:149]
	s_set_vgpr_msb 64                       ;  msbs: dst=1 src0=0 src1=0 src2=0
	v_fma_f64 v[54:55] /*v[310:311]*/, v[126:127], v[158:159], -v[4:5]
	v_fmac_f64_e32 v[56:57] /*v[312:313]*/, v[128:129], v[158:159]
	v_fma_f64 v[58:59] /*v[314:315]*/, v[118:119], v[158:159], -v[162:163]
	v_fmac_f64_e32 v[60:61] /*v[316:317]*/, v[120:121], v[158:159]
	;; [unrolled: 2-line block ×4, first 2 shown]
	s_set_vgpr_msb 1                        ;  msbs: dst=0 src0=1 src1=0 src2=0
	ds_load_b128 v[166:169], v8 /*v264*/ offset:784
	ds_load_b128 v[162:165], v8 /*v264*/ offset:800
	;; [unrolled: 1-line block ×3, first 2 shown]
	v_add_f64_e32 v[4:5], 0, v[182:183]
	v_add_f64_e32 v[182:183], 0, v[184:185]
	;; [unrolled: 1-line block ×3, first 2 shown]
	s_set_vgpr_msb 5                        ;  msbs: dst=0 src0=1 src1=1 src2=0
	ds_store_b128 v21 /*v277*/, v[54:57] /*v[310:313]*/
	ds_store_b128 v21 /*v277*/, v[58:61] /*v[314:317]*/ offset:1072
	ds_store_b128 v21 /*v277*/, v[62:65] /*v[318:321]*/ offset:2144
	;; [unrolled: 1-line block ×3, first 2 shown]
	s_wait_dscnt 0x0
	s_barrier_signal -1
	s_barrier_wait -1
	s_set_vgpr_msb 0x41                     ;  msbs: dst=1 src0=1 src1=0 src2=0
	ds_load_b128 v[54:57] /*v[310:313]*/, v9 /*v265*/
	v_add_f64_e32 v[58:59] /*v[314:315]*/, 0, v[100:101]
	s_set_vgpr_msb 1                        ;  msbs: dst=0 src0=1 src1=0 src2=0
	ds_load_b128 v[98:101], v9 /*v265*/ offset:16
	s_set_vgpr_msb 0                        ;  msbs: dst=0 src0=0 src1=0 src2=0
	v_add_f64_e32 v[150:151], v[184:185], v[94:95]
	v_add_f64_e32 v[4:5], v[4:5], v[178:179]
	;; [unrolled: 1-line block ×5, first 2 shown]
	s_wait_dscnt 0x1
	s_set_vgpr_msb 0x44                     ;  msbs: dst=1 src0=0 src1=1 src2=0
	v_add_f64_e32 v[54:55] /*v[310:311]*/, 0, v[54:55] /*v[310:311]*/
	v_add_f64_e32 v[56:57] /*v[312:313]*/, 0, v[56:57] /*v[312:313]*/
	s_set_vgpr_msb 1                        ;  msbs: dst=0 src0=1 src1=0 src2=0
	v_add_f64_e32 v[152:153], v[58:59] /*v[314:315]*/, v[96:97]
	ds_load_b128 v[94:97], v9 /*v265*/ offset:32
	s_set_vgpr_msb 0                        ;  msbs: dst=0 src0=0 src1=0 src2=0
	v_add_f64_e32 v[146:147], v[150:151], v[90:91]
	v_add_f64_e32 v[4:5], v[4:5], v[174:175]
	;; [unrolled: 1-line block ×3, first 2 shown]
	s_wait_dscnt 0x1
	s_set_vgpr_msb 1                        ;  msbs: dst=0 src0=1 src1=0 src2=0
	v_add_f64_e32 v[98:99], v[54:55] /*v[310:311]*/, v[98:99]
	v_add_f64_e32 v[100:101], v[56:57] /*v[312:313]*/, v[100:101]
	s_set_vgpr_msb 0                        ;  msbs: dst=0 src0=0 src1=0 src2=0
	v_add_f64_e32 v[148:149], v[152:153], v[92:93]
	s_set_vgpr_msb 1                        ;  msbs: dst=0 src0=1 src1=0 src2=0
	ds_load_b128 v[90:93], v9 /*v265*/ offset:48
	s_set_vgpr_msb 0                        ;  msbs: dst=0 src0=0 src1=0 src2=0
	v_add_f64_e32 v[86:87], v[146:147], v[86:87]
	s_wait_dscnt 0x0
	s_barrier_signal -1
	s_barrier_wait -1
	v_add_f64_e32 v[150:151], v[98:99], v[94:95]
	v_add_f64_e32 v[152:153], v[100:101], v[96:97]
	;; [unrolled: 1-line block ×9, first 2 shown]
	s_set_vgpr_msb 1                        ;  msbs: dst=0 src0=1 src1=0 src2=0
	ds_store_b128 v25 /*v281*/, v[86:89]
	ds_store_b128 v25 /*v281*/, v[98:101] offset:256
	ds_store_b128 v25 /*v281*/, v[94:97] offset:512
	;; [unrolled: 1-line block ×3, first 2 shown]
	s_wait_dscnt 0x0
	s_barrier_signal -1
	s_barrier_wait -1
	s_and_saveexec_b32 s59, s67
	s_set_vgpr_msb 0                        ;  msbs: dst=0 src0=0 src1=0 src2=0
	s_cbranch_execz .LBB124_127
; %bb.126:                              ;   in Loop: Header=BB124_77 Depth=2
	s_set_vgpr_msb 1                        ;  msbs: dst=0 src0=1 src1=0 src2=0
	ds_load_b128 v[86:89], v10 /*v266*/
	ds_load_b128 v[90:93], v10 /*v266*/ offset:16
	s_set_vgpr_msb 4                        ;  msbs: dst=0 src0=0 src1=1 src2=0
	v_add_nc_u32_e32 v3, s58, v6 /*v262*/
	s_wait_dscnt 0x0
	s_set_vgpr_msb 0                        ;  msbs: dst=0 src0=0 src1=0 src2=0
	v_add_f64_e32 v[4:5], v[90:91], v[86:87]
	v_add_f64_e32 v[94:95], v[92:93], v[88:89]
	s_set_vgpr_msb 1                        ;  msbs: dst=0 src0=1 src1=0 src2=0
	ds_load_b128 v[86:89], v10 /*v266*/ offset:32
	ds_load_b128 v[90:93], v10 /*v266*/ offset:48
	s_wait_dscnt 0x1
	s_set_vgpr_msb 0                        ;  msbs: dst=0 src0=0 src1=0 src2=0
	v_add_f64_e32 v[4:5], v[4:5], v[86:87]
	v_add_f64_e32 v[86:87], v[94:95], v[88:89]
	s_wait_dscnt 0x0
	s_delay_alu instid0(VALU_DEP_2) | instskip(NEXT) | instid1(VALU_DEP_2)
	v_add_f64_e32 v[4:5], v[4:5], v[90:91]
	v_add_f64_e32 v[94:95], v[86:87], v[92:93]
	s_set_vgpr_msb 1                        ;  msbs: dst=0 src0=1 src1=0 src2=0
	ds_load_b128 v[86:89], v10 /*v266*/ offset:64
	ds_load_b128 v[90:93], v10 /*v266*/ offset:80
	s_wait_dscnt 0x1
	s_set_vgpr_msb 0                        ;  msbs: dst=0 src0=0 src1=0 src2=0
	v_add_f64_e32 v[4:5], v[4:5], v[86:87]
	v_add_f64_e32 v[86:87], v[94:95], v[88:89]
	s_wait_dscnt 0x0
	s_delay_alu instid0(VALU_DEP_2) | instskip(NEXT) | instid1(VALU_DEP_2)
	;; [unrolled: 11-line block ×6, first 2 shown]
	v_add_f64_e32 v[4:5], v[4:5], v[90:91]
	v_add_f64_e32 v[94:95], v[86:87], v[92:93]
	s_set_vgpr_msb 1                        ;  msbs: dst=0 src0=1 src1=0 src2=0
	ds_load_b128 v[86:89], v10 /*v266*/ offset:224
	ds_load_b128 v[90:93], v11 /*v267*/
	s_wait_dscnt 0x1
	s_set_vgpr_msb 0                        ;  msbs: dst=0 src0=0 src1=0 src2=0
	v_add_f64_e32 v[4:5], v[4:5], v[86:87]
	v_add_f64_e32 v[88:89], v[94:95], v[88:89]
	s_wait_dscnt 0x0
	s_delay_alu instid0(VALU_DEP_2) | instskip(NEXT) | instid1(VALU_DEP_2)
	v_add_f64_e32 v[86:87], v[4:5], v[90:91]
	v_add_f64_e32 v[88:89], v[88:89], v[92:93]
	global_store_b128 v3, v[86:89], s[56:57] scale_offset
.LBB124_127:                            ;   in Loop: Header=BB124_77 Depth=2
	s_wait_xcnt 0x0
	s_or_b32 exec_lo, exec_lo, s59
	v_mul_f64_e32 v[4:5], v[16:17], v[28:29]
	v_mul_f64_e32 v[28:29], v[14:15], v[28:29]
	;; [unrolled: 1-line block ×4, first 2 shown]
	v_add_nc_u64_e32 v[228:229], s[20:21], v[228:229]
	v_add_nc_u64_e32 v[230:231], s[20:21], v[230:231]
	;; [unrolled: 1-line block ×14, first 2 shown]
	s_set_vgpr_msb 0x44                     ;  msbs: dst=1 src0=0 src1=1 src2=0
	v_add_nc_u64_e32 v[0:1] /*v[256:257]*/, s[20:21], v[0:1] /*v[256:257]*/
	v_add_nc_u64_e32 v[2:3] /*v[258:259]*/, s[20:21], v[2:3] /*v[258:259]*/
	s_add_co_i32 s59, s66, 1
	s_add_co_i32 s66, s66, 2
	;; [unrolled: 1-line block ×3, first 2 shown]
	s_cmp_ge_u32 s66, s36
	s_wait_storecnt 0x0
	s_barrier_signal -1
	s_barrier_wait -1
	s_set_vgpr_msb 0                        ;  msbs: dst=0 src0=0 src1=0 src2=0
	v_fma_f64 v[4:5], v[14:15], v[26:27], -v[4:5]
	v_fmac_f64_e32 v[28:29], v[16:17], v[26:27]
	v_mul_f64_e32 v[14:15], v[20:21], v[36:37]
	v_mul_f64_e32 v[16:17], v[18:19], v[36:37]
	v_fma_f64 v[10:11], v[10:11], v[38:39], -v[86:87]
	v_fmac_f64_e32 v[40:41], v[12:13], v[38:39]
	v_mul_f64_e32 v[12:13], v[22:23], v[32:33]
	v_add_f64_e32 v[4:5], v[6:7], v[4:5]
	v_add_f64_e32 v[6:7], v[8:9], v[28:29]
	v_mul_f64_e32 v[8:9], v[24:25], v[32:33]
	v_fma_f64 v[14:15], v[18:19], v[34:35], -v[14:15]
	v_fmac_f64_e32 v[16:17], v[20:21], v[34:35]
	v_mul_f64_e32 v[18:19], v[46:47], v[60:61]
	v_fmac_f64_e32 v[12:13], v[24:25], v[30:31]
	v_add_f64_e32 v[4:5], v[4:5], v[10:11]
	v_add_f64_e32 v[6:7], v[6:7], v[40:41]
	v_mul_f64_e32 v[10:11], v[48:49], v[60:61]
	v_fma_f64 v[8:9], v[22:23], v[30:31], -v[8:9]
	v_fmac_f64_e32 v[18:19], v[48:49], v[58:59]
	v_add_f64_e32 v[4:5], v[4:5], v[14:15]
	v_add_f64_e32 v[6:7], v[6:7], v[16:17]
	v_mul_f64_e32 v[14:15], v[44:45], v[76:77]
	v_mul_f64_e32 v[16:17], v[42:43], v[76:77]
	v_fma_f64 v[10:11], v[46:47], v[58:59], -v[10:11]
	v_add_f64_e32 v[4:5], v[4:5], v[8:9]
	v_add_f64_e32 v[6:7], v[6:7], v[12:13]
	v_mul_f64_e32 v[8:9], v[52:53], v[68:69]
	v_mul_f64_e32 v[12:13], v[50:51], v[68:69]
	v_fma_f64 v[14:15], v[42:43], v[74:75], -v[14:15]
	v_fmac_f64_e32 v[16:17], v[44:45], v[74:75]
	v_add_f64_e32 v[4:5], v[4:5], v[10:11]
	v_add_f64_e32 v[6:7], v[6:7], v[18:19]
	v_mul_f64_e32 v[10:11], v[56:57], v[64:65]
	v_mul_f64_e32 v[18:19], v[54:55], v[64:65]
	v_fma_f64 v[8:9], v[50:51], v[66:67], -v[8:9]
	v_fmac_f64_e32 v[12:13], v[52:53], v[66:67]
	;; [unrolled: 6-line block ×10, first 2 shown]
	v_add_f64_e32 v[4:5], v[4:5], v[10:11]
	v_add_f64_e32 v[6:7], v[6:7], v[18:19]
	v_fma_f64 v[8:9], v[142:143], v[158:159], -v[8:9]
	v_fmac_f64_e32 v[12:13], v[144:145], v[158:159]
	s_delay_alu instid0(VALU_DEP_4) | instskip(NEXT) | instid1(VALU_DEP_4)
	v_add_f64_e32 v[4:5], v[4:5], v[14:15]
	v_add_f64_e32 v[10:11], v[6:7], v[16:17]
	s_delay_alu instid0(VALU_DEP_2) | instskip(NEXT) | instid1(VALU_DEP_2)
	v_add_f64_e32 v[6:7], v[4:5], v[8:9]
	v_add_f64_e32 v[8:9], v[10:11], v[12:13]
	s_cbranch_scc1 .LBB124_129
; %bb.128:                              ;   in Loop: Header=BB124_77 Depth=2
	s_mov_b32 s66, s59
	s_delay_alu instid0(SALU_CYCLE_1)
	s_cmp_eq_u32 s39, s66
	s_cselect_b32 s67, s60, 0
	s_and_saveexec_b32 s68, s0
	s_cbranch_execnz .LBB124_73
	s_branch .LBB124_77
.LBB124_129:                            ;   in Loop: Header=BB124_4 Depth=1
	s_set_vgpr_msb 1                        ;  msbs: dst=0 src0=1 src1=0 src2=0
	ds_store_b128 v22 /*v278*/, v[6:9]
	s_wait_dscnt 0x0
	s_barrier_signal -1
	s_barrier_wait -1
	s_and_saveexec_b32 s58, s63
	s_set_vgpr_msb 0                        ;  msbs: dst=0 src0=0 src1=0 src2=0
	s_cbranch_execz .LBB124_2
; %bb.130:                              ;   in Loop: Header=BB124_4 Depth=1
	ds_load_b128 v[4:7], v186 offset:1072
	ds_load_b128 v[8:11], v186
	s_wait_dscnt 0x0
	v_add_f64_e32 v[12:13], v[4:5], v[8:9]
	v_add_f64_e32 v[14:15], v[6:7], v[10:11]
	ds_load_b128 v[4:7], v186 offset:2144
	ds_load_b128 v[8:11], v186 offset:3216
	s_wait_dscnt 0x1
	v_add_f64_e32 v[4:5], v[12:13], v[4:5]
	v_add_f64_e32 v[6:7], v[14:15], v[6:7]
	s_wait_dscnt 0x0
	s_delay_alu instid0(VALU_DEP_2) | instskip(NEXT) | instid1(VALU_DEP_2)
	v_add_f64_e32 v[4:5], v[4:5], v[8:9]
	v_add_f64_e32 v[6:7], v[6:7], v[10:11]
	v_lshl_add_u64 v[8:9], v[188:189], 4, s[56:57]
	global_store_b128 v[8:9], v[4:7], off
	s_branch .LBB124_2
.LBB124_131:                            ;   in Loop: Header=BB124_4 Depth=1
	s_set_vgpr_msb 1                        ;  msbs: dst=0 src0=1 src1=0 src2=0
	ds_load_b128 v[6:9], v15 /*v271*/
	s_wait_dscnt 0x0
	ds_store_b128 v12 /*v268*/, v[6:9]
	s_or_b32 exec_lo, exec_lo, s56
	s_and_saveexec_b32 s56, s15
	s_set_vgpr_msb 0                        ;  msbs: dst=0 src0=0 src1=0 src2=0
	s_cbranch_execz .LBB124_27
.LBB124_132:                            ;   in Loop: Header=BB124_4 Depth=1
	s_set_vgpr_msb 1                        ;  msbs: dst=0 src0=1 src1=0 src2=0
	ds_load_b128 v[6:9], v13 /*v269*/
	s_wait_dscnt 0x0
	ds_store_b128 v30 /*v286*/, v[6:9]
	s_or_b32 exec_lo, exec_lo, s56
	s_and_saveexec_b32 s56, s3
	s_set_vgpr_msb 0                        ;  msbs: dst=0 src0=0 src1=0 src2=0
	s_cbranch_execz .LBB124_28
.LBB124_133:                            ;   in Loop: Header=BB124_4 Depth=1
	s_set_vgpr_msb 1                        ;  msbs: dst=0 src0=1 src1=0 src2=0
	ds_load_b128 v[6:9], v32 /*v288*/
	s_wait_dscnt 0x0
	ds_store_b128 v31 /*v287*/, v[6:9]
	s_or_b32 exec_lo, exec_lo, s56
	s_and_saveexec_b32 s56, s4
	s_set_vgpr_msb 0                        ;  msbs: dst=0 src0=0 src1=0 src2=0
	s_cbranch_execnz .LBB124_29
	s_branch .LBB124_30
.LBB124_134:                            ;   in Loop: Header=BB124_4 Depth=1
	s_set_vgpr_msb 1                        ;  msbs: dst=0 src0=1 src1=0 src2=0
	ds_load_b128 v[12:15], v15 /*v271*/
	s_wait_dscnt 0x0
	ds_store_b128 v17 /*v273*/, v[12:15]
	s_or_b32 exec_lo, exec_lo, s56
	s_and_saveexec_b32 s56, s15
	s_set_vgpr_msb 0                        ;  msbs: dst=0 src0=0 src1=0 src2=0
	s_cbranch_execz .LBB124_48
.LBB124_135:                            ;   in Loop: Header=BB124_4 Depth=1
	s_set_vgpr_msb 1                        ;  msbs: dst=0 src0=1 src1=0 src2=0
	ds_load_b128 v[12:15], v13 /*v269*/
	s_wait_dscnt 0x0
	ds_store_b128 v35 /*v291*/, v[12:15]
	s_or_b32 exec_lo, exec_lo, s56
	s_and_saveexec_b32 s56, s3
	s_set_vgpr_msb 0                        ;  msbs: dst=0 src0=0 src1=0 src2=0
	s_cbranch_execz .LBB124_49
.LBB124_136:                            ;   in Loop: Header=BB124_4 Depth=1
	s_set_vgpr_msb 1                        ;  msbs: dst=0 src0=1 src1=0 src2=0
	ds_load_b128 v[12:15], v32 /*v288*/
	s_wait_dscnt 0x0
	ds_store_b128 v36 /*v292*/, v[12:15]
	s_or_b32 exec_lo, exec_lo, s56
	s_and_saveexec_b32 s56, s4
	s_set_vgpr_msb 0                        ;  msbs: dst=0 src0=0 src1=0 src2=0
	s_cbranch_execnz .LBB124_50
	s_branch .LBB124_51
.LBB124_137:                            ;   in Loop: Header=BB124_4 Depth=1
	global_load_b128 v[10:13], v[8:9], off
	s_wait_loadcnt 0x0
	s_set_vgpr_msb 1                        ;  msbs: dst=0 src0=1 src1=0 src2=0
	ds_store_2addr_b64 v7 /*v263*/, v[10:11], v[12:13] offset1:1
	s_wait_xcnt 0x0
	s_or_b32 exec_lo, exec_lo, s56
	s_and_saveexec_b32 s56, s5
	s_delay_alu instid0(SALU_CYCLE_1)
	s_xor_b32 s56, exec_lo, s56
	s_set_vgpr_msb 0                        ;  msbs: dst=0 src0=0 src1=0 src2=0
	s_cbranch_execz .LBB124_16
.LBB124_138:                            ;   in Loop: Header=BB124_4 Depth=1
	v_dual_mov_b32 v3, v2 :: v_dual_mov_b32 v4, v2
	v_mov_b32_e32 v5, v2
	s_set_vgpr_msb 1                        ;  msbs: dst=0 src0=1 src1=0 src2=0
	ds_store_b128 v27 /*v283*/, v[2:5]
	s_and_not1_saveexec_b32 s56, s56
	s_set_vgpr_msb 0                        ;  msbs: dst=0 src0=0 src1=0 src2=0
	s_cbranch_execz .LBB124_17
.LBB124_139:                            ;   in Loop: Header=BB124_4 Depth=1
	v_add_nc_u64_e32 v[4:5], s[40:41], v[8:9]
	global_load_b128 v[10:13], v[4:5], off
	s_wait_loadcnt 0x0
	s_set_vgpr_msb 1                        ;  msbs: dst=0 src0=1 src1=0 src2=0
	ds_store_2addr_b64 v27 /*v283*/, v[10:11], v[12:13] offset1:1
	s_wait_xcnt 0x0
	s_or_b32 exec_lo, exec_lo, s56
	s_and_saveexec_b32 s56, s6
	s_delay_alu instid0(SALU_CYCLE_1)
	s_xor_b32 s56, exec_lo, s56
	s_set_vgpr_msb 0                        ;  msbs: dst=0 src0=0 src1=0 src2=0
	s_cbranch_execz .LBB124_18
.LBB124_140:                            ;   in Loop: Header=BB124_4 Depth=1
	v_dual_mov_b32 v3, v2 :: v_dual_mov_b32 v4, v2
	v_mov_b32_e32 v5, v2
	s_set_vgpr_msb 1                        ;  msbs: dst=0 src0=1 src1=0 src2=0
	ds_store_b128 v28 /*v284*/, v[2:5]
	s_and_not1_saveexec_b32 s56, s56
	s_set_vgpr_msb 0                        ;  msbs: dst=0 src0=0 src1=0 src2=0
	s_cbranch_execz .LBB124_19
.LBB124_141:                            ;   in Loop: Header=BB124_4 Depth=1
	v_add_nc_u64_e32 v[4:5], s[42:43], v[8:9]
	global_load_b128 v[10:13], v[4:5], off
	s_wait_loadcnt 0x0
	s_set_vgpr_msb 1                        ;  msbs: dst=0 src0=1 src1=0 src2=0
	ds_store_2addr_b64 v28 /*v284*/, v[10:11], v[12:13] offset1:1
	s_wait_xcnt 0x0
	s_or_b32 exec_lo, exec_lo, s56
	s_and_saveexec_b32 s56, s7
	s_delay_alu instid0(SALU_CYCLE_1)
	s_xor_b32 s56, exec_lo, s56
	s_set_vgpr_msb 0                        ;  msbs: dst=0 src0=0 src1=0 src2=0
	s_cbranch_execz .LBB124_20
.LBB124_142:                            ;   in Loop: Header=BB124_4 Depth=1
	v_dual_mov_b32 v3, v2 :: v_dual_mov_b32 v4, v2
	v_mov_b32_e32 v5, v2
	s_set_vgpr_msb 1                        ;  msbs: dst=0 src0=1 src1=0 src2=0
	ds_store_b128 v29 /*v285*/, v[2:5]
	s_and_not1_saveexec_b32 s56, s56
	s_set_vgpr_msb 0                        ;  msbs: dst=0 src0=0 src1=0 src2=0
	s_cbranch_execnz .LBB124_21
	s_branch .LBB124_22
.LBB124_143:                            ;   in Loop: Header=BB124_4 Depth=1
	global_load_b128 v[16:19], v[10:11], off
	s_wait_loadcnt 0x0
	s_set_vgpr_msb 1                        ;  msbs: dst=0 src0=1 src1=0 src2=0
	ds_store_2addr_b64 v7 /*v263*/, v[16:17], v[18:19] offset1:1
	s_wait_xcnt 0x0
	s_or_b32 exec_lo, exec_lo, s56
	s_and_saveexec_b32 s56, s10
	s_delay_alu instid0(SALU_CYCLE_1)
	s_xor_b32 s56, exec_lo, s56
	s_set_vgpr_msb 0                        ;  msbs: dst=0 src0=0 src1=0 src2=0
	s_cbranch_execz .LBB124_37
.LBB124_144:                            ;   in Loop: Header=BB124_4 Depth=1
	v_dual_mov_b32 v3, v2 :: v_dual_mov_b32 v4, v2
	v_mov_b32_e32 v5, v2
	s_set_vgpr_msb 1                        ;  msbs: dst=0 src0=1 src1=0 src2=0
	ds_store_b128 v27 /*v283*/, v[2:5]
	s_and_not1_saveexec_b32 s56, s56
	s_set_vgpr_msb 0                        ;  msbs: dst=0 src0=0 src1=0 src2=0
	s_cbranch_execz .LBB124_38
.LBB124_145:                            ;   in Loop: Header=BB124_4 Depth=1
	v_add_nc_u64_e32 v[4:5], s[40:41], v[10:11]
	global_load_b128 v[16:19], v[4:5], off
	s_wait_loadcnt 0x0
	s_set_vgpr_msb 1                        ;  msbs: dst=0 src0=1 src1=0 src2=0
	ds_store_2addr_b64 v27 /*v283*/, v[16:17], v[18:19] offset1:1
	s_wait_xcnt 0x0
	s_or_b32 exec_lo, exec_lo, s56
	s_and_saveexec_b32 s56, s12
	s_delay_alu instid0(SALU_CYCLE_1)
	s_xor_b32 s56, exec_lo, s56
	s_set_vgpr_msb 0                        ;  msbs: dst=0 src0=0 src1=0 src2=0
	s_cbranch_execz .LBB124_39
.LBB124_146:                            ;   in Loop: Header=BB124_4 Depth=1
	v_dual_mov_b32 v3, v2 :: v_dual_mov_b32 v4, v2
	v_mov_b32_e32 v5, v2
	s_set_vgpr_msb 1                        ;  msbs: dst=0 src0=1 src1=0 src2=0
	ds_store_b128 v28 /*v284*/, v[2:5]
	s_and_not1_saveexec_b32 s56, s56
	s_set_vgpr_msb 0                        ;  msbs: dst=0 src0=0 src1=0 src2=0
	s_cbranch_execz .LBB124_40
.LBB124_147:                            ;   in Loop: Header=BB124_4 Depth=1
	v_add_nc_u64_e32 v[4:5], s[42:43], v[10:11]
	global_load_b128 v[16:19], v[4:5], off
	s_wait_loadcnt 0x0
	s_set_vgpr_msb 1                        ;  msbs: dst=0 src0=1 src1=0 src2=0
	ds_store_2addr_b64 v28 /*v284*/, v[16:17], v[18:19] offset1:1
	s_wait_xcnt 0x0
	s_or_b32 exec_lo, exec_lo, s56
	s_and_saveexec_b32 s56, s13
	s_delay_alu instid0(SALU_CYCLE_1)
	s_xor_b32 s56, exec_lo, s56
	s_set_vgpr_msb 0                        ;  msbs: dst=0 src0=0 src1=0 src2=0
	s_cbranch_execz .LBB124_41
.LBB124_148:                            ;   in Loop: Header=BB124_4 Depth=1
	v_dual_mov_b32 v3, v2 :: v_dual_mov_b32 v4, v2
	v_mov_b32_e32 v5, v2
	s_set_vgpr_msb 1                        ;  msbs: dst=0 src0=1 src1=0 src2=0
	ds_store_b128 v29 /*v285*/, v[2:5]
	s_and_not1_saveexec_b32 s56, s56
	s_set_vgpr_msb 0                        ;  msbs: dst=0 src0=0 src1=0 src2=0
	s_cbranch_execnz .LBB124_42
	s_branch .LBB124_43
.LBB124_149:                            ;   in Loop: Header=BB124_4 Depth=1
	global_load_b128 v[16:19], v[14:15], off
	s_wait_loadcnt 0x0
	s_set_vgpr_msb 1                        ;  msbs: dst=0 src0=1 src1=0 src2=0
	ds_store_2addr_b64 v7 /*v263*/, v[16:17], v[18:19] offset1:1
	s_wait_xcnt 0x0
	s_or_b32 exec_lo, exec_lo, s56
	s_and_saveexec_b32 s56, s10
	s_delay_alu instid0(SALU_CYCLE_1)
	s_xor_b32 s56, exec_lo, s56
	s_set_vgpr_msb 0                        ;  msbs: dst=0 src0=0 src1=0 src2=0
	s_cbranch_execz .LBB124_58
.LBB124_150:                            ;   in Loop: Header=BB124_4 Depth=1
	v_dual_mov_b32 v3, v2 :: v_dual_mov_b32 v4, v2
	v_mov_b32_e32 v5, v2
	s_set_vgpr_msb 1                        ;  msbs: dst=0 src0=1 src1=0 src2=0
	ds_store_b128 v27 /*v283*/, v[2:5]
	s_and_not1_saveexec_b32 s56, s56
	s_set_vgpr_msb 0                        ;  msbs: dst=0 src0=0 src1=0 src2=0
	s_cbranch_execz .LBB124_59
.LBB124_151:                            ;   in Loop: Header=BB124_4 Depth=1
	v_add_nc_u64_e32 v[4:5], s[40:41], v[14:15]
	global_load_b128 v[16:19], v[4:5], off
	s_wait_loadcnt 0x0
	s_set_vgpr_msb 1                        ;  msbs: dst=0 src0=1 src1=0 src2=0
	ds_store_2addr_b64 v27 /*v283*/, v[16:17], v[18:19] offset1:1
	s_wait_xcnt 0x0
	s_or_b32 exec_lo, exec_lo, s56
	s_and_saveexec_b32 s56, s12
	s_delay_alu instid0(SALU_CYCLE_1)
	s_xor_b32 s56, exec_lo, s56
	s_set_vgpr_msb 0                        ;  msbs: dst=0 src0=0 src1=0 src2=0
	s_cbranch_execz .LBB124_60
.LBB124_152:                            ;   in Loop: Header=BB124_4 Depth=1
	v_dual_mov_b32 v3, v2 :: v_dual_mov_b32 v4, v2
	v_mov_b32_e32 v5, v2
	s_set_vgpr_msb 1                        ;  msbs: dst=0 src0=1 src1=0 src2=0
	ds_store_b128 v28 /*v284*/, v[2:5]
	s_and_not1_saveexec_b32 s56, s56
	s_set_vgpr_msb 0                        ;  msbs: dst=0 src0=0 src1=0 src2=0
	s_cbranch_execz .LBB124_61
.LBB124_153:                            ;   in Loop: Header=BB124_4 Depth=1
	v_add_nc_u64_e32 v[4:5], s[42:43], v[14:15]
	global_load_b128 v[16:19], v[4:5], off
	s_wait_loadcnt 0x0
	s_set_vgpr_msb 1                        ;  msbs: dst=0 src0=1 src1=0 src2=0
	ds_store_2addr_b64 v28 /*v284*/, v[16:17], v[18:19] offset1:1
	s_wait_xcnt 0x0
	s_or_b32 exec_lo, exec_lo, s56
	s_and_saveexec_b32 s56, s13
	s_delay_alu instid0(SALU_CYCLE_1)
	s_xor_b32 s56, exec_lo, s56
	s_set_vgpr_msb 0                        ;  msbs: dst=0 src0=0 src1=0 src2=0
	s_cbranch_execz .LBB124_62
.LBB124_154:                            ;   in Loop: Header=BB124_4 Depth=1
	v_dual_mov_b32 v3, v2 :: v_dual_mov_b32 v4, v2
	v_mov_b32_e32 v5, v2
	s_set_vgpr_msb 1                        ;  msbs: dst=0 src0=1 src1=0 src2=0
	ds_store_b128 v29 /*v285*/, v[2:5]
	s_and_not1_saveexec_b32 s56, s56
	s_set_vgpr_msb 0                        ;  msbs: dst=0 src0=0 src1=0 src2=0
	s_cbranch_execnz .LBB124_63
	s_branch .LBB124_64
.LBB124_155:
	s_sendmsg sendmsg(MSG_DEALLOC_VGPRS)
	s_endpgm
	.section	.rodata,"a",@progbits
	.p2align	6, 0x0
	.amdhsa_kernel _ZL26rocblas_hemvn_kernel_upperILb0ELi64ELi4ELi33ELi32ELi16El19rocblas_complex_numIdEPKS1_PS1_EviT6_lT7_lT5_lS6_lS7_lS5_lT8_i
		.amdhsa_group_segment_fixed_size 19200
		.amdhsa_private_segment_fixed_size 0
		.amdhsa_kernarg_size 392
		.amdhsa_user_sgpr_count 2
		.amdhsa_user_sgpr_dispatch_ptr 0
		.amdhsa_user_sgpr_queue_ptr 0
		.amdhsa_user_sgpr_kernarg_segment_ptr 1
		.amdhsa_user_sgpr_dispatch_id 0
		.amdhsa_user_sgpr_kernarg_preload_length 0
		.amdhsa_user_sgpr_kernarg_preload_offset 0
		.amdhsa_user_sgpr_private_segment_size 0
		.amdhsa_wavefront_size32 1
		.amdhsa_uses_dynamic_stack 0
		.amdhsa_enable_private_segment 0
		.amdhsa_system_sgpr_workgroup_id_x 1
		.amdhsa_system_sgpr_workgroup_id_y 0
		.amdhsa_system_sgpr_workgroup_id_z 1
		.amdhsa_system_sgpr_workgroup_info 0
		.amdhsa_system_vgpr_workitem_id 1
		.amdhsa_next_free_vgpr 326
		.amdhsa_next_free_sgpr 72
		.amdhsa_named_barrier_count 0
		.amdhsa_reserve_vcc 1
		.amdhsa_float_round_mode_32 0
		.amdhsa_float_round_mode_16_64 0
		.amdhsa_float_denorm_mode_32 3
		.amdhsa_float_denorm_mode_16_64 3
		.amdhsa_fp16_overflow 0
		.amdhsa_memory_ordered 1
		.amdhsa_forward_progress 1
		.amdhsa_inst_pref_size 80
		.amdhsa_round_robin_scheduling 0
		.amdhsa_exception_fp_ieee_invalid_op 0
		.amdhsa_exception_fp_denorm_src 0
		.amdhsa_exception_fp_ieee_div_zero 0
		.amdhsa_exception_fp_ieee_overflow 0
		.amdhsa_exception_fp_ieee_underflow 0
		.amdhsa_exception_fp_ieee_inexact 0
		.amdhsa_exception_int_div_zero 0
	.end_amdhsa_kernel
	.section	.text._ZL26rocblas_hemvn_kernel_upperILb0ELi64ELi4ELi33ELi32ELi16El19rocblas_complex_numIdEPKS1_PS1_EviT6_lT7_lT5_lS6_lS7_lS5_lT8_i,"axG",@progbits,_ZL26rocblas_hemvn_kernel_upperILb0ELi64ELi4ELi33ELi32ELi16El19rocblas_complex_numIdEPKS1_PS1_EviT6_lT7_lT5_lS6_lS7_lS5_lT8_i,comdat
.Lfunc_end124:
	.size	_ZL26rocblas_hemvn_kernel_upperILb0ELi64ELi4ELi33ELi32ELi16El19rocblas_complex_numIdEPKS1_PS1_EviT6_lT7_lT5_lS6_lS7_lS5_lT8_i, .Lfunc_end124-_ZL26rocblas_hemvn_kernel_upperILb0ELi64ELi4ELi33ELi32ELi16El19rocblas_complex_numIdEPKS1_PS1_EviT6_lT7_lT5_lS6_lS7_lS5_lT8_i
                                        ; -- End function
	.set _ZL26rocblas_hemvn_kernel_upperILb0ELi64ELi4ELi33ELi32ELi16El19rocblas_complex_numIdEPKS1_PS1_EviT6_lT7_lT5_lS6_lS7_lS5_lT8_i.num_vgpr, 326
	.set _ZL26rocblas_hemvn_kernel_upperILb0ELi64ELi4ELi33ELi32ELi16El19rocblas_complex_numIdEPKS1_PS1_EviT6_lT7_lT5_lS6_lS7_lS5_lT8_i.num_agpr, 0
	.set _ZL26rocblas_hemvn_kernel_upperILb0ELi64ELi4ELi33ELi32ELi16El19rocblas_complex_numIdEPKS1_PS1_EviT6_lT7_lT5_lS6_lS7_lS5_lT8_i.numbered_sgpr, 72
	.set _ZL26rocblas_hemvn_kernel_upperILb0ELi64ELi4ELi33ELi32ELi16El19rocblas_complex_numIdEPKS1_PS1_EviT6_lT7_lT5_lS6_lS7_lS5_lT8_i.num_named_barrier, 0
	.set _ZL26rocblas_hemvn_kernel_upperILb0ELi64ELi4ELi33ELi32ELi16El19rocblas_complex_numIdEPKS1_PS1_EviT6_lT7_lT5_lS6_lS7_lS5_lT8_i.private_seg_size, 0
	.set _ZL26rocblas_hemvn_kernel_upperILb0ELi64ELi4ELi33ELi32ELi16El19rocblas_complex_numIdEPKS1_PS1_EviT6_lT7_lT5_lS6_lS7_lS5_lT8_i.uses_vcc, 1
	.set _ZL26rocblas_hemvn_kernel_upperILb0ELi64ELi4ELi33ELi32ELi16El19rocblas_complex_numIdEPKS1_PS1_EviT6_lT7_lT5_lS6_lS7_lS5_lT8_i.uses_flat_scratch, 0
	.set _ZL26rocblas_hemvn_kernel_upperILb0ELi64ELi4ELi33ELi32ELi16El19rocblas_complex_numIdEPKS1_PS1_EviT6_lT7_lT5_lS6_lS7_lS5_lT8_i.has_dyn_sized_stack, 0
	.set _ZL26rocblas_hemvn_kernel_upperILb0ELi64ELi4ELi33ELi32ELi16El19rocblas_complex_numIdEPKS1_PS1_EviT6_lT7_lT5_lS6_lS7_lS5_lT8_i.has_recursion, 0
	.set _ZL26rocblas_hemvn_kernel_upperILb0ELi64ELi4ELi33ELi32ELi16El19rocblas_complex_numIdEPKS1_PS1_EviT6_lT7_lT5_lS6_lS7_lS5_lT8_i.has_indirect_call, 0
	.section	.AMDGPU.csdata,"",@progbits
; Kernel info:
; codeLenInByte = 10176
; TotalNumSgprs: 74
; NumVgprs: 326
; ScratchSize: 0
; MemoryBound: 1
; FloatMode: 240
; IeeeMode: 1
; LDSByteSize: 19200 bytes/workgroup (compile time only)
; SGPRBlocks: 0
; VGPRBlocks: 20
; NumSGPRsForWavesPerEU: 74
; NumVGPRsForWavesPerEU: 326
; NamedBarCnt: 0
; Occupancy: 3
; WaveLimiterHint : 1
; COMPUTE_PGM_RSRC2:SCRATCH_EN: 0
; COMPUTE_PGM_RSRC2:USER_SGPR: 2
; COMPUTE_PGM_RSRC2:TRAP_HANDLER: 0
; COMPUTE_PGM_RSRC2:TGID_X_EN: 1
; COMPUTE_PGM_RSRC2:TGID_Y_EN: 0
; COMPUTE_PGM_RSRC2:TGID_Z_EN: 1
; COMPUTE_PGM_RSRC2:TIDIG_COMP_CNT: 1
	.section	.text._ZL26rocblas_hemvn_kernel_upperILb0ELi64ELi4ELi33ELi32ELi16Ei19rocblas_complex_numIdEPKS1_PS1_EviT6_lT7_lT5_lS6_lS7_lS5_lT8_i,"axG",@progbits,_ZL26rocblas_hemvn_kernel_upperILb0ELi64ELi4ELi33ELi32ELi16Ei19rocblas_complex_numIdEPKS1_PS1_EviT6_lT7_lT5_lS6_lS7_lS5_lT8_i,comdat
	.globl	_ZL26rocblas_hemvn_kernel_upperILb0ELi64ELi4ELi33ELi32ELi16Ei19rocblas_complex_numIdEPKS1_PS1_EviT6_lT7_lT5_lS6_lS7_lS5_lT8_i ; -- Begin function _ZL26rocblas_hemvn_kernel_upperILb0ELi64ELi4ELi33ELi32ELi16Ei19rocblas_complex_numIdEPKS1_PS1_EviT6_lT7_lT5_lS6_lS7_lS5_lT8_i
	.p2align	8
	.type	_ZL26rocblas_hemvn_kernel_upperILb0ELi64ELi4ELi33ELi32ELi16Ei19rocblas_complex_numIdEPKS1_PS1_EviT6_lT7_lT5_lS6_lS7_lS5_lT8_i,@function
_ZL26rocblas_hemvn_kernel_upperILb0ELi64ELi4ELi33ELi32ELi16Ei19rocblas_complex_numIdEPKS1_PS1_EviT6_lT7_lT5_lS6_lS7_lS5_lT8_i: ; @_ZL26rocblas_hemvn_kernel_upperILb0ELi64ELi4ELi33ELi32ELi16Ei19rocblas_complex_numIdEPKS1_PS1_EviT6_lT7_lT5_lS6_lS7_lS5_lT8_i
; %bb.0:
	s_clause 0x1
	s_load_b64 s[2:3], s[0:1], 0x94
	s_load_b32 s33, s[0:1], 0x80
	s_bfe_u32 s4, ttmp6, 0x40014
	s_lshr_b32 s5, ttmp7, 16
	s_add_co_i32 s4, s4, 1
	s_bfe_u32 s6, ttmp6, 0x40008
	s_mul_i32 s4, s5, s4
	s_getreg_b32 s30, hwreg(HW_REG_IB_STS2, 6, 4)
	s_add_co_i32 s6, s6, s4
	s_mov_b32 s25, 0
	s_wait_kmcnt 0x0
	s_lshr_b32 s4, s2, 16
	s_and_b32 s2, s2, 0xffff
	s_and_b32 s3, s3, 0xffff
	s_mul_i32 s2, s4, s2
	s_cmp_eq_u32 s30, 0
	s_mul_i32 s2, s2, s3
	s_cselect_b32 s24, s5, s6
	s_cmp_lg_u32 s2, 0x100
	s_cselect_b32 s2, -1, 0
	s_cmp_ge_u32 s24, s33
	s_cselect_b32 s3, -1, 0
	s_delay_alu instid0(SALU_CYCLE_1) | instskip(NEXT) | instid1(SALU_CYCLE_1)
	s_or_b32 s2, s2, s3
	s_and_b32 vcc_lo, exec_lo, s2
	s_cbranch_vccnz .LBB125_155
; %bb.1:
	s_clause 0x6
	s_load_b128 s[12:15], s[0:1], 0x8
	s_load_b32 s2, s[0:1], 0x0
	s_load_b128 s[4:7], s[0:1], 0x20
	s_load_b32 s52, s[0:1], 0x30
	s_load_b128 s[20:23], s[0:1], 0x38
	s_load_b96 s[16:18], s[0:1], 0x48
	s_load_b64 s[36:37], s[0:1], 0x78
	s_add_nc_u64 s[28:29], s[0:1], 0x88
	s_clause 0x1
	s_load_b64 s[26:27], s[0:1], 0x58
	s_load_b128 s[8:11], s[0:1], 0x60
	v_bfe_u32 v1, v0, 10, 10
	s_wait_xcnt 0x0
	s_bfe_u32 s0, ttmp6, 0x4000c
	s_set_vgpr_msb 64                       ;  msbs: dst=1 src0=0 src1=0 src2=0
	v_and_b32_e32 v6 /*v262*/, 0x3ff, v0
	s_set_vgpr_msb 0                        ;  msbs: dst=0 src0=0 src1=0 src2=0
	v_and_b32_e32 v4, 31, v0
	s_load_b32 s28, s[28:29], 0x0
	v_lshlrev_b32_e32 v3, 6, v1
	s_add_co_i32 s0, s0, 1
	s_and_b32 s3, ttmp6, 15
	v_mov_b32_e32 v2, 0
	s_wait_xcnt 0x0
	s_mov_b32 s29, s25
	s_set_vgpr_msb 4                        ;  msbs: dst=0 src0=0 src1=1 src2=0
	v_add_nc_u32_e32 v10, v3, v6 /*v262*/
	s_set_vgpr_msb 0                        ;  msbs: dst=0 src0=0 src1=0 src2=0
	v_lshlrev_b32_e32 v11, 4, v4
	v_mul_u32_u24_e32 v17, 33, v4
	s_set_vgpr_msb 64                       ;  msbs: dst=1 src0=0 src1=0 src2=0
	v_add_nc_u32_e32 v18 /*v274*/, 0x4300, v3
	s_wait_kmcnt 0x0
	s_ashr_i32 s53, s52, 31
	v_cmp_neq_f64_e64 s1, s[12:13], 0
	v_cmp_neq_f64_e64 s12, s[14:15], 0
	s_mul_i32 s13, ttmp9, s0
	s_set_vgpr_msb 0                        ;  msbs: dst=0 src0=0 src1=0 src2=0
	v_lshrrev_b32_e32 v12, 5, v10
	s_add_co_i32 s13, s3, s13
	s_ashr_i32 s3, s2, 31
	s_cmp_eq_u32 s30, 0
	v_cmp_neq_f64_e64 s56, s[10:11], 0
	s_cselect_b32 s30, ttmp9, s13
	v_mad_u32 v6, s52, v12, v4
	s_lshl_b32 s46, s30, 6
	s_lshr_b32 s11, s3, 26
	s_set_vgpr_msb 4                        ;  msbs: dst=0 src0=0 src1=1 src2=0
	v_dual_mov_b32 v5, v2 :: v_dual_add_nc_u32 v170, s46, v6 /*v262*/
	s_add_co_i32 s11, s2, s11
	s_add_co_i32 s10, s28, -1
	s_and_not1_b32 s11, s11, 63
	s_set_vgpr_msb 0                        ;  msbs: dst=0 src0=0 src1=0 src2=0
	v_mul_lo_u32 v8, s18, v170
	v_cmp_neq_f64_e64 s19, s[8:9], 1.0
	s_mul_u64 s[34:35], s[28:29], s[2:3]
	s_lshl_b64 s[8:9], s[16:17], 4
	s_lshl_b64 s[6:7], s[6:7], 4
	s_sub_co_i32 s29, s2, s11
	s_add_nc_u64 s[8:9], s[22:23], s[8:9]
	v_ashrrev_i32_e32 v7, 31, v6
	s_add_nc_u64 s[4:5], s[4:5], s[6:7]
	v_dual_add_nc_u32 v13, 24, v12 :: v_dual_lshlrev_b32 v14, 2, v12
	v_ashrrev_i32_e32 v9, 31, v8
	s_delay_alu instid0(VALU_DEP_3) | instskip(SKIP_1) | instid1(VALU_DEP_4)
	v_lshlrev_b64_e32 v[6:7], 4, v[6:7]
	v_lshl_or_b32 v15, v4, 9, v11
	v_dual_lshlrev_b32 v16, 6, v12 :: v_dual_bitop2_b32 v18, 2, v14 bitop3:0x54
	v_lshlrev_b32_e32 v19, 4, v12
	s_or_b32 s48, s1, s12
	s_cmp_eq_u32 s30, s10
	v_lshl_add_u64 v[172:173], v[8:9], 4, s[8:9]
	s_cselect_b32 s22, s29, 0
	s_set_vgpr_msb 64                       ;  msbs: dst=1 src0=0 src1=0 src2=0
	v_dual_add_nc_u32 v9 /*v265*/, v15, v16 :: v_dual_lshlrev_b32 v11 /*v267*/, 4, v17
	s_cmp_lg_u32 s22, 0
	s_mul_i32 s6, s52, s46
	s_cselect_b32 s60, -1, 0
	s_cmp_eq_u32 s22, 0
	s_set_vgpr_msb 0x41                     ;  msbs: dst=1 src0=1 src1=0 src2=0
	v_dual_add_nc_u32 v14 /*v270*/, v11 /*v267*/, v19 :: v_dual_lshlrev_b32 v15 /*v271*/, 2, v1
	s_cselect_b32 s10, -1, 0
	s_ashr_i32 s47, s46, 31
	s_ashr_i32 s7, s6, 31
	s_lshl_b64 s[8:9], s[46:47], 4
	s_ashr_i32 s31, s30, 31
	s_add_nc_u64 s[4:5], s[4:5], s[8:9]
	s_mul_u64 s[2:3], s[2:3], s[30:31]
	s_set_vgpr_msb 0                        ;  msbs: dst=0 src0=0 src1=0 src2=0
	v_add_nc_u64_e32 v[8:9], s[4:5], v[6:7]
	v_or_b32_e32 v15, 1, v14
	s_lshl_b64 s[2:3], s[2:3], 4
	s_sub_co_i32 s15, s22, 32
	s_add_nc_u64 s[36:37], s[36:37], s[2:3]
	s_set_vgpr_msb 64                       ;  msbs: dst=1 src0=0 src1=0 src2=0
	v_mad_u32_u24 v8 /*v264*/, 0x210, v12, v11
	v_mad_u32_u24 v10 /*v266*/, 0x840, v12, v11
	s_set_vgpr_msb 0                        ;  msbs: dst=0 src0=0 src1=0 src2=0
	v_lshl_add_u64 v[174:175], s[6:7], 4, v[8:9]
	v_dual_add_nc_u32 v8, 8, v12 :: v_dual_add_nc_u32 v9, 16, v12
	s_set_vgpr_msb 64                       ;  msbs: dst=1 src0=0 src1=0 src2=0
	v_mad_u32_u24 v12 /*v268*/, 0x210, v15, v11
	s_set_vgpr_msb 0                        ;  msbs: dst=0 src0=0 src1=0 src2=0
	v_dual_ashrrev_i32 v171, 31, v170 :: v_dual_bitop2_b32 v11, 32, v4 bitop3:0x54
	v_cmp_le_i32_e64 s3, s22, v8
	v_cmp_le_i32_e64 s13, s15, v8
	s_set_vgpr_msb 20                       ;  msbs: dst=0 src0=0 src1=1 src2=1
	v_mad_u32 v8, s52, v15 /*v271*/, v6 /*v262*/
	s_set_vgpr_msb 0                        ;  msbs: dst=0 src0=0 src1=0 src2=0
	v_cmp_le_i32_e64 s5, s22, v13
	v_cmp_gt_u32_e64 s6, v14, v4
	v_cmp_ge_u32_e64 s7, v14, v4
	v_or_b32_e32 v14, 3, v14
	v_cmp_gt_i32_e64 s11, s22, v11
	v_cmp_le_i32_e64 s12, s15, v12
	v_cmp_le_i32_e64 s14, s15, v9
	v_cmp_le_i32_e64 s15, s15, v13
	v_dual_lshrrev_b32 v11, 4, v10 :: v_dual_bitop2_b32 v13, 15, v0 bitop3:0x40
	v_and_b32_e32 v0, 48, v0
	s_set_vgpr_msb 0x44                     ;  msbs: dst=1 src0=0 src1=1 src2=0
	v_dual_lshlrev_b32 v7 /*v263*/, 4, v6 /*v262*/ :: v_dual_add_nc_u32 v31 /*v287*/, 16, v9 /*v265*/
	s_set_vgpr_msb 0                        ;  msbs: dst=0 src0=0 src1=0 src2=0
	v_cmp_le_i32_e64 s4, s22, v9
	v_ashrrev_i32_e32 v9, 31, v8
	v_cmp_gt_u32_e64 s9, v14, v4
	v_dual_lshlrev_b32 v14, 6, v11 :: v_dual_lshlrev_b32 v0, 4, v0
	s_set_vgpr_msb 4                        ;  msbs: dst=0 src0=0 src1=1 src2=0
	v_cmp_gt_i32_e32 vcc_lo, s22, v6 /*v262*/
	s_lshl_b32 s44, s52, 5
	s_set_vgpr_msb 0x50                     ;  msbs: dst=1 src0=0 src1=0 src2=1
	v_cmp_eq_u32_e64 s0, 0, v1
	s_ashr_i32 s45, s44, 31
	v_mad_u32_u24 v19 /*v275*/, 0x10c0, v1, v7 /*v263*/
	s_set_vgpr_msb 64                       ;  msbs: dst=1 src0=0 src1=0 src2=0
	v_mad_u32_u24 v21 /*v277*/, 0x430, v13, v0
	s_set_vgpr_msb 0x50                     ;  msbs: dst=1 src0=0 src1=0 src2=1
	v_mad_u32_u24 v23 /*v279*/, 0x430, v1, v7 /*v263*/
	s_set_vgpr_msb 0                        ;  msbs: dst=0 src0=0 src1=0 src2=0
	v_add_nc_u64_e32 v[0:1], s[44:45], v[8:9]
	s_or_b32 s49, s10, vcc_lo
	s_lshl_b32 s38, s52, 3
	s_lshl_b32 s40, s52, 4
	s_mul_i32 s42, s52, 24
	s_mul_i32 s46, s18, s46
	s_add_co_i32 s57, s30, 1
	s_xor_b32 s31, s49, -1
	s_ashr_i32 s23, s22, 31
	s_ashr_i32 s39, s38, 31
	;; [unrolled: 1-line block ×5, first 2 shown]
	s_cmp_lt_u32 s57, s28
	v_cmp_gt_u32_e64 s10, 32, v10
	s_cselect_b32 s61, -1, 0
	s_lshl_b32 s50, s52, 1
	s_set_vgpr_msb 64                       ;  msbs: dst=1 src0=0 src1=0 src2=0
	v_mad_u32_u24 v20 /*v276*/, 0x430, v13, v14
	s_set_vgpr_msb 0                        ;  msbs: dst=0 src0=0 src1=0 src2=0
	v_mul_i32_i24_e32 v14, 0xffffffd0, v11
	v_cmp_gt_u32_e64 s17, 64, v10
	v_lshlrev_b64_e32 v[8:9], 4, v[8:9]
	v_lshlrev_b64_e32 v[10:11], 4, v[0:1]
	s_mul_i32 s54, s52, 3
	s_ashr_i32 s51, s50, 31
	s_lshl_b32 s63, s18, 6
	s_ashr_i32 s55, s54, 31
	s_or_b32 s65, s48, s19
	s_lshl_b64 s[66:67], s[44:45], 4
	s_mul_i32 s57, s18, s57
	s_mul_u64 s[18:19], s[40:41], 48
	s_lshl_b64 s[68:69], s[52:53], 5
	s_lshl_b64 s[70:71], s[50:51], 4
	;; [unrolled: 1-line block ×3, first 2 shown]
	s_add_nc_u64 s[18:19], s[18:19], s[68:69]
	s_add_nc_u64 s[50:51], s[66:67], s[70:71]
	s_lshl_b64 s[54:55], s[54:55], 4
	v_add_nc_u64_e32 v[178:179], s[18:19], v[10:11]
	s_add_nc_u64 s[18:19], s[58:59], s[66:67]
	v_add_nc_u64_e32 v[182:183], s[50:51], v[8:9]
	s_add_nc_u64 s[50:51], s[68:69], s[66:67]
	s_lshl_b64 s[68:69], s[40:41], 4
	s_add_nc_u64 s[72:73], s[66:67], s[54:55]
	v_add_nc_u64_e32 v[180:181], s[18:19], v[8:9]
	v_mad_nc_i64_i32 v[184:185], s40, 48, v[10:11]
	v_add_nc_u64_e32 v[186:187], s[72:73], v[8:9]
	s_add_nc_u64 s[18:19], s[18:19], s[68:69]
	s_lshl_b64 s[72:73], s[40:41], 5
	s_add_nc_u64 s[74:75], s[66:67], s[68:69]
	v_add_nc_u64_e32 v[190:191], s[18:19], v[8:9]
	s_add_nc_u64 s[18:19], s[50:51], s[72:73]
	v_add_nc_u64_e32 v[188:189], s[74:75], v[8:9]
	s_add_nc_u64 s[76:77], s[74:75], s[70:71]
	v_add_nc_u64_e32 v[192:193], s[18:19], v[8:9]
	s_add_nc_u64 s[18:19], s[72:73], s[66:67]
	s_add_nc_u64 s[74:75], s[74:75], s[54:55]
	v_add_nc_u64_e32 v[0:1], s[66:67], v[8:9]
	v_add_nc_u64_e32 v[194:195], s[76:77], v[8:9]
	;; [unrolled: 1-line block ×4, first 2 shown]
	v_cmp_le_i32_e64 s2, s22, v12
	s_set_vgpr_msb 0x41                     ;  msbs: dst=1 src0=1 src1=0 src2=0
	v_dual_add_nc_u32 v16 /*v272*/, v11 /*v267*/, v16 :: v_dual_add_nc_u32 v26 /*v282*/, v20 /*v276*/, v14
	v_cmp_eq_u32_e64 s16, 1, v12
	s_set_vgpr_msb 0                        ;  msbs: dst=0 src0=0 src1=0 src2=0
	v_mul_i32_i24_e32 v12, 0xffffffd0, v12
	s_set_vgpr_msb 4                        ;  msbs: dst=0 src0=0 src1=1 src2=0
	v_or_b32_e32 v3, 0xf0, v7 /*v263*/
	s_add_nc_u64 s[66:67], s[18:19], s[54:55]
	s_add_nc_u64 s[72:73], s[18:19], s[70:71]
	;; [unrolled: 1-line block ×4, first 2 shown]
	s_set_vgpr_msb 0                        ;  msbs: dst=0 src0=0 src1=0 src2=0
	v_sub_nc_u64_e32 v[176:177], 0, v[6:7]
	v_add_nc_u64_e32 v[200:201], s[50:51], v[8:9]
	v_add_nc_u64_e32 v[202:203], s[66:67], v[8:9]
	;; [unrolled: 1-line block ×5, first 2 shown]
	v_sub_nc_u64_e32 v[210:211], 0, v[4:5]
	v_add_nc_u64_e32 v[214:215], s[54:55], v[184:185]
	v_add_nc_u64_e32 v[216:217], s[70:71], v[184:185]
	;; [unrolled: 1-line block ×3, first 2 shown]
	v_cmp_gt_i32_e64 s1, s22, v4
	v_cmp_gt_u32_e64 s8, v18, v4
	s_set_vgpr_msb 64                       ;  msbs: dst=1 src0=0 src1=0 src2=0
	v_add_nc_u32_e32 v13 /*v269*/, 0x4700, v16
	v_add_nc_u32_e32 v17 /*v273*/, 0x4700, v19
	v_mad_u32_u24 v22 /*v278*/, 0x430, v13, v3
	v_cndmask_b32_e64 v24 /*v280*/, 0, 1, s48
	s_set_vgpr_msb 0                        ;  msbs: dst=0 src0=0 src1=0 src2=0
	v_or_b32_e32 v0, 8, v0
	v_or_b32_e32 v178, 8, v178
	;; [unrolled: 1-line block ×3, first 2 shown]
	v_dual_lshlrev_b32 v212, 4, v4 :: v_dual_bitop2_b32 v182, 8, v182 bitop3:0x54
	v_or_b32_e32 v186, 8, v186
	v_or_b32_e32 v188, 8, v188
	;; [unrolled: 1-line block ×7, first 2 shown]
	s_set_vgpr_msb 0x41                     ;  msbs: dst=1 src0=1 src1=0 src2=0
	v_dual_add_nc_u32 v25 /*v281*/, v16 /*v272*/, v12 :: v_dual_add_nc_u32 v55 /*v311*/, 64, v170
	s_set_vgpr_msb 0x44                     ;  msbs: dst=1 src0=0 src1=1 src2=0
	v_add_nc_u32_e32 v27 /*v283*/, 0x4700, v7 /*v263*/
	v_add_nc_u32_e32 v28 /*v284*/, 0x1080, v8 /*v264*/
	;; [unrolled: 1-line block ×4, first 2 shown]
	v_dual_add_nc_u32 v32 /*v288*/, 32, v9 /*v265*/ :: v_dual_add_nc_u32 v34 /*v290*/, 48, v9 /*v265*/
	v_add_nc_u32_e32 v33 /*v289*/, 0x210, v12 /*v268*/
	v_add_nc_u32_e32 v35 /*v291*/, 0x420, v12 /*v268*/
	v_dual_add_nc_u32 v36 /*v292*/, 16, v16 /*v272*/ :: v_dual_add_nc_u32 v37 /*v293*/, 32, v16 /*v272*/
	v_dual_add_nc_u32 v38 /*v294*/, 48, v16 /*v272*/ :: v_dual_bitop2_b32 v40 /*v296*/, 1, v15 /*v271*/ bitop3:0x54
	v_add_nc_u32_e32 v39 /*v295*/, 0x4300, v7 /*v263*/
	v_dual_add_nc_u32 v43 /*v299*/, 16, v15 /*v271*/ :: v_dual_bitop2_b32 v41 /*v297*/, 2, v15 /*v271*/ bitop3:0x54
	v_dual_add_nc_u32 v44 /*v300*/, 17, v15 /*v271*/ :: v_dual_bitop2_b32 v42 /*v298*/, 3, v15 /*v271*/ bitop3:0x54
	v_dual_add_nc_u32 v45 /*v301*/, 18, v15 /*v271*/ :: v_dual_add_nc_u32 v46 /*v302*/, 19, v15 /*v271*/
	v_dual_add_nc_u32 v47 /*v303*/, 32, v15 /*v271*/ :: v_dual_add_nc_u32 v48 /*v304*/, 33, v15 /*v271*/
	;; [unrolled: 1-line block ×5, first 2 shown]
	s_sub_nc_u64 s[46:47], 0, s[46:47]
	s_add_co_i32 s62, s28, -2
	s_and_b32 s64, s0, s49
	s_sub_nc_u64 s[48:49], 0, s[22:23]
	s_mov_b64 s[18:19], 0xfffffffffffffe00
	s_mov_b64 s[50:51], 0xfffffffffffffdf0
	s_or_b32 s65, s65, s56
	s_lshl_b64 s[52:53], s[52:53], 7
	s_lshl_b32 s66, s57, 6
	s_lshl_b64 s[54:55], s[40:41], 6
	s_set_vgpr_msb 0                        ;  msbs: dst=0 src0=0 src1=0 src2=0
	s_branch .LBB125_4
.LBB125_2:                              ;   in Loop: Header=BB125_4 Depth=1
	s_wait_xcnt 0x0
	s_or_b32 exec_lo, exec_lo, s58
.LBB125_3:                              ;   in Loop: Header=BB125_4 Depth=1
	s_add_co_i32 s24, s24, 0x10000
	s_delay_alu instid0(SALU_CYCLE_1)
	s_cmp_lt_u32 s24, s33
	s_cbranch_scc0 .LBB125_155
.LBB125_4:                              ; =>This Loop Header: Depth=1
                                        ;     Child Loop BB125_77 Depth 2
	s_and_not1_b32 vcc_lo, exec_lo, s65
	s_cbranch_vccnz .LBB125_3
; %bb.5:                                ;   in Loop: Header=BB125_4 Depth=1
	s_set_vgpr_msb 4                        ;  msbs: dst=0 src0=0 src1=1 src2=0
	v_cmp_ne_u32_e32 vcc_lo, 1, v24 /*v280*/
	s_set_vgpr_msb 0                        ;  msbs: dst=0 src0=0 src1=0 src2=0
	s_cbranch_vccnz .LBB125_3
; %bb.6:                                ;   in Loop: Header=BB125_4 Depth=1
	s_mul_u64 s[56:57], s[26:27], s[24:25]
	s_delay_alu instid0(SALU_CYCLE_1)
	v_lshl_add_u64 v[42:43], s[56:57], 4, v[172:173]
	s_and_saveexec_b32 s56, s0
	s_cbranch_execz .LBB125_11
; %bb.7:                                ;   in Loop: Header=BB125_4 Depth=1
	s_and_saveexec_b32 s57, s31
	s_delay_alu instid0(SALU_CYCLE_1)
	s_xor_b32 s57, exec_lo, s57
; %bb.8:                                ;   in Loop: Header=BB125_4 Depth=1
	v_dual_mov_b32 v3, v2 :: v_dual_mov_b32 v4, v2
	v_mov_b32_e32 v5, v2
	s_set_vgpr_msb 1                        ;  msbs: dst=0 src0=1 src1=0 src2=0
	ds_store_b128 v27 /*v283*/, v[2:5]
; %bb.9:                                ;   in Loop: Header=BB125_4 Depth=1
	s_and_not1_saveexec_b32 s57, s57
	s_set_vgpr_msb 0                        ;  msbs: dst=0 src0=0 src1=0 src2=0
	s_cbranch_execz .LBB125_11
; %bb.10:                               ;   in Loop: Header=BB125_4 Depth=1
	global_load_b128 v[4:7], v[42:43], off
	s_wait_loadcnt 0x0
	s_set_vgpr_msb 1                        ;  msbs: dst=0 src0=1 src1=0 src2=0
	ds_store_2addr_b64 v27 /*v283*/, v[4:5], v[6:7] offset1:1
.LBB125_11:                             ;   in Loop: Header=BB125_4 Depth=1
	s_wait_xcnt 0x0
	s_or_b32 exec_lo, exec_lo, s56
	s_mul_u64 s[56:57], s[20:21], s[24:25]
	s_and_b32 vcc_lo, exec_lo, s60
	s_set_vgpr_msb 0                        ;  msbs: dst=0 src0=0 src1=0 src2=0
	v_lshl_add_u64 v[6:7], s[56:57], 4, v[174:175]
	s_mov_b32 s56, -1
                                        ; implicit-def: $vgpr4_vgpr5
	s_cbranch_vccz .LBB125_23
; %bb.12:                               ;   in Loop: Header=BB125_4 Depth=1
	s_and_saveexec_b32 s56, s2
	s_delay_alu instid0(SALU_CYCLE_1)
	s_xor_b32 s56, exec_lo, s56
; %bb.13:                               ;   in Loop: Header=BB125_4 Depth=1
	v_dual_mov_b32 v3, v2 :: v_dual_mov_b32 v4, v2
	v_mov_b32_e32 v5, v2
	s_set_vgpr_msb 1                        ;  msbs: dst=0 src0=1 src1=0 src2=0
	ds_store_b128 v8 /*v264*/, v[2:5]
; %bb.14:                               ;   in Loop: Header=BB125_4 Depth=1
	s_or_saveexec_b32 s56, s56
	s_set_vgpr_msb 0                        ;  msbs: dst=0 src0=0 src1=0 src2=0
	v_lshl_add_u64 v[4:5], v[210:211], 4, v[6:7]
	s_delay_alu instid0(VALU_DEP_1) | instskip(NEXT) | instid1(VALU_DEP_1)
	v_lshl_add_u64 v[4:5], s[22:23], 4, v[4:5]
	v_add_nc_u64_e32 v[4:5], -16, v[4:5]
	s_delay_alu instid0(VALU_DEP_1)
	v_dual_cndmask_b32 v9, v5, v7, s1 :: v_dual_cndmask_b32 v8, v4, v6, s1
	s_xor_b32 exec_lo, exec_lo, s56
	s_cbranch_execnz .LBB125_137
; %bb.15:                               ;   in Loop: Header=BB125_4 Depth=1
	s_or_b32 exec_lo, exec_lo, s56
	s_and_saveexec_b32 s56, s3
	s_delay_alu instid0(SALU_CYCLE_1)
	s_xor_b32 s56, exec_lo, s56
	s_cbranch_execnz .LBB125_138
.LBB125_16:                             ;   in Loop: Header=BB125_4 Depth=1
	s_and_not1_saveexec_b32 s56, s56
	s_cbranch_execnz .LBB125_139
.LBB125_17:                             ;   in Loop: Header=BB125_4 Depth=1
	s_or_b32 exec_lo, exec_lo, s56
	s_and_saveexec_b32 s56, s4
	s_delay_alu instid0(SALU_CYCLE_1)
	s_xor_b32 s56, exec_lo, s56
	s_cbranch_execnz .LBB125_140
.LBB125_18:                             ;   in Loop: Header=BB125_4 Depth=1
	s_and_not1_saveexec_b32 s56, s56
	s_cbranch_execnz .LBB125_141
.LBB125_19:                             ;   in Loop: Header=BB125_4 Depth=1
	s_or_b32 exec_lo, exec_lo, s56
	s_and_saveexec_b32 s56, s5
	s_delay_alu instid0(SALU_CYCLE_1)
	s_xor_b32 s56, exec_lo, s56
	s_cbranch_execnz .LBB125_142
.LBB125_20:                             ;   in Loop: Header=BB125_4 Depth=1
	s_and_not1_saveexec_b32 s56, s56
	s_cbranch_execz .LBB125_22
.LBB125_21:                             ;   in Loop: Header=BB125_4 Depth=1
	v_lshl_add_u64 v[4:5], s[42:43], 4, v[8:9]
	global_load_b128 v[10:13], v[4:5], off
	s_wait_loadcnt 0x0
	s_set_vgpr_msb 1                        ;  msbs: dst=0 src0=1 src1=0 src2=0
	ds_store_2addr_b64 v30 /*v286*/, v[10:11], v[12:13] offset1:1
.LBB125_22:                             ;   in Loop: Header=BB125_4 Depth=1
	s_wait_xcnt 0x0
	s_or_b32 exec_lo, exec_lo, s56
	s_set_vgpr_msb 0                        ;  msbs: dst=0 src0=0 src1=0 src2=0
	v_mov_b32_e32 v213, v2
	s_mov_b32 s56, 0
	s_delay_alu instid0(VALU_DEP_1) | instskip(NEXT) | instid1(VALU_DEP_1)
	v_add_nc_u64_e32 v[4:5], v[8:9], v[212:213]
	v_lshl_add_u64 v[4:5], s[48:49], 4, v[4:5]
	s_delay_alu instid0(VALU_DEP_1) | instskip(NEXT) | instid1(VALU_DEP_1)
	v_add_nc_u64_e32 v[4:5], 16, v[4:5]
	v_dual_cndmask_b32 v5, v5, v7, s1 :: v_dual_cndmask_b32 v4, v4, v6, s1
.LBB125_23:                             ;   in Loop: Header=BB125_4 Depth=1
	s_and_b32 vcc_lo, exec_lo, s56
	s_cbranch_vccz .LBB125_25
; %bb.24:                               ;   in Loop: Header=BB125_4 Depth=1
	v_lshl_add_u64 v[4:5], s[38:39], 4, v[6:7]
	s_delay_alu instid0(VALU_DEP_1) | instskip(NEXT) | instid1(VALU_DEP_1)
	v_add_nc_u64_e32 v[16:17], s[52:53], v[4:5]
	v_add_nc_u64_e32 v[20:21], s[52:53], v[16:17]
	s_clause 0x3
	global_load_b128 v[8:11], v[6:7], off
	global_load_b128 v[12:15], v[4:5], off
	;; [unrolled: 1-line block ×4, first 2 shown]
	s_wait_xcnt 0x2
	v_mov_b64_e32 v[4:5], v[6:7]
	s_wait_loadcnt 0x3
	s_set_vgpr_msb 1                        ;  msbs: dst=0 src0=1 src1=0 src2=0
	ds_store_2addr_b64 v8 /*v264*/, v[8:9], v[10:11] offset1:1
	s_wait_loadcnt 0x2
	ds_store_2addr_b64 v28 /*v284*/, v[12:13], v[14:15] offset1:1
	s_wait_loadcnt 0x1
	;; [unrolled: 2-line block ×3, first 2 shown]
	ds_store_2addr_b64 v30 /*v286*/, v[20:21], v[22:23] offset1:1
.LBB125_25:                             ;   in Loop: Header=BB125_4 Depth=1
	s_wait_dscnt 0x0
	s_barrier_signal -1
	s_barrier_wait -1
	s_wait_xcnt 0x0
	s_and_saveexec_b32 s56, s6
	s_set_vgpr_msb 0                        ;  msbs: dst=0 src0=0 src1=0 src2=0
	s_cbranch_execnz .LBB125_131
; %bb.26:                               ;   in Loop: Header=BB125_4 Depth=1
	s_or_b32 exec_lo, exec_lo, s56
	s_and_saveexec_b32 s56, s7
	s_cbranch_execnz .LBB125_132
.LBB125_27:                             ;   in Loop: Header=BB125_4 Depth=1
	s_or_b32 exec_lo, exec_lo, s56
	s_and_saveexec_b32 s56, s8
	s_cbranch_execnz .LBB125_133
.LBB125_28:                             ;   in Loop: Header=BB125_4 Depth=1
	s_or_b32 exec_lo, exec_lo, s56
	s_and_saveexec_b32 s56, s9
	s_cbranch_execz .LBB125_30
.LBB125_29:                             ;   in Loop: Header=BB125_4 Depth=1
	s_set_vgpr_msb 1                        ;  msbs: dst=0 src0=1 src1=0 src2=0
	ds_load_b128 v[6:9], v35 /*v291*/
	s_wait_dscnt 0x0
	ds_store_b128 v34 /*v290*/, v[6:9]
.LBB125_30:                             ;   in Loop: Header=BB125_4 Depth=1
	s_or_b32 exec_lo, exec_lo, s56
	s_wait_dscnt 0x0
	s_barrier_signal -1
	s_barrier_wait -1
	s_set_vgpr_msb 1                        ;  msbs: dst=0 src0=1 src1=0 src2=0
	ds_load_b128 v[6:9], v10 /*v266*/
	ds_load_b128 v[10:13], v13 /*v269*/
	ds_load_b128 v[14:17], v13 /*v269*/ offset:16
	ds_load_b128 v[18:21], v12 /*v268*/
	s_wait_dscnt 0x2
	s_set_vgpr_msb 0                        ;  msbs: dst=0 src0=0 src1=0 src2=0
	v_mul_f64_e32 v[22:23], v[12:13], v[8:9]
	v_mul_f64_e32 v[28:29], v[10:11], v[8:9]
	s_wait_dscnt 0x0
	v_mul_f64_e32 v[30:31], v[16:17], v[20:21]
	v_mul_f64_e32 v[32:33], v[14:15], v[20:21]
	s_delay_alu instid0(VALU_DEP_4) | instskip(NEXT) | instid1(VALU_DEP_4)
	v_fma_f64 v[34:35], v[10:11], v[6:7], -v[22:23]
	v_fmac_f64_e32 v[28:29], v[12:13], v[6:7]
	s_set_vgpr_msb 1                        ;  msbs: dst=0 src0=1 src1=0 src2=0
	ds_load_b128 v[6:9], v33 /*v289*/
	ds_load_b128 v[10:13], v13 /*v269*/ offset:32
	ds_load_b128 v[20:23], v13 /*v269*/ offset:48
	ds_load_b128 v[24:27], v35 /*v291*/
	s_set_vgpr_msb 0                        ;  msbs: dst=0 src0=0 src1=0 src2=0
	v_fma_f64 v[14:15], v[14:15], v[18:19], -v[30:31]
	v_fmac_f64_e32 v[32:33], v[16:17], v[18:19]
	s_wait_dscnt 0x0
	s_barrier_signal -1
	s_barrier_wait -1
	v_mul_f64_e32 v[36:37], v[12:13], v[8:9]
	v_mul_f64_e32 v[8:9], v[10:11], v[8:9]
	v_add_f64_e32 v[16:17], 0, v[34:35]
	v_add_f64_e32 v[18:19], 0, v[28:29]
	v_mul_f64_e32 v[28:29], v[22:23], v[26:27]
	v_mul_f64_e32 v[26:27], v[20:21], v[26:27]
	v_fma_f64 v[10:11], v[10:11], v[6:7], -v[36:37]
	v_fmac_f64_e32 v[8:9], v[12:13], v[6:7]
	v_add_f64_e32 v[6:7], v[16:17], v[14:15]
	v_add_f64_e32 v[12:13], v[18:19], v[32:33]
	v_fma_f64 v[14:15], v[20:21], v[24:25], -v[28:29]
	v_fmac_f64_e32 v[26:27], v[22:23], v[24:25]
	s_delay_alu instid0(VALU_DEP_4) | instskip(NEXT) | instid1(VALU_DEP_4)
	v_add_f64_e32 v[6:7], v[6:7], v[10:11]
	v_add_f64_e32 v[8:9], v[12:13], v[8:9]
	s_delay_alu instid0(VALU_DEP_2) | instskip(NEXT) | instid1(VALU_DEP_2)
	v_add_f64_e32 v[10:11], v[6:7], v[14:15]
	v_add_f64_e32 v[12:13], v[8:9], v[26:27]
	v_mov_b64_e32 v[6:7], 0
	v_mov_b64_e32 v[8:9], 0
	s_set_vgpr_msb 1                        ;  msbs: dst=0 src0=1 src1=0 src2=0
	ds_store_b128 v14 /*v270*/, v[10:13]
	s_wait_dscnt 0x0
	s_barrier_signal -1
	s_barrier_wait -1
	s_and_saveexec_b32 s56, s10
	s_set_vgpr_msb 0                        ;  msbs: dst=0 src0=0 src1=0 src2=0
	s_cbranch_execz .LBB125_32
; %bb.31:                               ;   in Loop: Header=BB125_4 Depth=1
	s_set_vgpr_msb 1                        ;  msbs: dst=0 src0=1 src1=0 src2=0
	ds_load_b128 v[6:9], v11 /*v267*/
	ds_load_b128 v[10:13], v11 /*v267*/ offset:16
	s_wait_dscnt 0x0
	s_set_vgpr_msb 0                        ;  msbs: dst=0 src0=0 src1=0 src2=0
	v_add_f64_e32 v[14:15], v[10:11], v[6:7]
	v_add_f64_e32 v[16:17], v[12:13], v[8:9]
	s_set_vgpr_msb 1                        ;  msbs: dst=0 src0=1 src1=0 src2=0
	ds_load_b128 v[6:9], v11 /*v267*/ offset:32
	ds_load_b128 v[10:13], v11 /*v267*/ offset:48
	s_wait_dscnt 0x1
	s_set_vgpr_msb 0                        ;  msbs: dst=0 src0=0 src1=0 src2=0
	v_add_f64_e32 v[6:7], v[14:15], v[6:7]
	v_add_f64_e32 v[8:9], v[16:17], v[8:9]
	s_wait_dscnt 0x0
	s_delay_alu instid0(VALU_DEP_2) | instskip(NEXT) | instid1(VALU_DEP_2)
	v_add_f64_e32 v[14:15], v[6:7], v[10:11]
	v_add_f64_e32 v[16:17], v[8:9], v[12:13]
	s_set_vgpr_msb 1                        ;  msbs: dst=0 src0=1 src1=0 src2=0
	ds_load_b128 v[6:9], v11 /*v267*/ offset:64
	ds_load_b128 v[10:13], v11 /*v267*/ offset:80
	s_wait_dscnt 0x1
	s_set_vgpr_msb 0                        ;  msbs: dst=0 src0=0 src1=0 src2=0
	v_add_f64_e32 v[6:7], v[14:15], v[6:7]
	v_add_f64_e32 v[8:9], v[16:17], v[8:9]
	s_wait_dscnt 0x0
	s_delay_alu instid0(VALU_DEP_2) | instskip(NEXT) | instid1(VALU_DEP_2)
	;; [unrolled: 11-line block ×3, first 2 shown]
	v_add_f64_e32 v[6:7], v[6:7], v[10:11]
	v_add_f64_e32 v[8:9], v[8:9], v[12:13]
.LBB125_32:                             ;   in Loop: Header=BB125_4 Depth=1
	s_or_b32 exec_lo, exec_lo, s56
	v_lshl_add_u64 v[14:15], s[44:45], 4, v[4:5]
	s_and_b32 vcc_lo, exec_lo, s60
	s_mov_b32 s56, -1
	s_barrier_signal -1
	s_delay_alu instid0(VALU_DEP_1)
	v_add_nc_u64_e32 v[12:13], 0x200, v[14:15]
	s_barrier_wait -1
                                        ; implicit-def: $vgpr10_vgpr11
	s_cbranch_vccz .LBB125_44
; %bb.33:                               ;   in Loop: Header=BB125_4 Depth=1
	s_and_saveexec_b32 s56, s12
	s_delay_alu instid0(SALU_CYCLE_1)
	s_xor_b32 s56, exec_lo, s56
; %bb.34:                               ;   in Loop: Header=BB125_4 Depth=1
	v_dual_mov_b32 v3, v2 :: v_dual_mov_b32 v4, v2
	v_mov_b32_e32 v5, v2
	s_set_vgpr_msb 1                        ;  msbs: dst=0 src0=1 src1=0 src2=0
	ds_store_b128 v8 /*v264*/, v[2:5]
; %bb.35:                               ;   in Loop: Header=BB125_4 Depth=1
	s_or_saveexec_b32 s56, s56
	s_set_vgpr_msb 0                        ;  msbs: dst=0 src0=0 src1=0 src2=0
	v_lshl_add_u64 v[4:5], v[210:211], 4, v[14:15]
	s_delay_alu instid0(VALU_DEP_1) | instskip(NEXT) | instid1(VALU_DEP_1)
	v_lshl_add_u64 v[4:5], s[22:23], 4, v[4:5]
	v_add_nc_u64_e32 v[4:5], -16, v[4:5]
	s_delay_alu instid0(VALU_DEP_1)
	v_dual_cndmask_b32 v11, v5, v13, s11 :: v_dual_cndmask_b32 v10, v4, v12, s11
	s_xor_b32 exec_lo, exec_lo, s56
	s_cbranch_execnz .LBB125_143
; %bb.36:                               ;   in Loop: Header=BB125_4 Depth=1
	s_or_b32 exec_lo, exec_lo, s56
	s_and_saveexec_b32 s56, s13
	s_delay_alu instid0(SALU_CYCLE_1)
	s_xor_b32 s56, exec_lo, s56
	s_cbranch_execnz .LBB125_144
.LBB125_37:                             ;   in Loop: Header=BB125_4 Depth=1
	s_and_not1_saveexec_b32 s56, s56
	s_cbranch_execnz .LBB125_145
.LBB125_38:                             ;   in Loop: Header=BB125_4 Depth=1
	s_or_b32 exec_lo, exec_lo, s56
	s_and_saveexec_b32 s56, s14
	s_delay_alu instid0(SALU_CYCLE_1)
	s_xor_b32 s56, exec_lo, s56
	s_cbranch_execnz .LBB125_146
.LBB125_39:                             ;   in Loop: Header=BB125_4 Depth=1
	s_and_not1_saveexec_b32 s56, s56
	s_cbranch_execnz .LBB125_147
.LBB125_40:                             ;   in Loop: Header=BB125_4 Depth=1
	s_or_b32 exec_lo, exec_lo, s56
	s_and_saveexec_b32 s56, s15
	s_delay_alu instid0(SALU_CYCLE_1)
	s_xor_b32 s56, exec_lo, s56
	s_cbranch_execnz .LBB125_148
.LBB125_41:                             ;   in Loop: Header=BB125_4 Depth=1
	s_and_not1_saveexec_b32 s56, s56
	s_cbranch_execz .LBB125_43
.LBB125_42:                             ;   in Loop: Header=BB125_4 Depth=1
	v_lshl_add_u64 v[4:5], s[42:43], 4, v[10:11]
	global_load_b128 v[16:19], v[4:5], off
	s_wait_loadcnt 0x0
	s_set_vgpr_msb 1                        ;  msbs: dst=0 src0=1 src1=0 src2=0
	ds_store_2addr_b64 v30 /*v286*/, v[16:17], v[18:19] offset1:1
.LBB125_43:                             ;   in Loop: Header=BB125_4 Depth=1
	s_wait_xcnt 0x0
	s_or_b32 exec_lo, exec_lo, s56
	s_set_vgpr_msb 0                        ;  msbs: dst=0 src0=0 src1=0 src2=0
	v_mov_b32_e32 v213, v2
	s_mov_b32 s56, 0
	s_delay_alu instid0(VALU_DEP_1) | instskip(NEXT) | instid1(VALU_DEP_1)
	v_add_nc_u64_e32 v[4:5], v[10:11], v[212:213]
	v_lshl_add_u64 v[4:5], s[48:49], 4, v[4:5]
	s_delay_alu instid0(VALU_DEP_1) | instskip(NEXT) | instid1(VALU_DEP_1)
	v_add_nc_u64_e32 v[4:5], 0x210, v[4:5]
	v_dual_cndmask_b32 v11, v5, v13, s11 :: v_dual_cndmask_b32 v10, v4, v12, s11
.LBB125_44:                             ;   in Loop: Header=BB125_4 Depth=1
	s_and_b32 vcc_lo, exec_lo, s56
	s_cbranch_vccz .LBB125_46
; %bb.45:                               ;   in Loop: Header=BB125_4 Depth=1
	v_lshl_add_u64 v[4:5], s[38:39], 4, v[14:15]
	s_delay_alu instid0(VALU_DEP_1) | instskip(NEXT) | instid1(VALU_DEP_1)
	v_add_nc_u64_e32 v[10:11], s[52:53], v[4:5]
	v_add_nc_u64_e32 v[26:27], s[52:53], v[10:11]
	s_clause 0x3
	global_load_b128 v[14:17], v[12:13], off
	global_load_b128 v[18:21], v[4:5], off offset:512
	global_load_b128 v[22:25], v[10:11], off offset:512
	;; [unrolled: 1-line block ×3, first 2 shown]
	s_wait_xcnt 0x1
	v_mov_b64_e32 v[10:11], v[12:13]
	s_wait_loadcnt 0x3
	s_set_vgpr_msb 1                        ;  msbs: dst=0 src0=1 src1=0 src2=0
	ds_store_2addr_b64 v8 /*v264*/, v[14:15], v[16:17] offset1:1
	s_wait_loadcnt 0x2
	ds_store_2addr_b64 v28 /*v284*/, v[18:19], v[20:21] offset1:1
	s_wait_loadcnt 0x1
	;; [unrolled: 2-line block ×3, first 2 shown]
	ds_store_2addr_b64 v30 /*v286*/, v[26:27], v[28:29] offset1:1
.LBB125_46:                             ;   in Loop: Header=BB125_4 Depth=1
	s_wait_dscnt 0x0
	s_barrier_signal -1
	s_barrier_wait -1
	s_wait_xcnt 0x0
	s_and_saveexec_b32 s56, s6
	s_set_vgpr_msb 0                        ;  msbs: dst=0 src0=0 src1=0 src2=0
	s_cbranch_execnz .LBB125_134
; %bb.47:                               ;   in Loop: Header=BB125_4 Depth=1
	s_or_b32 exec_lo, exec_lo, s56
	s_and_saveexec_b32 s56, s7
	s_cbranch_execnz .LBB125_135
.LBB125_48:                             ;   in Loop: Header=BB125_4 Depth=1
	s_or_b32 exec_lo, exec_lo, s56
	s_and_saveexec_b32 s56, s8
	s_cbranch_execnz .LBB125_136
.LBB125_49:                             ;   in Loop: Header=BB125_4 Depth=1
	s_or_b32 exec_lo, exec_lo, s56
	s_and_saveexec_b32 s56, s9
	s_cbranch_execz .LBB125_51
.LBB125_50:                             ;   in Loop: Header=BB125_4 Depth=1
	s_set_vgpr_msb 1                        ;  msbs: dst=0 src0=1 src1=0 src2=0
	ds_load_b128 v[12:15], v35 /*v291*/
	s_wait_dscnt 0x0
	ds_store_b128 v38 /*v294*/, v[12:15]
.LBB125_51:                             ;   in Loop: Header=BB125_4 Depth=1
	s_or_b32 exec_lo, exec_lo, s56
	s_wait_dscnt 0x0
	s_barrier_signal -1
	s_barrier_wait -1
	s_set_vgpr_msb 1                        ;  msbs: dst=0 src0=1 src1=0 src2=0
	ds_load_b128 v[12:15], v10 /*v266*/
	ds_load_b128 v[16:19], v13 /*v269*/ offset:512
	ds_load_b128 v[20:23], v13 /*v269*/ offset:528
	ds_load_b128 v[24:27], v12 /*v268*/
	s_wait_dscnt 0x2
	s_set_vgpr_msb 0                        ;  msbs: dst=0 src0=0 src1=0 src2=0
	v_mul_f64_e32 v[4:5], v[18:19], v[14:15]
	v_mul_f64_e32 v[34:35], v[16:17], v[14:15]
	s_wait_dscnt 0x0
	v_mul_f64_e32 v[36:37], v[22:23], v[26:27]
	v_mul_f64_e32 v[38:39], v[20:21], v[26:27]
	s_delay_alu instid0(VALU_DEP_4) | instskip(NEXT) | instid1(VALU_DEP_4)
	v_fma_f64 v[4:5], v[16:17], v[12:13], -v[4:5]
	v_fmac_f64_e32 v[34:35], v[18:19], v[12:13]
	s_set_vgpr_msb 1                        ;  msbs: dst=0 src0=1 src1=0 src2=0
	ds_load_b128 v[12:15], v33 /*v289*/
	ds_load_b128 v[16:19], v13 /*v269*/ offset:544
	ds_load_b128 v[26:29], v13 /*v269*/ offset:560
	ds_load_b128 v[30:33], v35 /*v291*/
	s_set_vgpr_msb 0                        ;  msbs: dst=0 src0=0 src1=0 src2=0
	v_fma_f64 v[20:21], v[20:21], v[24:25], -v[36:37]
	v_fmac_f64_e32 v[38:39], v[22:23], v[24:25]
	s_wait_dscnt 0x0
	s_barrier_signal -1
	s_barrier_wait -1
	v_mul_f64_e32 v[40:41], v[18:19], v[14:15]
	v_mul_f64_e32 v[14:15], v[16:17], v[14:15]
	;; [unrolled: 1-line block ×4, first 2 shown]
	v_add_f64_e32 v[4:5], 0, v[4:5]
	v_add_f64_e32 v[22:23], 0, v[34:35]
	v_fma_f64 v[16:17], v[16:17], v[12:13], -v[40:41]
	v_fmac_f64_e32 v[14:15], v[18:19], v[12:13]
	v_fma_f64 v[18:19], v[26:27], v[30:31], -v[24:25]
	v_fmac_f64_e32 v[32:33], v[28:29], v[30:31]
	v_add_f64_e32 v[4:5], v[4:5], v[20:21]
	v_add_f64_e32 v[12:13], v[22:23], v[38:39]
	s_delay_alu instid0(VALU_DEP_2) | instskip(NEXT) | instid1(VALU_DEP_2)
	v_add_f64_e32 v[4:5], v[4:5], v[16:17]
	v_add_f64_e32 v[14:15], v[12:13], v[14:15]
	s_delay_alu instid0(VALU_DEP_2) | instskip(NEXT) | instid1(VALU_DEP_2)
	v_add_f64_e32 v[12:13], v[4:5], v[18:19]
	v_add_f64_e32 v[14:15], v[14:15], v[32:33]
	s_set_vgpr_msb 1                        ;  msbs: dst=0 src0=1 src1=0 src2=0
	ds_store_b128 v14 /*v270*/, v[12:15]
	s_wait_dscnt 0x0
	s_barrier_signal -1
	s_barrier_wait -1
	s_and_saveexec_b32 s56, s16
	s_set_vgpr_msb 0                        ;  msbs: dst=0 src0=0 src1=0 src2=0
	s_cbranch_execz .LBB125_53
; %bb.52:                               ;   in Loop: Header=BB125_4 Depth=1
	s_set_vgpr_msb 1                        ;  msbs: dst=0 src0=1 src1=0 src2=0
	ds_load_b128 v[4:7], v11 /*v267*/
	ds_load_b128 v[12:15], v11 /*v267*/ offset:16
	s_wait_dscnt 0x0
	s_set_vgpr_msb 0                        ;  msbs: dst=0 src0=0 src1=0 src2=0
	v_add_f64_e32 v[8:9], v[12:13], v[4:5]
	v_add_f64_e32 v[16:17], v[14:15], v[6:7]
	s_set_vgpr_msb 1                        ;  msbs: dst=0 src0=1 src1=0 src2=0
	ds_load_b128 v[4:7], v11 /*v267*/ offset:32
	ds_load_b128 v[12:15], v11 /*v267*/ offset:48
	s_wait_dscnt 0x1
	s_set_vgpr_msb 0                        ;  msbs: dst=0 src0=0 src1=0 src2=0
	v_add_f64_e32 v[4:5], v[8:9], v[4:5]
	v_add_f64_e32 v[6:7], v[16:17], v[6:7]
	s_wait_dscnt 0x0
	s_delay_alu instid0(VALU_DEP_2) | instskip(NEXT) | instid1(VALU_DEP_2)
	v_add_f64_e32 v[8:9], v[4:5], v[12:13]
	v_add_f64_e32 v[16:17], v[6:7], v[14:15]
	s_set_vgpr_msb 1                        ;  msbs: dst=0 src0=1 src1=0 src2=0
	ds_load_b128 v[4:7], v11 /*v267*/ offset:64
	ds_load_b128 v[12:15], v11 /*v267*/ offset:80
	s_wait_dscnt 0x1
	s_set_vgpr_msb 0                        ;  msbs: dst=0 src0=0 src1=0 src2=0
	v_add_f64_e32 v[4:5], v[8:9], v[4:5]
	v_add_f64_e32 v[6:7], v[16:17], v[6:7]
	s_wait_dscnt 0x0
	s_delay_alu instid0(VALU_DEP_2) | instskip(NEXT) | instid1(VALU_DEP_2)
	;; [unrolled: 11-line block ×3, first 2 shown]
	v_add_f64_e32 v[6:7], v[4:5], v[12:13]
	v_add_f64_e32 v[8:9], v[8:9], v[14:15]
.LBB125_53:                             ;   in Loop: Header=BB125_4 Depth=1
	s_or_b32 exec_lo, exec_lo, s56
	v_add_nc_u64_e32 v[12:13], s[18:19], v[10:11]
	s_and_b32 vcc_lo, exec_lo, s60
	s_mov_b32 s56, -1
	s_barrier_signal -1
	s_barrier_wait -1
                                        ; implicit-def: $vgpr4_vgpr5
	s_cbranch_vccz .LBB125_65
; %bb.54:                               ;   in Loop: Header=BB125_4 Depth=1
	s_and_saveexec_b32 s56, s12
	s_delay_alu instid0(SALU_CYCLE_1)
	s_xor_b32 s56, exec_lo, s56
; %bb.55:                               ;   in Loop: Header=BB125_4 Depth=1
	v_dual_mov_b32 v3, v2 :: v_dual_mov_b32 v4, v2
	v_mov_b32_e32 v5, v2
	s_set_vgpr_msb 1                        ;  msbs: dst=0 src0=1 src1=0 src2=0
	ds_store_b128 v8 /*v264*/, v[2:5]
; %bb.56:                               ;   in Loop: Header=BB125_4 Depth=1
	s_or_saveexec_b32 s56, s56
	s_set_vgpr_msb 0                        ;  msbs: dst=0 src0=0 src1=0 src2=0
	v_lshl_add_u64 v[4:5], v[210:211], 4, v[10:11]
	s_delay_alu instid0(VALU_DEP_1) | instskip(NEXT) | instid1(VALU_DEP_1)
	v_lshl_add_u64 v[4:5], s[22:23], 4, v[4:5]
	v_add_nc_u64_e32 v[4:5], s[50:51], v[4:5]
	s_delay_alu instid0(VALU_DEP_1)
	v_dual_cndmask_b32 v15, v5, v13, s1 :: v_dual_cndmask_b32 v14, v4, v12, s1
	s_xor_b32 exec_lo, exec_lo, s56
	s_cbranch_execnz .LBB125_149
; %bb.57:                               ;   in Loop: Header=BB125_4 Depth=1
	s_or_b32 exec_lo, exec_lo, s56
	s_and_saveexec_b32 s56, s13
	s_delay_alu instid0(SALU_CYCLE_1)
	s_xor_b32 s56, exec_lo, s56
	s_cbranch_execnz .LBB125_150
.LBB125_58:                             ;   in Loop: Header=BB125_4 Depth=1
	s_and_not1_saveexec_b32 s56, s56
	s_cbranch_execnz .LBB125_151
.LBB125_59:                             ;   in Loop: Header=BB125_4 Depth=1
	s_or_b32 exec_lo, exec_lo, s56
	s_and_saveexec_b32 s56, s14
	s_delay_alu instid0(SALU_CYCLE_1)
	s_xor_b32 s56, exec_lo, s56
	s_cbranch_execnz .LBB125_152
.LBB125_60:                             ;   in Loop: Header=BB125_4 Depth=1
	s_and_not1_saveexec_b32 s56, s56
	s_cbranch_execnz .LBB125_153
.LBB125_61:                             ;   in Loop: Header=BB125_4 Depth=1
	s_or_b32 exec_lo, exec_lo, s56
	s_and_saveexec_b32 s56, s15
	s_delay_alu instid0(SALU_CYCLE_1)
	s_xor_b32 s56, exec_lo, s56
	s_cbranch_execnz .LBB125_154
.LBB125_62:                             ;   in Loop: Header=BB125_4 Depth=1
	s_and_not1_saveexec_b32 s56, s56
	s_cbranch_execz .LBB125_64
.LBB125_63:                             ;   in Loop: Header=BB125_4 Depth=1
	v_lshl_add_u64 v[4:5], s[42:43], 4, v[14:15]
	global_load_b128 v[16:19], v[4:5], off
	s_wait_loadcnt 0x0
	s_set_vgpr_msb 1                        ;  msbs: dst=0 src0=1 src1=0 src2=0
	ds_store_2addr_b64 v30 /*v286*/, v[16:17], v[18:19] offset1:1
.LBB125_64:                             ;   in Loop: Header=BB125_4 Depth=1
	s_wait_xcnt 0x0
	s_or_b32 exec_lo, exec_lo, s56
	s_set_vgpr_msb 0                        ;  msbs: dst=0 src0=0 src1=0 src2=0
	v_mov_b32_e32 v213, v2
	s_mov_b32 s56, 0
	s_delay_alu instid0(VALU_DEP_1) | instskip(NEXT) | instid1(VALU_DEP_1)
	v_add_nc_u64_e32 v[4:5], v[14:15], v[212:213]
	v_lshl_add_u64 v[4:5], s[48:49], 4, v[4:5]
	s_delay_alu instid0(VALU_DEP_1) | instskip(NEXT) | instid1(VALU_DEP_1)
	v_add_nc_u64_e32 v[4:5], 16, v[4:5]
	v_dual_cndmask_b32 v5, v5, v13, s1 :: v_dual_cndmask_b32 v4, v4, v12, s1
.LBB125_65:                             ;   in Loop: Header=BB125_4 Depth=1
	s_and_b32 vcc_lo, exec_lo, s56
	s_cbranch_vccz .LBB125_67
; %bb.66:                               ;   in Loop: Header=BB125_4 Depth=1
	v_lshl_add_u64 v[4:5], s[38:39], 4, v[10:11]
	s_delay_alu instid0(VALU_DEP_1) | instskip(NEXT) | instid1(VALU_DEP_1)
	v_add_nc_u64_e32 v[10:11], s[52:53], v[4:5]
	v_add_nc_u64_e32 v[26:27], s[52:53], v[10:11]
	s_clause 0x3
	global_load_b128 v[14:17], v[12:13], off
	global_load_b128 v[18:21], v[4:5], off offset:-512
	global_load_b128 v[22:25], v[10:11], off offset:-512
	;; [unrolled: 1-line block ×3, first 2 shown]
	s_wait_xcnt 0x2
	v_mov_b64_e32 v[4:5], v[12:13]
	s_wait_loadcnt 0x3
	s_set_vgpr_msb 1                        ;  msbs: dst=0 src0=1 src1=0 src2=0
	ds_store_2addr_b64 v8 /*v264*/, v[14:15], v[16:17] offset1:1
	s_wait_loadcnt 0x2
	ds_store_2addr_b64 v28 /*v284*/, v[18:19], v[20:21] offset1:1
	s_wait_loadcnt 0x1
	;; [unrolled: 2-line block ×3, first 2 shown]
	ds_store_2addr_b64 v30 /*v286*/, v[26:27], v[28:29] offset1:1
.LBB125_67:                             ;   in Loop: Header=BB125_4 Depth=1
	s_wait_dscnt 0x0
	s_barrier_signal -1
	s_barrier_wait -1
	s_wait_xcnt 0x1
	s_set_vgpr_msb 1                        ;  msbs: dst=0 src0=1 src1=0 src2=0
	ds_load_b128 v[10:13], v25 /*v281*/
	ds_load_b128 v[14:17], v17 /*v273*/
	ds_load_b128 v[18:21], v14 /*v270*/ offset:384
	ds_load_b128 v[22:25], v17 /*v273*/ offset:384
	s_wait_xcnt 0x0
	ds_load_b128 v[26:29], v17 /*v273*/ offset:128
	ds_load_b128 v[30:33], v14 /*v270*/ offset:128
	;; [unrolled: 1-line block ×4, first 2 shown]
	s_wait_dscnt 0x6
	s_set_vgpr_msb 0                        ;  msbs: dst=0 src0=0 src1=0 src2=0
	v_mul_f64_e32 v[44:45], v[12:13], v[16:17]
	v_mul_f64_e32 v[16:17], v[10:11], v[16:17]
	s_wait_dscnt 0x2
	v_mul_f64_e32 v[46:47], v[32:33], v[28:29]
	v_mul_f64_e32 v[28:29], v[30:31], v[28:29]
	s_delay_alu instid0(VALU_DEP_4) | instskip(NEXT) | instid1(VALU_DEP_4)
	v_fma_f64 v[10:11], v[10:11], v[14:15], -v[44:45]
	v_fmac_f64_e32 v[16:17], v[12:13], v[14:15]
	s_wait_dscnt 0x0
	v_mul_f64_e32 v[12:13], v[36:37], v[40:41]
	v_mul_f64_e32 v[14:15], v[34:35], v[40:41]
	v_fma_f64 v[30:31], v[30:31], v[26:27], -v[46:47]
	v_fmac_f64_e32 v[28:29], v[32:33], v[26:27]
	v_mul_f64_e32 v[26:27], v[20:21], v[24:25]
	v_mul_f64_e32 v[24:25], v[18:19], v[24:25]
	v_add_f64_e32 v[10:11], 0, v[10:11]
	v_add_f64_e32 v[16:17], 0, v[16:17]
	v_fma_f64 v[12:13], v[34:35], v[38:39], -v[12:13]
	v_fmac_f64_e32 v[14:15], v[36:37], v[38:39]
	v_fma_f64 v[18:19], v[18:19], v[22:23], -v[26:27]
	v_fmac_f64_e32 v[24:25], v[20:21], v[22:23]
	v_add_f64_e32 v[10:11], v[10:11], v[30:31]
	v_add_f64_e32 v[16:17], v[16:17], v[28:29]
	s_delay_alu instid0(VALU_DEP_2) | instskip(NEXT) | instid1(VALU_DEP_2)
	v_add_f64_e32 v[10:11], v[10:11], v[12:13]
	v_add_f64_e32 v[12:13], v[16:17], v[14:15]
	s_delay_alu instid0(VALU_DEP_2) | instskip(NEXT) | instid1(VALU_DEP_2)
	v_add_f64_e32 v[44:45], v[10:11], v[18:19]
	v_add_f64_e32 v[46:47], v[12:13], v[24:25]
	s_set_vgpr_msb 1                        ;  msbs: dst=0 src0=1 src1=0 src2=0
	ds_load_b128 v[34:37], v13 /*v269*/ offset:512
	ds_load_b128 v[26:29], v13 /*v269*/ offset:528
	;; [unrolled: 1-line block ×4, first 2 shown]
	ds_load_b128 v[38:41], v10 /*v266*/
	ds_load_b128 v[30:33], v12 /*v268*/
	;; [unrolled: 1-line block ×4, first 2 shown]
	s_wait_dscnt 0x0
	s_barrier_signal -1
	s_barrier_wait -1
	ds_store_b128 v14 /*v270*/, v[44:47]
	s_wait_dscnt 0x0
	s_barrier_signal -1
	s_barrier_wait -1
	s_and_saveexec_b32 s56, s16
	s_set_vgpr_msb 0                        ;  msbs: dst=0 src0=0 src1=0 src2=0
	s_cbranch_execz .LBB125_69
; %bb.68:                               ;   in Loop: Header=BB125_4 Depth=1
	s_set_vgpr_msb 1                        ;  msbs: dst=0 src0=1 src1=0 src2=0
	ds_load_b128 v[44:47], v11 /*v267*/
	ds_load_b128 v[48:51], v11 /*v267*/ offset:16
	s_wait_dscnt 0x1
	s_set_vgpr_msb 0                        ;  msbs: dst=0 src0=0 src1=0 src2=0
	v_add_f64_e32 v[6:7], v[6:7], v[44:45]
	v_add_f64_e32 v[8:9], v[8:9], v[46:47]
	s_wait_dscnt 0x0
	s_delay_alu instid0(VALU_DEP_2) | instskip(NEXT) | instid1(VALU_DEP_2)
	v_add_f64_e32 v[48:49], v[6:7], v[48:49]
	v_add_f64_e32 v[50:51], v[8:9], v[50:51]
	s_set_vgpr_msb 1                        ;  msbs: dst=0 src0=1 src1=0 src2=0
	ds_load_b128 v[6:9], v11 /*v267*/ offset:32
	ds_load_b128 v[44:47], v11 /*v267*/ offset:48
	s_wait_dscnt 0x1
	s_set_vgpr_msb 0                        ;  msbs: dst=0 src0=0 src1=0 src2=0
	v_add_f64_e32 v[6:7], v[48:49], v[6:7]
	v_add_f64_e32 v[8:9], v[50:51], v[8:9]
	s_wait_dscnt 0x0
	s_delay_alu instid0(VALU_DEP_2) | instskip(NEXT) | instid1(VALU_DEP_2)
	v_add_f64_e32 v[48:49], v[6:7], v[44:45]
	v_add_f64_e32 v[50:51], v[8:9], v[46:47]
	s_set_vgpr_msb 1                        ;  msbs: dst=0 src0=1 src1=0 src2=0
	ds_load_b128 v[6:9], v11 /*v267*/ offset:64
	;; [unrolled: 11-line block ×3, first 2 shown]
	ds_load_b128 v[44:47], v11 /*v267*/ offset:112
	s_wait_dscnt 0x1
	s_set_vgpr_msb 0                        ;  msbs: dst=0 src0=0 src1=0 src2=0
	v_add_f64_e32 v[6:7], v[48:49], v[6:7]
	v_add_f64_e32 v[8:9], v[50:51], v[8:9]
	s_wait_dscnt 0x0
	s_delay_alu instid0(VALU_DEP_2) | instskip(NEXT) | instid1(VALU_DEP_2)
	v_add_f64_e32 v[6:7], v[6:7], v[44:45]
	v_add_f64_e32 v[8:9], v[8:9], v[46:47]
.LBB125_69:                             ;   in Loop: Header=BB125_4 Depth=1
	s_or_b32 exec_lo, exec_lo, s56
	v_mul_f64_e32 v[44:45], v[36:37], v[40:41]
	v_mul_f64_e32 v[40:41], v[34:35], v[40:41]
	;; [unrolled: 1-line block ×4, first 2 shown]
	s_barrier_signal -1
	s_barrier_wait -1
	s_delay_alu instid0(VALU_DEP_4) | instskip(NEXT) | instid1(VALU_DEP_4)
	v_fma_f64 v[34:35], v[34:35], v[38:39], -v[44:45]
	v_fmac_f64_e32 v[40:41], v[36:37], v[38:39]
	v_mul_f64_e32 v[36:37], v[16:17], v[24:25]
	v_mul_f64_e32 v[24:25], v[14:15], v[24:25]
	v_fma_f64 v[26:27], v[26:27], v[30:31], -v[46:47]
	v_fmac_f64_e32 v[32:33], v[28:29], v[30:31]
	v_add_f64_e32 v[28:29], 0, v[34:35]
	v_add_f64_e32 v[30:31], 0, v[40:41]
	v_mul_f64_e32 v[34:35], v[12:13], v[20:21]
	v_mul_f64_e32 v[20:21], v[10:11], v[20:21]
	v_fma_f64 v[14:15], v[14:15], v[22:23], -v[36:37]
	v_fmac_f64_e32 v[24:25], v[16:17], v[22:23]
	v_add_f64_e32 v[16:17], v[28:29], v[26:27]
	v_add_f64_e32 v[22:23], v[30:31], v[32:33]
	v_fma_f64 v[10:11], v[10:11], v[18:19], -v[34:35]
	v_fmac_f64_e32 v[20:21], v[12:13], v[18:19]
	s_delay_alu instid0(VALU_DEP_4) | instskip(NEXT) | instid1(VALU_DEP_4)
	v_add_f64_e32 v[12:13], v[16:17], v[14:15]
	v_add_f64_e32 v[14:15], v[22:23], v[24:25]
	s_delay_alu instid0(VALU_DEP_2) | instskip(NEXT) | instid1(VALU_DEP_2)
	v_add_f64_e32 v[10:11], v[12:13], v[10:11]
	v_add_f64_e32 v[12:13], v[14:15], v[20:21]
	s_set_vgpr_msb 1                        ;  msbs: dst=0 src0=1 src1=0 src2=0
	ds_store_b128 v14 /*v270*/, v[10:13]
	s_wait_dscnt 0x0
	s_barrier_signal -1
	s_barrier_wait -1
	s_and_saveexec_b32 s56, s10
	s_set_vgpr_msb 0                        ;  msbs: dst=0 src0=0 src1=0 src2=0
	s_cbranch_execz .LBB125_71
; %bb.70:                               ;   in Loop: Header=BB125_4 Depth=1
	s_set_vgpr_msb 1                        ;  msbs: dst=0 src0=1 src1=0 src2=0
	ds_load_b128 v[10:13], v11 /*v267*/
	ds_load_b128 v[14:17], v11 /*v267*/ offset:16
	s_wait_dscnt 0x1
	s_set_vgpr_msb 0                        ;  msbs: dst=0 src0=0 src1=0 src2=0
	v_add_f64_e32 v[6:7], v[6:7], v[10:11]
	v_add_f64_e32 v[8:9], v[8:9], v[12:13]
	s_wait_dscnt 0x0
	s_delay_alu instid0(VALU_DEP_2) | instskip(NEXT) | instid1(VALU_DEP_2)
	v_add_f64_e32 v[14:15], v[6:7], v[14:15]
	v_add_f64_e32 v[16:17], v[8:9], v[16:17]
	s_set_vgpr_msb 1                        ;  msbs: dst=0 src0=1 src1=0 src2=0
	ds_load_b128 v[6:9], v11 /*v267*/ offset:32
	ds_load_b128 v[10:13], v11 /*v267*/ offset:48
	s_wait_dscnt 0x1
	s_set_vgpr_msb 0                        ;  msbs: dst=0 src0=0 src1=0 src2=0
	v_add_f64_e32 v[6:7], v[14:15], v[6:7]
	v_add_f64_e32 v[8:9], v[16:17], v[8:9]
	s_wait_dscnt 0x0
	s_delay_alu instid0(VALU_DEP_2) | instskip(NEXT) | instid1(VALU_DEP_2)
	v_add_f64_e32 v[14:15], v[6:7], v[10:11]
	v_add_f64_e32 v[16:17], v[8:9], v[12:13]
	s_set_vgpr_msb 1                        ;  msbs: dst=0 src0=1 src1=0 src2=0
	ds_load_b128 v[6:9], v11 /*v267*/ offset:64
	;; [unrolled: 11-line block ×3, first 2 shown]
	ds_load_b128 v[10:13], v11 /*v267*/ offset:112
	s_wait_dscnt 0x1
	s_set_vgpr_msb 0                        ;  msbs: dst=0 src0=0 src1=0 src2=0
	v_add_f64_e32 v[6:7], v[14:15], v[6:7]
	v_add_f64_e32 v[8:9], v[16:17], v[8:9]
	s_wait_dscnt 0x0
	s_delay_alu instid0(VALU_DEP_2) | instskip(NEXT) | instid1(VALU_DEP_2)
	v_add_f64_e32 v[6:7], v[6:7], v[10:11]
	v_add_f64_e32 v[8:9], v[8:9], v[12:13]
.LBB125_71:                             ;   in Loop: Header=BB125_4 Depth=1
	s_or_b32 exec_lo, exec_lo, s56
	s_mul_u64 s[56:57], s[34:35], s[24:25]
	s_and_not1_b32 vcc_lo, exec_lo, s61
	s_lshl_b64 s[56:57], s[56:57], 4
	s_delay_alu instid0(SALU_CYCLE_1)
	s_add_nc_u64 s[56:57], s[36:37], s[56:57]
	s_barrier_signal -1
	s_barrier_wait -1
	s_cbranch_vccnz .LBB125_129
; %bb.72:                               ;   in Loop: Header=BB125_4 Depth=1
	v_add_nc_u64_e32 v[220:221], v[4:5], v[0:1]
	v_add_nc_u64_e32 v[222:223], v[4:5], v[214:215]
	v_add_nc_u64_e32 v[224:225], v[4:5], v[200:201]
	v_add_nc_u64_e32 v[226:227], v[4:5], v[178:179]
	v_add_nc_u64_e32 v[228:229], v[4:5], v[180:181]
	v_add_nc_u64_e32 v[230:231], v[4:5], v[216:217]
	v_add_nc_u64_e32 v[232:233], v[4:5], v[182:183]
	v_add_nc_u64_e32 v[234:235], v[4:5], v[218:219]
	v_add_nc_u64_e32 v[236:237], v[4:5], v[186:187]
	v_add_nc_u64_e32 v[238:239], v[4:5], v[184:185]
	v_add_nc_u64_e32 v[240:241], v[4:5], v[188:189]
	v_add_nc_u64_e32 v[242:243], v[4:5], v[202:203]
	v_add_nc_u64_e32 v[244:245], v[4:5], v[190:191]
	v_add_nc_u64_e32 v[246:247], v[4:5], v[192:193]
	v_add_nc_u64_e32 v[248:249], v[4:5], v[194:195]
	v_add_nc_u64_e32 v[250:251], v[4:5], v[204:205]
	v_add_nc_u64_e32 v[252:253], v[4:5], v[206:207]
	v_add_nc_u64_e32 v[254:255], v[4:5], v[208:209]
	s_set_vgpr_msb 64                       ;  msbs: dst=1 src0=0 src1=0 src2=0
	v_add_nc_u64_e32 v[0:1] /*v[256:257]*/, v[4:5], v[196:197]
	v_add_nc_u64_e32 v[2:3] /*v[258:259]*/, v[4:5], v[198:199]
	v_lshl_add_u64 v[4:5] /*v[260:261]*/, s[46:47], 4, v[42:43]
	s_set_vgpr_msb 1                        ;  msbs: dst=0 src0=1 src1=0 src2=0
	v_mov_b32_e32 v213, v55 /*v311*/
	s_mov_b32 s58, s66
	s_mov_b32 s67, s30
	s_delay_alu instid0(SALU_CYCLE_1)
	s_cmp_eq_u32 s62, s67
	s_cselect_b32 s68, s29, 0
	s_and_saveexec_b32 s69, s0
	s_set_vgpr_msb 0                        ;  msbs: dst=0 src0=0 src1=0 src2=0
	s_cbranch_execz .LBB125_77
.LBB125_73:                             ;   in Loop: Header=BB125_4 Depth=1
	s_set_vgpr_msb 4                        ;  msbs: dst=0 src0=0 src1=1 src2=0
	v_cmp_le_i32_e32 vcc_lo, s68, v6 /*v262*/
	s_cmp_lg_u32 s68, 0
	s_cselect_b32 s59, -1, 0
	s_delay_alu instid0(SALU_CYCLE_1) | instskip(NEXT) | instid1(SALU_CYCLE_1)
	s_and_b32 s59, s59, vcc_lo
	s_and_saveexec_b32 s70, s59
	s_delay_alu instid0(SALU_CYCLE_1)
	s_xor_b32 s59, exec_lo, s70
; %bb.74:                               ;   in Loop: Header=BB125_4 Depth=1
	v_dual_mov_b32 v3, v2 :: v_dual_mov_b32 v4, v2
	v_mov_b32_e32 v5, v2
	s_set_vgpr_msb 1                        ;  msbs: dst=0 src0=1 src1=0 src2=0
	ds_store_b128 v39 /*v295*/, v[2:5]
; %bb.75:                               ;   in Loop: Header=BB125_4 Depth=1
	s_and_not1_saveexec_b32 s59, s59
	s_set_vgpr_msb 0                        ;  msbs: dst=0 src0=0 src1=0 src2=0
	s_cbranch_execz .LBB125_77
; %bb.76:                               ;   in Loop: Header=BB125_4 Depth=1
	s_ashr_i32 s59, s58, 31
	s_set_vgpr_msb 16                       ;  msbs: dst=0 src0=0 src1=0 src2=1
	v_lshl_add_u64 v[4:5], s[58:59], 4, v[4:5] /*v[260:261]*/
	global_load_b128 v[10:13], v[4:5], off
	s_wait_loadcnt 0x0
	s_set_vgpr_msb 1                        ;  msbs: dst=0 src0=1 src1=0 src2=0
	ds_store_2addr_b64 v39 /*v295*/, v[10:11], v[12:13] offset1:1
.LBB125_77:                             ;   Parent Loop BB125_4 Depth=1
                                        ; =>  This Inner Loop Header: Depth=2
	s_wait_xcnt 0x0
	s_or_b32 exec_lo, exec_lo, s69
	s_cmp_eq_u32 s68, 0
	s_set_vgpr_msb 0                        ;  msbs: dst=0 src0=0 src1=0 src2=0
	v_add_nc_u64_e32 v[4:5], v[220:221], v[176:177]
	s_cselect_b32 s59, -1, 0
	s_cmp_lg_u32 s68, 0
	s_wait_dscnt 0x0
	s_cselect_b32 s69, -1, 0
	s_barrier_signal -1
	s_and_b32 vcc_lo, exec_lo, s69
	s_barrier_wait -1
	s_cbranch_vccz .LBB125_85
; %bb.78:                               ;   in Loop: Header=BB125_77 Depth=2
	v_mov_b64_e32 v[10:11], 0
	v_mov_b64_e32 v[14:15], 0
	;; [unrolled: 1-line block ×3, first 2 shown]
	s_mov_b32 s70, exec_lo
	s_set_vgpr_msb 4                        ;  msbs: dst=0 src0=0 src1=1 src2=0
	v_cmpx_gt_i32_e64 s68, v15 /*v271*/
	s_set_vgpr_msb 0                        ;  msbs: dst=0 src0=0 src1=0 src2=0
	s_cbranch_execz .LBB125_80
; %bb.79:                               ;   in Loop: Header=BB125_77 Depth=2
	global_load_b128 v[14:17], v[4:5], off offset:-8
.LBB125_80:                             ;   in Loop: Header=BB125_77 Depth=2
	s_wait_xcnt 0x0
	s_or_b32 exec_lo, exec_lo, s70
	v_mov_b64_e32 v[12:13], 0
	s_mov_b32 s70, exec_lo
	s_set_vgpr_msb 4                        ;  msbs: dst=0 src0=0 src1=1 src2=0
	v_cmpx_gt_i32_e64 s68, v40 /*v296*/
	s_set_vgpr_msb 0                        ;  msbs: dst=0 src0=0 src1=0 src2=0
	s_cbranch_execz .LBB125_82
; %bb.81:                               ;   in Loop: Header=BB125_77 Depth=2
	v_add_nc_u64_e32 v[10:11], v[228:229], v[176:177]
	global_load_b128 v[10:13], v[10:11], off offset:-8
.LBB125_82:                             ;   in Loop: Header=BB125_77 Depth=2
	s_wait_xcnt 0x0
	s_or_b32 exec_lo, exec_lo, s70
	v_mov_b64_e32 v[18:19], 0
	v_mov_b64_e32 v[20:21], 0
	s_mov_b32 s70, exec_lo
	s_set_vgpr_msb 4                        ;  msbs: dst=0 src0=0 src1=1 src2=0
	v_cmpx_gt_i32_e64 s68, v41 /*v297*/
	s_set_vgpr_msb 0                        ;  msbs: dst=0 src0=0 src1=0 src2=0
	s_cbranch_execz .LBB125_84
; %bb.83:                               ;   in Loop: Header=BB125_77 Depth=2
	v_add_nc_u64_e32 v[18:19], v[232:233], v[176:177]
	global_load_b128 v[18:21], v[18:19], off offset:-8
.LBB125_84:                             ;   in Loop: Header=BB125_77 Depth=2
	s_wait_xcnt 0x0
	s_or_b32 exec_lo, exec_lo, s70
	s_set_vgpr_msb 4                        ;  msbs: dst=0 src0=0 src1=1 src2=0
	v_cmp_gt_i32_e64 s70, s68, v42 /*v298*/
	s_set_vgpr_msb 0                        ;  msbs: dst=0 src0=0 src1=0 src2=0
	s_branch .LBB125_87
.LBB125_85:                             ;   in Loop: Header=BB125_77 Depth=2
	s_mov_b32 s70, 0
                                        ; implicit-def: $vgpr20_vgpr21
                                        ; implicit-def: $vgpr12_vgpr13
                                        ; implicit-def: $vgpr16_vgpr17
	s_cbranch_execz .LBB125_87
; %bb.86:                               ;   in Loop: Header=BB125_77 Depth=2
	s_wait_loadcnt 0x0
	v_add_nc_u64_e32 v[10:11], v[228:229], v[176:177]
	v_add_nc_u64_e32 v[18:19], v[224:225], v[176:177]
	s_or_b32 s70, s70, exec_lo
	global_load_b128 v[14:17], v[4:5], off offset:-8
	global_load_b128 v[10:13], v[10:11], off offset:-8
	global_load_b128 v[18:21], v[18:19], off
.LBB125_87:                             ;   in Loop: Header=BB125_77 Depth=2
	v_mov_b64_e32 v[22:23], 0
	v_mov_b64_e32 v[24:25], 0
	s_wait_xcnt 0x0
	s_and_saveexec_b32 s71, s70
	s_cbranch_execz .LBB125_89
; %bb.88:                               ;   in Loop: Header=BB125_77 Depth=2
	v_add_nc_u64_e32 v[4:5], v[236:237], v[176:177]
	global_load_b128 v[22:25], v[4:5], off offset:-8
.LBB125_89:                             ;   in Loop: Header=BB125_77 Depth=2
	s_wait_xcnt 0x0
	s_or_b32 exec_lo, exec_lo, s71
	s_set_vgpr_msb 1                        ;  msbs: dst=0 src0=1 src1=0 src2=0
	ds_load_b128 v[30:33], v27 /*v283*/
	ds_load_b128 v[26:29], v18 /*v274*/
	v_cndmask_b32_e64 v3, 0, 1, s69
	s_and_not1_b32 vcc_lo, exec_lo, s69
	s_wait_loadcnt_dscnt 0x1
	s_set_vgpr_msb 0                        ;  msbs: dst=0 src0=0 src1=0 src2=0
	v_mul_f64_e32 v[4:5], v[16:17], v[32:33]
	v_mul_f64_e32 v[44:45], v[14:15], v[32:33]
	;; [unrolled: 1-line block ×8, first 2 shown]
	v_fma_f64 v[42:43], v[14:15], v[30:31], -v[4:5]
	v_fmac_f64_e32 v[44:45], v[16:17], v[30:31]
	v_fma_f64 v[46:47], v[10:11], v[30:31], -v[34:35]
	v_fmac_f64_e32 v[48:49], v[12:13], v[30:31]
	;; [unrolled: 2-line block ×4, first 2 shown]
	s_set_vgpr_msb 1                        ;  msbs: dst=0 src0=1 src1=0 src2=0
	ds_load_b128 v[38:41], v18 /*v274*/ offset:16
	ds_load_b128 v[34:37], v18 /*v274*/ offset:32
	;; [unrolled: 1-line block ×3, first 2 shown]
	s_set_vgpr_msb 0                        ;  msbs: dst=0 src0=0 src1=0 src2=0
	v_add_nc_u64_e32 v[4:5], v[240:241], v[176:177]
	s_set_vgpr_msb 1                        ;  msbs: dst=0 src0=1 src1=0 src2=0
	ds_store_b128 v19 /*v275*/, v[42:45]
	ds_store_b128 v19 /*v275*/, v[46:49] offset:1072
	ds_store_b128 v19 /*v275*/, v[50:53] offset:2144
	;; [unrolled: 1-line block ×3, first 2 shown]
	s_wait_dscnt 0x0
	s_barrier_signal -1
	s_barrier_wait -1
	ds_load_b128 v[130:133], v20 /*v276*/
	ds_load_b128 v[126:129], v20 /*v276*/ offset:16
	ds_load_b128 v[122:125], v20 /*v276*/ offset:32
	ds_load_b128 v[118:121], v20 /*v276*/ offset:48
	s_wait_dscnt 0x0
	s_barrier_signal -1
	s_barrier_wait -1
	s_set_vgpr_msb 0                        ;  msbs: dst=0 src0=0 src1=0 src2=0
	s_cbranch_vccnz .LBB125_97
; %bb.90:                               ;   in Loop: Header=BB125_77 Depth=2
	v_mov_b64_e32 v[42:43], 0
	v_mov_b64_e32 v[46:47], 0
	;; [unrolled: 1-line block ×3, first 2 shown]
	s_mov_b32 s69, exec_lo
	s_set_vgpr_msb 4                        ;  msbs: dst=0 src0=0 src1=1 src2=0
	v_cmpx_gt_i32_e64 s68, v43 /*v299*/
	s_set_vgpr_msb 0                        ;  msbs: dst=0 src0=0 src1=0 src2=0
	s_cbranch_execz .LBB125_92
; %bb.91:                               ;   in Loop: Header=BB125_77 Depth=2
	global_load_b128 v[46:49], v[4:5], off offset:-8
.LBB125_92:                             ;   in Loop: Header=BB125_77 Depth=2
	s_wait_xcnt 0x0
	s_or_b32 exec_lo, exec_lo, s69
	v_mov_b64_e32 v[44:45], 0
	s_mov_b32 s69, exec_lo
	s_set_vgpr_msb 4                        ;  msbs: dst=0 src0=0 src1=1 src2=0
	v_cmpx_gt_i32_e64 s68, v44 /*v300*/
	s_set_vgpr_msb 0                        ;  msbs: dst=0 src0=0 src1=0 src2=0
	s_cbranch_execz .LBB125_94
; %bb.93:                               ;   in Loop: Header=BB125_77 Depth=2
	v_add_nc_u64_e32 v[42:43], v[244:245], v[176:177]
	global_load_b128 v[42:45], v[42:43], off offset:-8
.LBB125_94:                             ;   in Loop: Header=BB125_77 Depth=2
	s_wait_xcnt 0x0
	s_or_b32 exec_lo, exec_lo, s69
	v_mov_b64_e32 v[50:51], 0
	v_mov_b64_e32 v[52:53], 0
	s_mov_b32 s69, exec_lo
	s_set_vgpr_msb 4                        ;  msbs: dst=0 src0=0 src1=1 src2=0
	v_cmpx_gt_i32_e64 s68, v45 /*v301*/
	s_set_vgpr_msb 0                        ;  msbs: dst=0 src0=0 src1=0 src2=0
	s_cbranch_execz .LBB125_96
; %bb.95:                               ;   in Loop: Header=BB125_77 Depth=2
	v_add_nc_u64_e32 v[50:51], v[248:249], v[176:177]
	global_load_b128 v[50:53], v[50:51], off offset:-8
.LBB125_96:                             ;   in Loop: Header=BB125_77 Depth=2
	s_wait_xcnt 0x0
	s_or_b32 exec_lo, exec_lo, s69
	s_set_vgpr_msb 4                        ;  msbs: dst=0 src0=0 src1=1 src2=0
	v_cmp_gt_i32_e64 s69, s68, v46 /*v302*/
	s_set_vgpr_msb 0                        ;  msbs: dst=0 src0=0 src1=0 src2=0
	s_branch .LBB125_99
.LBB125_97:                             ;   in Loop: Header=BB125_77 Depth=2
	s_mov_b32 s69, 0
                                        ; implicit-def: $vgpr52_vgpr53
                                        ; implicit-def: $vgpr44_vgpr45
                                        ; implicit-def: $vgpr48_vgpr49
	s_cbranch_execz .LBB125_99
; %bb.98:                               ;   in Loop: Header=BB125_77 Depth=2
	s_wait_loadcnt 0x0
	v_add_nc_u64_e32 v[42:43], v[244:245], v[176:177]
	v_add_nc_u64_e32 v[50:51], v[252:253], v[176:177]
	s_or_b32 s69, s69, exec_lo
	global_load_b128 v[46:49], v[4:5], off offset:-8
	global_load_b128 v[42:45], v[42:43], off offset:-8
	global_load_b128 v[50:53], v[50:51], off
.LBB125_99:                             ;   in Loop: Header=BB125_77 Depth=2
	v_mov_b64_e32 v[54:55], 0
	v_mov_b64_e32 v[56:57], 0
	s_wait_xcnt 0x0
	s_and_saveexec_b32 s70, s69
	s_cbranch_execz .LBB125_101
; %bb.100:                              ;   in Loop: Header=BB125_77 Depth=2
	s_set_vgpr_msb 1                        ;  msbs: dst=0 src0=1 src1=0 src2=0
	v_add_nc_u64_e32 v[4:5], v[0:1] /*v[256:257]*/, v[176:177]
	s_set_vgpr_msb 0                        ;  msbs: dst=0 src0=0 src1=0 src2=0
	global_load_b128 v[54:57], v[4:5], off offset:-8
.LBB125_101:                            ;   in Loop: Header=BB125_77 Depth=2
	s_wait_xcnt 0x0
	s_or_b32 exec_lo, exec_lo, s70
	s_set_vgpr_msb 1                        ;  msbs: dst=0 src0=1 src1=0 src2=0
	ds_load_b128 v[62:65], v27 /*v283*/
	ds_load_b128 v[58:61], v18 /*v274*/ offset:256
	v_cmp_ne_u32_e32 vcc_lo, 1, v3
	s_and_b32 vcc_lo, exec_lo, vcc_lo
	s_wait_loadcnt_dscnt 0x1
	s_set_vgpr_msb 0                        ;  msbs: dst=0 src0=0 src1=0 src2=0
	v_mul_f64_e32 v[4:5], v[48:49], v[64:65]
	v_mul_f64_e32 v[72:73], v[46:47], v[64:65]
	;; [unrolled: 1-line block ×8, first 2 shown]
	v_fma_f64 v[70:71], v[46:47], v[62:63], -v[4:5]
	v_fmac_f64_e32 v[72:73], v[48:49], v[62:63]
	v_fma_f64 v[78:79], v[42:43], v[62:63], -v[66:67]
	v_fmac_f64_e32 v[80:81], v[44:45], v[62:63]
	;; [unrolled: 2-line block ×4, first 2 shown]
	s_set_vgpr_msb 1                        ;  msbs: dst=0 src0=1 src1=0 src2=0
	ds_load_b128 v[74:77], v18 /*v274*/ offset:272
	ds_load_b128 v[66:69], v18 /*v274*/ offset:288
	;; [unrolled: 1-line block ×3, first 2 shown]
	v_add_nc_u64_e32 v[4:5], v[2:3] /*v[258:259]*/, v[176:177]
	ds_store_b128 v19 /*v275*/, v[70:73]
	ds_store_b128 v19 /*v275*/, v[78:81] offset:1072
	ds_store_b128 v19 /*v275*/, v[82:85] offset:2144
	;; [unrolled: 1-line block ×3, first 2 shown]
	s_wait_dscnt 0x0
	s_barrier_signal -1
	s_barrier_wait -1
	ds_load_b128 v[150:153], v20 /*v276*/
	ds_load_b128 v[146:149], v20 /*v276*/ offset:16
	ds_load_b128 v[142:145], v20 /*v276*/ offset:32
	;; [unrolled: 1-line block ×3, first 2 shown]
	s_wait_dscnt 0x0
	s_barrier_signal -1
	s_barrier_wait -1
	s_set_vgpr_msb 0                        ;  msbs: dst=0 src0=0 src1=0 src2=0
	s_cbranch_vccnz .LBB125_109
; %bb.102:                              ;   in Loop: Header=BB125_77 Depth=2
	v_mov_b64_e32 v[70:71], 0
	v_mov_b64_e32 v[78:79], 0
	;; [unrolled: 1-line block ×3, first 2 shown]
	s_mov_b32 s69, exec_lo
	s_set_vgpr_msb 4                        ;  msbs: dst=0 src0=0 src1=1 src2=0
	v_cmpx_gt_i32_e64 s68, v47 /*v303*/
	s_set_vgpr_msb 0                        ;  msbs: dst=0 src0=0 src1=0 src2=0
	s_cbranch_execz .LBB125_104
; %bb.103:                              ;   in Loop: Header=BB125_77 Depth=2
	global_load_b128 v[78:81], v[4:5], off offset:-8
.LBB125_104:                            ;   in Loop: Header=BB125_77 Depth=2
	s_wait_xcnt 0x0
	s_or_b32 exec_lo, exec_lo, s69
	v_mov_b64_e32 v[72:73], 0
	s_mov_b32 s69, exec_lo
	s_set_vgpr_msb 4                        ;  msbs: dst=0 src0=0 src1=1 src2=0
	v_cmpx_gt_i32_e64 s68, v48 /*v304*/
	s_set_vgpr_msb 0                        ;  msbs: dst=0 src0=0 src1=0 src2=0
	s_cbranch_execz .LBB125_106
; %bb.105:                              ;   in Loop: Header=BB125_77 Depth=2
	v_add_nc_u64_e32 v[70:71], v[254:255], v[176:177]
	global_load_b128 v[70:73], v[70:71], off
.LBB125_106:                            ;   in Loop: Header=BB125_77 Depth=2
	s_wait_xcnt 0x0
	s_or_b32 exec_lo, exec_lo, s69
	v_mov_b64_e32 v[82:83], 0
	v_mov_b64_e32 v[84:85], 0
	s_mov_b32 s69, exec_lo
	s_set_vgpr_msb 4                        ;  msbs: dst=0 src0=0 src1=1 src2=0
	v_cmpx_gt_i32_e64 s68, v49 /*v305*/
	s_set_vgpr_msb 0                        ;  msbs: dst=0 src0=0 src1=0 src2=0
	s_cbranch_execz .LBB125_108
; %bb.107:                              ;   in Loop: Header=BB125_77 Depth=2
	v_add_nc_u64_e32 v[82:83], v[250:251], v[176:177]
	global_load_b128 v[82:85], v[82:83], off
.LBB125_108:                            ;   in Loop: Header=BB125_77 Depth=2
	s_wait_xcnt 0x0
	s_or_b32 exec_lo, exec_lo, s69
	s_set_vgpr_msb 4                        ;  msbs: dst=0 src0=0 src1=1 src2=0
	v_cmp_gt_i32_e64 s69, s68, v50 /*v306*/
	s_set_vgpr_msb 0                        ;  msbs: dst=0 src0=0 src1=0 src2=0
	s_branch .LBB125_111
.LBB125_109:                            ;   in Loop: Header=BB125_77 Depth=2
	s_mov_b32 s69, 0
                                        ; implicit-def: $vgpr84_vgpr85
                                        ; implicit-def: $vgpr72_vgpr73
                                        ; implicit-def: $vgpr80_vgpr81
	s_cbranch_execz .LBB125_111
; %bb.110:                              ;   in Loop: Header=BB125_77 Depth=2
	s_wait_loadcnt 0x0
	v_add_nc_u64_e32 v[70:71], v[254:255], v[176:177]
	v_add_nc_u64_e32 v[82:83], v[246:247], v[176:177]
	s_or_b32 s69, s69, exec_lo
	global_load_b128 v[78:81], v[4:5], off offset:-8
	global_load_b128 v[70:73], v[70:71], off
	global_load_b128 v[82:85], v[82:83], off offset:-8
.LBB125_111:                            ;   in Loop: Header=BB125_77 Depth=2
	v_mov_b64_e32 v[86:87], 0
	v_mov_b64_e32 v[88:89], 0
	s_wait_xcnt 0x0
	s_and_saveexec_b32 s70, s69
	s_cbranch_execz .LBB125_113
; %bb.112:                              ;   in Loop: Header=BB125_77 Depth=2
	v_add_nc_u64_e32 v[4:5], v[242:243], v[176:177]
	global_load_b128 v[86:89], v[4:5], off
.LBB125_113:                            ;   in Loop: Header=BB125_77 Depth=2
	s_wait_xcnt 0x0
	s_or_b32 exec_lo, exec_lo, s70
	s_set_vgpr_msb 1                        ;  msbs: dst=0 src0=1 src1=0 src2=0
	ds_load_b128 v[94:97], v27 /*v283*/
	ds_load_b128 v[90:93], v18 /*v274*/ offset:512
	v_cmp_ne_u32_e32 vcc_lo, 1, v3
	s_and_b32 vcc_lo, exec_lo, vcc_lo
	s_wait_loadcnt_dscnt 0x1
	s_set_vgpr_msb 0                        ;  msbs: dst=0 src0=0 src1=0 src2=0
	v_mul_f64_e32 v[4:5], v[80:81], v[96:97]
	v_mul_f64_e32 v[108:109], v[78:79], v[96:97]
	;; [unrolled: 1-line block ×8, first 2 shown]
	v_fma_f64 v[106:107], v[78:79], v[94:95], -v[4:5]
	v_fmac_f64_e32 v[108:109], v[80:81], v[94:95]
	v_fma_f64 v[110:111], v[70:71], v[94:95], -v[98:99]
	v_fmac_f64_e32 v[112:113], v[72:73], v[94:95]
	;; [unrolled: 2-line block ×4, first 2 shown]
	s_set_vgpr_msb 1                        ;  msbs: dst=0 src0=1 src1=0 src2=0
	ds_load_b128 v[102:105], v18 /*v274*/ offset:528
	ds_load_b128 v[98:101], v18 /*v274*/ offset:544
	;; [unrolled: 1-line block ×3, first 2 shown]
	s_set_vgpr_msb 0                        ;  msbs: dst=0 src0=0 src1=0 src2=0
	v_add_nc_u64_e32 v[4:5], v[238:239], v[176:177]
	s_set_vgpr_msb 1                        ;  msbs: dst=0 src0=1 src1=0 src2=0
	ds_store_b128 v19 /*v275*/, v[106:109]
	ds_store_b128 v19 /*v275*/, v[110:113] offset:1072
	ds_store_b128 v19 /*v275*/, v[114:117] offset:2144
	;; [unrolled: 1-line block ×3, first 2 shown]
	s_wait_dscnt 0x0
	s_barrier_signal -1
	s_barrier_wait -1
	ds_load_b128 v[166:169], v20 /*v276*/
	ds_load_b128 v[162:165], v20 /*v276*/ offset:16
	ds_load_b128 v[158:161], v20 /*v276*/ offset:32
	;; [unrolled: 1-line block ×3, first 2 shown]
	s_wait_dscnt 0x0
	s_barrier_signal -1
	s_barrier_wait -1
	s_set_vgpr_msb 0                        ;  msbs: dst=0 src0=0 src1=0 src2=0
	s_cbranch_vccnz .LBB125_121
; %bb.114:                              ;   in Loop: Header=BB125_77 Depth=2
	v_mov_b64_e32 v[106:107], 0
	v_mov_b64_e32 v[110:111], 0
	v_mov_b64_e32 v[112:113], 0
	s_mov_b32 s69, exec_lo
	s_set_vgpr_msb 4                        ;  msbs: dst=0 src0=0 src1=1 src2=0
	v_cmpx_gt_i32_e64 s68, v51 /*v307*/
	s_set_vgpr_msb 0                        ;  msbs: dst=0 src0=0 src1=0 src2=0
	s_cbranch_execz .LBB125_116
; %bb.115:                              ;   in Loop: Header=BB125_77 Depth=2
	global_load_b128 v[110:113], v[4:5], off
.LBB125_116:                            ;   in Loop: Header=BB125_77 Depth=2
	s_wait_xcnt 0x0
	s_or_b32 exec_lo, exec_lo, s69
	v_mov_b64_e32 v[108:109], 0
	s_mov_b32 s69, exec_lo
	s_set_vgpr_msb 4                        ;  msbs: dst=0 src0=0 src1=1 src2=0
	v_cmpx_gt_i32_e64 s68, v52 /*v308*/
	s_set_vgpr_msb 0                        ;  msbs: dst=0 src0=0 src1=0 src2=0
	s_cbranch_execz .LBB125_118
; %bb.117:                              ;   in Loop: Header=BB125_77 Depth=2
	v_add_nc_u64_e32 v[106:107], v[234:235], v[176:177]
	global_load_b128 v[106:109], v[106:107], off
.LBB125_118:                            ;   in Loop: Header=BB125_77 Depth=2
	s_wait_xcnt 0x0
	s_or_b32 exec_lo, exec_lo, s69
	v_mov_b64_e32 v[114:115], 0
	v_mov_b64_e32 v[116:117], 0
	s_mov_b32 s69, exec_lo
	s_set_vgpr_msb 4                        ;  msbs: dst=0 src0=0 src1=1 src2=0
	v_cmpx_gt_i32_e64 s68, v53 /*v309*/
	s_set_vgpr_msb 0                        ;  msbs: dst=0 src0=0 src1=0 src2=0
	s_cbranch_execz .LBB125_120
; %bb.119:                              ;   in Loop: Header=BB125_77 Depth=2
	v_add_nc_u64_e32 v[114:115], v[230:231], v[176:177]
	global_load_b128 v[114:117], v[114:115], off
.LBB125_120:                            ;   in Loop: Header=BB125_77 Depth=2
	s_wait_xcnt 0x0
	s_or_b32 exec_lo, exec_lo, s69
	s_set_vgpr_msb 4                        ;  msbs: dst=0 src0=0 src1=1 src2=0
	v_cmp_gt_i32_e64 s69, s68, v54 /*v310*/
	s_set_vgpr_msb 0                        ;  msbs: dst=0 src0=0 src1=0 src2=0
	s_branch .LBB125_123
.LBB125_121:                            ;   in Loop: Header=BB125_77 Depth=2
	s_mov_b32 s69, 0
                                        ; implicit-def: $vgpr116_vgpr117
                                        ; implicit-def: $vgpr108_vgpr109
                                        ; implicit-def: $vgpr112_vgpr113
	s_cbranch_execz .LBB125_123
; %bb.122:                              ;   in Loop: Header=BB125_77 Depth=2
	s_wait_loadcnt 0x0
	v_add_nc_u64_e32 v[106:107], v[234:235], v[176:177]
	v_add_nc_u64_e32 v[114:115], v[226:227], v[176:177]
	s_or_b32 s69, s69, exec_lo
	global_load_b128 v[110:113], v[4:5], off
	global_load_b128 v[106:109], v[106:107], off
	global_load_b128 v[114:117], v[114:115], off offset:-8
.LBB125_123:                            ;   in Loop: Header=BB125_77 Depth=2
	v_mov_b64_e32 v[134:135], 0
	v_mov_b64_e32 v[136:137], 0
	s_wait_xcnt 0x0
	s_and_saveexec_b32 s70, s69
	s_cbranch_execz .LBB125_125
; %bb.124:                              ;   in Loop: Header=BB125_77 Depth=2
	v_add_nc_u64_e32 v[4:5], v[222:223], v[176:177]
	global_load_b128 v[134:137], v[4:5], off
.LBB125_125:                            ;   in Loop: Header=BB125_77 Depth=2
	s_wait_xcnt 0x0
	s_or_b32 exec_lo, exec_lo, s70
	v_add_f64_e32 v[4:5], 0, v[166:167]
	v_add_f64_e32 v[166:167], 0, v[168:169]
	s_set_vgpr_msb 4                        ;  msbs: dst=0 src0=0 src1=1 src2=0
	v_cmp_gt_i32_e32 vcc_lo, s68, v6 /*v262*/
	s_or_b32 s59, s59, vcc_lo
	s_delay_alu instid0(SALU_CYCLE_1) | instskip(SKIP_1) | instid1(VALU_DEP_3)
	s_and_b32 s68, s17, s59
	s_set_vgpr_msb 0                        ;  msbs: dst=0 src0=0 src1=0 src2=0
	v_add_f64_e32 v[4:5], v[4:5], v[162:163]
	s_delay_alu instid0(VALU_DEP_3) | instskip(NEXT) | instid1(VALU_DEP_2)
	v_add_f64_e32 v[162:163], v[166:167], v[164:165]
	v_add_f64_e32 v[4:5], v[4:5], v[158:159]
	s_delay_alu instid0(VALU_DEP_2) | instskip(NEXT) | instid1(VALU_DEP_2)
	v_add_f64_e32 v[158:159], v[162:163], v[160:161]
	v_add_f64_e32 v[154:155], v[4:5], v[154:155]
	;; [unrolled: 1-line block ×4, first 2 shown]
	s_delay_alu instid0(VALU_DEP_4) | instskip(NEXT) | instid1(VALU_DEP_3)
	v_add_f64_e32 v[156:157], v[158:159], v[156:157]
	v_add_f64_e32 v[4:5], v[4:5], v[146:147]
	s_delay_alu instid0(VALU_DEP_3) | instskip(NEXT) | instid1(VALU_DEP_2)
	v_add_f64_e32 v[146:147], v[150:151], v[148:149]
	v_add_f64_e32 v[4:5], v[4:5], v[142:143]
	s_delay_alu instid0(VALU_DEP_2) | instskip(NEXT) | instid1(VALU_DEP_2)
	v_add_f64_e32 v[142:143], v[146:147], v[144:145]
	v_add_f64_e32 v[138:139], v[4:5], v[138:139]
	;; [unrolled: 1-line block ×4, first 2 shown]
	s_delay_alu instid0(VALU_DEP_4) | instskip(NEXT) | instid1(VALU_DEP_3)
	v_add_f64_e32 v[140:141], v[142:143], v[140:141]
	v_add_f64_e32 v[4:5], v[4:5], v[126:127]
	s_delay_alu instid0(VALU_DEP_3) | instskip(NEXT) | instid1(VALU_DEP_2)
	v_add_f64_e32 v[126:127], v[130:131], v[128:129]
	v_add_f64_e32 v[4:5], v[4:5], v[122:123]
	s_delay_alu instid0(VALU_DEP_2) | instskip(NEXT) | instid1(VALU_DEP_2)
	v_add_f64_e32 v[122:123], v[126:127], v[124:125]
	v_add_f64_e32 v[142:143], v[4:5], v[118:119]
	s_delay_alu instid0(VALU_DEP_2)
	v_add_f64_e32 v[144:145], v[122:123], v[120:121]
	s_set_vgpr_msb 1                        ;  msbs: dst=0 src0=1 src1=0 src2=0
	ds_load_b128 v[146:149], v27 /*v283*/
	ds_load_b128 v[130:133], v18 /*v274*/ offset:768
	ds_load_b128 v[126:129], v18 /*v274*/ offset:784
	;; [unrolled: 1-line block ×4, first 2 shown]
	s_wait_loadcnt_dscnt 0x4
	s_set_vgpr_msb 0                        ;  msbs: dst=0 src0=0 src1=0 src2=0
	v_mul_f64_e32 v[4:5], v[112:113], v[148:149]
	v_mul_f64_e32 v[152:153], v[110:111], v[148:149]
	s_delay_alu instid0(VALU_DEP_2) | instskip(NEXT) | instid1(VALU_DEP_2)
	v_fma_f64 v[150:151], v[110:111], v[146:147], -v[4:5]
	v_fmac_f64_e32 v[152:153], v[112:113], v[146:147]
	v_mul_f64_e32 v[4:5], v[108:109], v[148:149]
	s_set_vgpr_msb 1                        ;  msbs: dst=0 src0=1 src1=0 src2=0
	ds_store_b128 v19 /*v275*/, v[150:153]
	s_set_vgpr_msb 0                        ;  msbs: dst=0 src0=0 src1=0 src2=0
	v_mul_f64_e32 v[152:153], v[106:107], v[148:149]
	v_fma_f64 v[150:151], v[106:107], v[146:147], -v[4:5]
	v_mul_f64_e32 v[4:5], v[116:117], v[148:149]
	s_delay_alu instid0(VALU_DEP_3)
	v_fmac_f64_e32 v[152:153], v[108:109], v[146:147]
	s_set_vgpr_msb 1                        ;  msbs: dst=0 src0=1 src1=0 src2=0
	ds_store_b128 v19 /*v275*/, v[150:153] offset:1072
	s_set_vgpr_msb 0                        ;  msbs: dst=0 src0=0 src1=0 src2=0
	v_mul_f64_e32 v[152:153], v[114:115], v[148:149]
	v_fma_f64 v[150:151], v[114:115], v[146:147], -v[4:5]
	v_mul_f64_e32 v[4:5], v[136:137], v[148:149]
	s_delay_alu instid0(VALU_DEP_3)
	v_fmac_f64_e32 v[152:153], v[116:117], v[146:147]
	s_set_vgpr_msb 1                        ;  msbs: dst=0 src0=1 src1=0 src2=0
	ds_store_b128 v19 /*v275*/, v[150:153] offset:2144
	s_set_vgpr_msb 0                        ;  msbs: dst=0 src0=0 src1=0 src2=0
	v_mul_f64_e32 v[152:153], v[134:135], v[148:149]
	v_fma_f64 v[150:151], v[134:135], v[146:147], -v[4:5]
	s_delay_alu instid0(VALU_DEP_2)
	v_fmac_f64_e32 v[152:153], v[136:137], v[146:147]
	s_set_vgpr_msb 1                        ;  msbs: dst=0 src0=1 src1=0 src2=0
	ds_store_b128 v19 /*v275*/, v[150:153] offset:3216
	s_wait_dscnt 0x0
	s_barrier_signal -1
	s_barrier_wait -1
	ds_load_b128 v[146:149], v20 /*v276*/
	ds_load_b128 v[150:153], v20 /*v276*/ offset:16
	ds_load_b128 v[158:161], v20 /*v276*/ offset:32
	;; [unrolled: 1-line block ×3, first 2 shown]
	s_wait_dscnt 0x0
	s_barrier_signal -1
	s_barrier_wait -1
	v_add_f64_e32 v[4:5], 0, v[146:147]
	v_add_f64_e32 v[146:147], 0, v[148:149]
	s_set_vgpr_msb 0                        ;  msbs: dst=0 src0=0 src1=0 src2=0
	s_delay_alu instid0(VALU_DEP_2) | instskip(NEXT) | instid1(VALU_DEP_2)
	v_add_f64_e32 v[4:5], v[4:5], v[150:151]
	v_add_f64_e32 v[146:147], v[146:147], v[152:153]
	s_delay_alu instid0(VALU_DEP_2) | instskip(NEXT) | instid1(VALU_DEP_2)
	v_add_f64_e32 v[4:5], v[4:5], v[158:159]
	v_add_f64_e32 v[148:149], v[146:147], v[160:161]
	;; [unrolled: 3-line block ×3, first 2 shown]
	s_set_vgpr_msb 1                        ;  msbs: dst=0 src0=1 src1=0 src2=0
	ds_store_b128 v26 /*v282*/, v[142:145]
	ds_store_b128 v26 /*v282*/, v[138:141] offset:256
	ds_store_b128 v26 /*v282*/, v[154:157] offset:512
	;; [unrolled: 1-line block ×3, first 2 shown]
	s_wait_dscnt 0x0
	s_barrier_signal -1
	s_barrier_wait -1
	s_and_saveexec_b32 s59, s68
	s_set_vgpr_msb 0                        ;  msbs: dst=0 src0=0 src1=0 src2=0
	s_cbranch_execz .LBB125_127
; %bb.126:                              ;   in Loop: Header=BB125_77 Depth=2
	s_set_vgpr_msb 1                        ;  msbs: dst=0 src0=1 src1=0 src2=0
	ds_load_b128 v[138:141], v21 /*v277*/
	ds_load_b128 v[142:145], v21 /*v277*/ offset:16
	s_wait_dscnt 0x0
	s_set_vgpr_msb 0                        ;  msbs: dst=0 src0=0 src1=0 src2=0
	v_add_f64_e32 v[4:5], v[142:143], v[138:139]
	v_add_f64_e32 v[146:147], v[144:145], v[140:141]
	s_set_vgpr_msb 1                        ;  msbs: dst=0 src0=1 src1=0 src2=0
	ds_load_b128 v[138:141], v21 /*v277*/ offset:32
	ds_load_b128 v[142:145], v21 /*v277*/ offset:48
	s_wait_dscnt 0x1
	s_set_vgpr_msb 0                        ;  msbs: dst=0 src0=0 src1=0 src2=0
	v_add_f64_e32 v[4:5], v[4:5], v[138:139]
	v_add_f64_e32 v[138:139], v[146:147], v[140:141]
	s_wait_dscnt 0x0
	s_delay_alu instid0(VALU_DEP_2) | instskip(NEXT) | instid1(VALU_DEP_2)
	v_add_f64_e32 v[4:5], v[4:5], v[142:143]
	v_add_f64_e32 v[146:147], v[138:139], v[144:145]
	s_set_vgpr_msb 1                        ;  msbs: dst=0 src0=1 src1=0 src2=0
	ds_load_b128 v[138:141], v21 /*v277*/ offset:64
	ds_load_b128 v[142:145], v21 /*v277*/ offset:80
	s_wait_dscnt 0x1
	s_set_vgpr_msb 0                        ;  msbs: dst=0 src0=0 src1=0 src2=0
	v_add_f64_e32 v[4:5], v[4:5], v[138:139]
	v_add_f64_e32 v[138:139], v[146:147], v[140:141]
	s_wait_dscnt 0x0
	s_delay_alu instid0(VALU_DEP_2) | instskip(NEXT) | instid1(VALU_DEP_2)
	;; [unrolled: 11-line block ×6, first 2 shown]
	v_add_f64_e32 v[4:5], v[4:5], v[142:143]
	v_add_f64_e32 v[146:147], v[138:139], v[144:145]
	s_set_vgpr_msb 1                        ;  msbs: dst=0 src0=1 src1=0 src2=0
	ds_load_b128 v[138:141], v21 /*v277*/ offset:224
	ds_load_b128 v[142:145], v22 /*v278*/
	s_wait_dscnt 0x1
	s_set_vgpr_msb 0                        ;  msbs: dst=0 src0=0 src1=0 src2=0
	v_add_f64_e32 v[4:5], v[4:5], v[138:139]
	v_add_f64_e32 v[140:141], v[146:147], v[140:141]
	s_wait_dscnt 0x0
	s_delay_alu instid0(VALU_DEP_2) | instskip(NEXT) | instid1(VALU_DEP_2)
	v_add_f64_e32 v[138:139], v[4:5], v[142:143]
	v_add_f64_e32 v[140:141], v[140:141], v[144:145]
	global_store_b128 v213, v[138:141], s[56:57] scale_offset
.LBB125_127:                            ;   in Loop: Header=BB125_77 Depth=2
	s_wait_xcnt 0x0
	s_or_b32 exec_lo, exec_lo, s59
	v_mul_f64_e32 v[4:5], v[16:17], v[28:29]
	v_mul_f64_e32 v[28:29], v[14:15], v[28:29]
	v_mul_f64_e32 v[138:139], v[12:13], v[40:41]
	v_mul_f64_e32 v[40:41], v[10:11], v[40:41]
	v_add_nc_u64_e32 v[220:221], s[54:55], v[220:221]
	v_add_nc_u64_e32 v[222:223], s[54:55], v[222:223]
	;; [unrolled: 1-line block ×18, first 2 shown]
	s_set_vgpr_msb 0x44                     ;  msbs: dst=1 src0=0 src1=1 src2=0
	v_add_nc_u64_e32 v[0:1] /*v[256:257]*/, s[54:55], v[0:1] /*v[256:257]*/
	v_add_nc_u64_e32 v[2:3] /*v[258:259]*/, s[54:55], v[2:3] /*v[258:259]*/
	s_add_co_i32 s59, s67, 1
	s_add_co_i32 s67, s67, 2
	;; [unrolled: 1-line block ×3, first 2 shown]
	s_cmp_ge_u32 s67, s28
	s_wait_storecnt 0x0
	s_barrier_signal -1
	s_barrier_wait -1
	s_set_vgpr_msb 0                        ;  msbs: dst=0 src0=0 src1=0 src2=0
	v_dual_fma_f64 v[4:5], v[14:15], v[26:27], -v[4:5] :: v_dual_add_nc_u32 v213, 64, v213
	v_fmac_f64_e32 v[28:29], v[16:17], v[26:27]
	v_mul_f64_e32 v[14:15], v[20:21], v[36:37]
	v_mul_f64_e32 v[16:17], v[18:19], v[36:37]
	v_fma_f64 v[10:11], v[10:11], v[38:39], -v[138:139]
	v_fmac_f64_e32 v[40:41], v[12:13], v[38:39]
	v_mul_f64_e32 v[12:13], v[22:23], v[32:33]
	v_add_f64_e32 v[4:5], v[6:7], v[4:5]
	v_add_f64_e32 v[6:7], v[8:9], v[28:29]
	v_mul_f64_e32 v[8:9], v[24:25], v[32:33]
	v_fma_f64 v[14:15], v[18:19], v[34:35], -v[14:15]
	v_fmac_f64_e32 v[16:17], v[20:21], v[34:35]
	v_mul_f64_e32 v[18:19], v[46:47], v[60:61]
	v_fmac_f64_e32 v[12:13], v[24:25], v[30:31]
	v_add_f64_e32 v[4:5], v[4:5], v[10:11]
	v_mul_f64_e32 v[10:11], v[48:49], v[60:61]
	v_add_f64_e32 v[6:7], v[6:7], v[40:41]
	v_fma_f64 v[8:9], v[22:23], v[30:31], -v[8:9]
	v_fmac_f64_e32 v[18:19], v[48:49], v[58:59]
	v_add_f64_e32 v[4:5], v[4:5], v[14:15]
	v_mul_f64_e32 v[14:15], v[44:45], v[76:77]
	v_add_f64_e32 v[6:7], v[6:7], v[16:17]
	v_mul_f64_e32 v[16:17], v[42:43], v[76:77]
	v_fma_f64 v[10:11], v[46:47], v[58:59], -v[10:11]
	v_add_f64_e32 v[4:5], v[4:5], v[8:9]
	v_mul_f64_e32 v[8:9], v[52:53], v[68:69]
	v_add_f64_e32 v[6:7], v[6:7], v[12:13]
	v_mul_f64_e32 v[12:13], v[50:51], v[68:69]
	v_fma_f64 v[14:15], v[42:43], v[74:75], -v[14:15]
	v_fmac_f64_e32 v[16:17], v[44:45], v[74:75]
	v_add_f64_e32 v[4:5], v[4:5], v[10:11]
	v_mul_f64_e32 v[10:11], v[56:57], v[64:65]
	v_add_f64_e32 v[6:7], v[6:7], v[18:19]
	v_mul_f64_e32 v[18:19], v[54:55], v[64:65]
	v_fma_f64 v[8:9], v[50:51], v[66:67], -v[8:9]
	v_fmac_f64_e32 v[12:13], v[52:53], v[66:67]
	;; [unrolled: 6-line block ×10, first 2 shown]
	v_add_f64_e32 v[4:5], v[4:5], v[10:11]
	v_fma_f64 v[8:9], v[134:135], v[118:119], -v[8:9]
	v_add_f64_e32 v[6:7], v[6:7], v[18:19]
	v_fmac_f64_e32 v[12:13], v[136:137], v[118:119]
	s_delay_alu instid0(VALU_DEP_4) | instskip(NEXT) | instid1(VALU_DEP_3)
	v_add_f64_e32 v[4:5], v[4:5], v[14:15]
	v_add_f64_e32 v[10:11], v[6:7], v[16:17]
	s_delay_alu instid0(VALU_DEP_2) | instskip(NEXT) | instid1(VALU_DEP_2)
	v_add_f64_e32 v[6:7], v[4:5], v[8:9]
	v_add_f64_e32 v[8:9], v[10:11], v[12:13]
	s_cbranch_scc1 .LBB125_129
; %bb.128:                              ;   in Loop: Header=BB125_77 Depth=2
	s_mov_b32 s67, s59
	s_delay_alu instid0(SALU_CYCLE_1)
	s_cmp_eq_u32 s62, s67
	s_cselect_b32 s68, s29, 0
	s_and_saveexec_b32 s69, s0
	s_cbranch_execnz .LBB125_73
	s_branch .LBB125_77
.LBB125_129:                            ;   in Loop: Header=BB125_4 Depth=1
	s_set_vgpr_msb 1                        ;  msbs: dst=0 src0=1 src1=0 src2=0
	ds_store_b128 v23 /*v279*/, v[6:9]
	s_wait_dscnt 0x0
	s_barrier_signal -1
	s_barrier_wait -1
	s_and_saveexec_b32 s58, s64
	s_set_vgpr_msb 0                        ;  msbs: dst=0 src0=0 src1=0 src2=0
	s_cbranch_execz .LBB125_2
; %bb.130:                              ;   in Loop: Header=BB125_4 Depth=1
	s_set_vgpr_msb 1                        ;  msbs: dst=0 src0=1 src1=0 src2=0
	ds_load_b128 v[4:7], v7 /*v263*/ offset:1072
	ds_load_b128 v[8:11], v7 /*v263*/
	s_wait_dscnt 0x0
	s_set_vgpr_msb 0                        ;  msbs: dst=0 src0=0 src1=0 src2=0
	v_add_f64_e32 v[12:13], v[4:5], v[8:9]
	v_add_f64_e32 v[14:15], v[6:7], v[10:11]
	s_set_vgpr_msb 1                        ;  msbs: dst=0 src0=1 src1=0 src2=0
	ds_load_b128 v[4:7], v7 /*v263*/ offset:2144
	ds_load_b128 v[8:11], v7 /*v263*/ offset:3216
	s_wait_dscnt 0x1
	s_set_vgpr_msb 0                        ;  msbs: dst=0 src0=0 src1=0 src2=0
	v_add_f64_e32 v[4:5], v[12:13], v[4:5]
	v_add_f64_e32 v[6:7], v[14:15], v[6:7]
	s_wait_dscnt 0x0
	s_delay_alu instid0(VALU_DEP_2) | instskip(NEXT) | instid1(VALU_DEP_2)
	v_add_f64_e32 v[4:5], v[4:5], v[8:9]
	v_add_f64_e32 v[6:7], v[6:7], v[10:11]
	v_lshl_add_u64 v[8:9], v[170:171], 4, s[56:57]
	global_store_b128 v[8:9], v[4:7], off
	s_branch .LBB125_2
.LBB125_131:                            ;   in Loop: Header=BB125_4 Depth=1
	s_set_vgpr_msb 1                        ;  msbs: dst=0 src0=1 src1=0 src2=0
	ds_load_b128 v[6:9], v10 /*v266*/
	s_wait_dscnt 0x0
	ds_store_b128 v9 /*v265*/, v[6:9]
	s_or_b32 exec_lo, exec_lo, s56
	s_and_saveexec_b32 s56, s7
	s_set_vgpr_msb 0                        ;  msbs: dst=0 src0=0 src1=0 src2=0
	s_cbranch_execz .LBB125_27
.LBB125_132:                            ;   in Loop: Header=BB125_4 Depth=1
	s_set_vgpr_msb 1                        ;  msbs: dst=0 src0=1 src1=0 src2=0
	ds_load_b128 v[6:9], v12 /*v268*/
	s_wait_dscnt 0x0
	ds_store_b128 v31 /*v287*/, v[6:9]
	s_or_b32 exec_lo, exec_lo, s56
	s_and_saveexec_b32 s56, s8
	s_set_vgpr_msb 0                        ;  msbs: dst=0 src0=0 src1=0 src2=0
	s_cbranch_execz .LBB125_28
.LBB125_133:                            ;   in Loop: Header=BB125_4 Depth=1
	s_set_vgpr_msb 1                        ;  msbs: dst=0 src0=1 src1=0 src2=0
	ds_load_b128 v[6:9], v33 /*v289*/
	s_wait_dscnt 0x0
	ds_store_b128 v32 /*v288*/, v[6:9]
	s_or_b32 exec_lo, exec_lo, s56
	s_and_saveexec_b32 s56, s9
	s_set_vgpr_msb 0                        ;  msbs: dst=0 src0=0 src1=0 src2=0
	s_cbranch_execnz .LBB125_29
	s_branch .LBB125_30
.LBB125_134:                            ;   in Loop: Header=BB125_4 Depth=1
	s_set_vgpr_msb 1                        ;  msbs: dst=0 src0=1 src1=0 src2=0
	ds_load_b128 v[12:15], v10 /*v266*/
	s_wait_dscnt 0x0
	ds_store_b128 v16 /*v272*/, v[12:15]
	s_or_b32 exec_lo, exec_lo, s56
	s_and_saveexec_b32 s56, s7
	s_set_vgpr_msb 0                        ;  msbs: dst=0 src0=0 src1=0 src2=0
	s_cbranch_execz .LBB125_48
.LBB125_135:                            ;   in Loop: Header=BB125_4 Depth=1
	s_set_vgpr_msb 1                        ;  msbs: dst=0 src0=1 src1=0 src2=0
	ds_load_b128 v[12:15], v12 /*v268*/
	s_wait_dscnt 0x0
	ds_store_b128 v36 /*v292*/, v[12:15]
	s_or_b32 exec_lo, exec_lo, s56
	s_and_saveexec_b32 s56, s8
	s_set_vgpr_msb 0                        ;  msbs: dst=0 src0=0 src1=0 src2=0
	s_cbranch_execz .LBB125_49
.LBB125_136:                            ;   in Loop: Header=BB125_4 Depth=1
	s_set_vgpr_msb 1                        ;  msbs: dst=0 src0=1 src1=0 src2=0
	ds_load_b128 v[12:15], v33 /*v289*/
	s_wait_dscnt 0x0
	ds_store_b128 v37 /*v293*/, v[12:15]
	s_or_b32 exec_lo, exec_lo, s56
	s_and_saveexec_b32 s56, s9
	s_set_vgpr_msb 0                        ;  msbs: dst=0 src0=0 src1=0 src2=0
	s_cbranch_execnz .LBB125_50
	s_branch .LBB125_51
.LBB125_137:                            ;   in Loop: Header=BB125_4 Depth=1
	global_load_b128 v[10:13], v[8:9], off
	s_wait_loadcnt 0x0
	s_set_vgpr_msb 1                        ;  msbs: dst=0 src0=1 src1=0 src2=0
	ds_store_2addr_b64 v8 /*v264*/, v[10:11], v[12:13] offset1:1
	s_wait_xcnt 0x0
	s_or_b32 exec_lo, exec_lo, s56
	s_and_saveexec_b32 s56, s3
	s_delay_alu instid0(SALU_CYCLE_1)
	s_xor_b32 s56, exec_lo, s56
	s_set_vgpr_msb 0                        ;  msbs: dst=0 src0=0 src1=0 src2=0
	s_cbranch_execz .LBB125_16
.LBB125_138:                            ;   in Loop: Header=BB125_4 Depth=1
	v_dual_mov_b32 v3, v2 :: v_dual_mov_b32 v4, v2
	v_mov_b32_e32 v5, v2
	s_set_vgpr_msb 1                        ;  msbs: dst=0 src0=1 src1=0 src2=0
	ds_store_b128 v28 /*v284*/, v[2:5]
	s_and_not1_saveexec_b32 s56, s56
	s_set_vgpr_msb 0                        ;  msbs: dst=0 src0=0 src1=0 src2=0
	s_cbranch_execz .LBB125_17
.LBB125_139:                            ;   in Loop: Header=BB125_4 Depth=1
	v_lshl_add_u64 v[4:5], s[38:39], 4, v[8:9]
	global_load_b128 v[10:13], v[4:5], off
	s_wait_loadcnt 0x0
	s_set_vgpr_msb 1                        ;  msbs: dst=0 src0=1 src1=0 src2=0
	ds_store_2addr_b64 v28 /*v284*/, v[10:11], v[12:13] offset1:1
	s_wait_xcnt 0x0
	s_or_b32 exec_lo, exec_lo, s56
	s_and_saveexec_b32 s56, s4
	s_delay_alu instid0(SALU_CYCLE_1)
	s_xor_b32 s56, exec_lo, s56
	s_set_vgpr_msb 0                        ;  msbs: dst=0 src0=0 src1=0 src2=0
	s_cbranch_execz .LBB125_18
.LBB125_140:                            ;   in Loop: Header=BB125_4 Depth=1
	v_dual_mov_b32 v3, v2 :: v_dual_mov_b32 v4, v2
	v_mov_b32_e32 v5, v2
	s_set_vgpr_msb 1                        ;  msbs: dst=0 src0=1 src1=0 src2=0
	ds_store_b128 v29 /*v285*/, v[2:5]
	s_and_not1_saveexec_b32 s56, s56
	s_set_vgpr_msb 0                        ;  msbs: dst=0 src0=0 src1=0 src2=0
	s_cbranch_execz .LBB125_19
.LBB125_141:                            ;   in Loop: Header=BB125_4 Depth=1
	v_lshl_add_u64 v[4:5], s[40:41], 4, v[8:9]
	global_load_b128 v[10:13], v[4:5], off
	s_wait_loadcnt 0x0
	s_set_vgpr_msb 1                        ;  msbs: dst=0 src0=1 src1=0 src2=0
	ds_store_2addr_b64 v29 /*v285*/, v[10:11], v[12:13] offset1:1
	s_wait_xcnt 0x0
	s_or_b32 exec_lo, exec_lo, s56
	s_and_saveexec_b32 s56, s5
	s_delay_alu instid0(SALU_CYCLE_1)
	s_xor_b32 s56, exec_lo, s56
	s_set_vgpr_msb 0                        ;  msbs: dst=0 src0=0 src1=0 src2=0
	s_cbranch_execz .LBB125_20
.LBB125_142:                            ;   in Loop: Header=BB125_4 Depth=1
	v_dual_mov_b32 v3, v2 :: v_dual_mov_b32 v4, v2
	v_mov_b32_e32 v5, v2
	s_set_vgpr_msb 1                        ;  msbs: dst=0 src0=1 src1=0 src2=0
	ds_store_b128 v30 /*v286*/, v[2:5]
	s_and_not1_saveexec_b32 s56, s56
	s_set_vgpr_msb 0                        ;  msbs: dst=0 src0=0 src1=0 src2=0
	s_cbranch_execnz .LBB125_21
	s_branch .LBB125_22
.LBB125_143:                            ;   in Loop: Header=BB125_4 Depth=1
	global_load_b128 v[16:19], v[10:11], off
	s_wait_loadcnt 0x0
	s_set_vgpr_msb 1                        ;  msbs: dst=0 src0=1 src1=0 src2=0
	ds_store_2addr_b64 v8 /*v264*/, v[16:17], v[18:19] offset1:1
	s_wait_xcnt 0x0
	s_or_b32 exec_lo, exec_lo, s56
	s_and_saveexec_b32 s56, s13
	s_delay_alu instid0(SALU_CYCLE_1)
	s_xor_b32 s56, exec_lo, s56
	s_set_vgpr_msb 0                        ;  msbs: dst=0 src0=0 src1=0 src2=0
	s_cbranch_execz .LBB125_37
.LBB125_144:                            ;   in Loop: Header=BB125_4 Depth=1
	v_dual_mov_b32 v3, v2 :: v_dual_mov_b32 v4, v2
	v_mov_b32_e32 v5, v2
	s_set_vgpr_msb 1                        ;  msbs: dst=0 src0=1 src1=0 src2=0
	ds_store_b128 v28 /*v284*/, v[2:5]
	s_and_not1_saveexec_b32 s56, s56
	s_set_vgpr_msb 0                        ;  msbs: dst=0 src0=0 src1=0 src2=0
	s_cbranch_execz .LBB125_38
.LBB125_145:                            ;   in Loop: Header=BB125_4 Depth=1
	v_lshl_add_u64 v[4:5], s[38:39], 4, v[10:11]
	global_load_b128 v[16:19], v[4:5], off
	s_wait_loadcnt 0x0
	s_set_vgpr_msb 1                        ;  msbs: dst=0 src0=1 src1=0 src2=0
	ds_store_2addr_b64 v28 /*v284*/, v[16:17], v[18:19] offset1:1
	s_wait_xcnt 0x0
	s_or_b32 exec_lo, exec_lo, s56
	s_and_saveexec_b32 s56, s14
	s_delay_alu instid0(SALU_CYCLE_1)
	s_xor_b32 s56, exec_lo, s56
	s_set_vgpr_msb 0                        ;  msbs: dst=0 src0=0 src1=0 src2=0
	s_cbranch_execz .LBB125_39
.LBB125_146:                            ;   in Loop: Header=BB125_4 Depth=1
	v_dual_mov_b32 v3, v2 :: v_dual_mov_b32 v4, v2
	v_mov_b32_e32 v5, v2
	s_set_vgpr_msb 1                        ;  msbs: dst=0 src0=1 src1=0 src2=0
	ds_store_b128 v29 /*v285*/, v[2:5]
	s_and_not1_saveexec_b32 s56, s56
	s_set_vgpr_msb 0                        ;  msbs: dst=0 src0=0 src1=0 src2=0
	s_cbranch_execz .LBB125_40
.LBB125_147:                            ;   in Loop: Header=BB125_4 Depth=1
	v_lshl_add_u64 v[4:5], s[40:41], 4, v[10:11]
	global_load_b128 v[16:19], v[4:5], off
	s_wait_loadcnt 0x0
	s_set_vgpr_msb 1                        ;  msbs: dst=0 src0=1 src1=0 src2=0
	ds_store_2addr_b64 v29 /*v285*/, v[16:17], v[18:19] offset1:1
	s_wait_xcnt 0x0
	s_or_b32 exec_lo, exec_lo, s56
	s_and_saveexec_b32 s56, s15
	s_delay_alu instid0(SALU_CYCLE_1)
	s_xor_b32 s56, exec_lo, s56
	s_set_vgpr_msb 0                        ;  msbs: dst=0 src0=0 src1=0 src2=0
	s_cbranch_execz .LBB125_41
.LBB125_148:                            ;   in Loop: Header=BB125_4 Depth=1
	v_dual_mov_b32 v3, v2 :: v_dual_mov_b32 v4, v2
	v_mov_b32_e32 v5, v2
	s_set_vgpr_msb 1                        ;  msbs: dst=0 src0=1 src1=0 src2=0
	ds_store_b128 v30 /*v286*/, v[2:5]
	s_and_not1_saveexec_b32 s56, s56
	s_set_vgpr_msb 0                        ;  msbs: dst=0 src0=0 src1=0 src2=0
	s_cbranch_execnz .LBB125_42
	s_branch .LBB125_43
.LBB125_149:                            ;   in Loop: Header=BB125_4 Depth=1
	global_load_b128 v[16:19], v[14:15], off
	s_wait_loadcnt 0x0
	s_set_vgpr_msb 1                        ;  msbs: dst=0 src0=1 src1=0 src2=0
	ds_store_2addr_b64 v8 /*v264*/, v[16:17], v[18:19] offset1:1
	s_wait_xcnt 0x0
	s_or_b32 exec_lo, exec_lo, s56
	s_and_saveexec_b32 s56, s13
	s_delay_alu instid0(SALU_CYCLE_1)
	s_xor_b32 s56, exec_lo, s56
	s_set_vgpr_msb 0                        ;  msbs: dst=0 src0=0 src1=0 src2=0
	s_cbranch_execz .LBB125_58
.LBB125_150:                            ;   in Loop: Header=BB125_4 Depth=1
	v_dual_mov_b32 v3, v2 :: v_dual_mov_b32 v4, v2
	v_mov_b32_e32 v5, v2
	s_set_vgpr_msb 1                        ;  msbs: dst=0 src0=1 src1=0 src2=0
	ds_store_b128 v28 /*v284*/, v[2:5]
	s_and_not1_saveexec_b32 s56, s56
	s_set_vgpr_msb 0                        ;  msbs: dst=0 src0=0 src1=0 src2=0
	s_cbranch_execz .LBB125_59
.LBB125_151:                            ;   in Loop: Header=BB125_4 Depth=1
	v_lshl_add_u64 v[4:5], s[38:39], 4, v[14:15]
	global_load_b128 v[16:19], v[4:5], off
	s_wait_loadcnt 0x0
	s_set_vgpr_msb 1                        ;  msbs: dst=0 src0=1 src1=0 src2=0
	ds_store_2addr_b64 v28 /*v284*/, v[16:17], v[18:19] offset1:1
	s_wait_xcnt 0x0
	s_or_b32 exec_lo, exec_lo, s56
	s_and_saveexec_b32 s56, s14
	s_delay_alu instid0(SALU_CYCLE_1)
	s_xor_b32 s56, exec_lo, s56
	s_set_vgpr_msb 0                        ;  msbs: dst=0 src0=0 src1=0 src2=0
	s_cbranch_execz .LBB125_60
.LBB125_152:                            ;   in Loop: Header=BB125_4 Depth=1
	v_dual_mov_b32 v3, v2 :: v_dual_mov_b32 v4, v2
	v_mov_b32_e32 v5, v2
	s_set_vgpr_msb 1                        ;  msbs: dst=0 src0=1 src1=0 src2=0
	ds_store_b128 v29 /*v285*/, v[2:5]
	s_and_not1_saveexec_b32 s56, s56
	s_set_vgpr_msb 0                        ;  msbs: dst=0 src0=0 src1=0 src2=0
	s_cbranch_execz .LBB125_61
.LBB125_153:                            ;   in Loop: Header=BB125_4 Depth=1
	v_lshl_add_u64 v[4:5], s[40:41], 4, v[14:15]
	global_load_b128 v[16:19], v[4:5], off
	s_wait_loadcnt 0x0
	s_set_vgpr_msb 1                        ;  msbs: dst=0 src0=1 src1=0 src2=0
	ds_store_2addr_b64 v29 /*v285*/, v[16:17], v[18:19] offset1:1
	s_wait_xcnt 0x0
	s_or_b32 exec_lo, exec_lo, s56
	s_and_saveexec_b32 s56, s15
	s_delay_alu instid0(SALU_CYCLE_1)
	s_xor_b32 s56, exec_lo, s56
	s_set_vgpr_msb 0                        ;  msbs: dst=0 src0=0 src1=0 src2=0
	s_cbranch_execz .LBB125_62
.LBB125_154:                            ;   in Loop: Header=BB125_4 Depth=1
	v_dual_mov_b32 v3, v2 :: v_dual_mov_b32 v4, v2
	v_mov_b32_e32 v5, v2
	s_set_vgpr_msb 1                        ;  msbs: dst=0 src0=1 src1=0 src2=0
	ds_store_b128 v30 /*v286*/, v[2:5]
	s_and_not1_saveexec_b32 s56, s56
	s_set_vgpr_msb 0                        ;  msbs: dst=0 src0=0 src1=0 src2=0
	s_cbranch_execnz .LBB125_63
	s_branch .LBB125_64
.LBB125_155:
	s_sendmsg sendmsg(MSG_DEALLOC_VGPRS)
	s_endpgm
	.section	.rodata,"a",@progbits
	.p2align	6, 0x0
	.amdhsa_kernel _ZL26rocblas_hemvn_kernel_upperILb0ELi64ELi4ELi33ELi32ELi16Ei19rocblas_complex_numIdEPKS1_PS1_EviT6_lT7_lT5_lS6_lS7_lS5_lT8_i
		.amdhsa_group_segment_fixed_size 19200
		.amdhsa_private_segment_fixed_size 0
		.amdhsa_kernarg_size 392
		.amdhsa_user_sgpr_count 2
		.amdhsa_user_sgpr_dispatch_ptr 0
		.amdhsa_user_sgpr_queue_ptr 0
		.amdhsa_user_sgpr_kernarg_segment_ptr 1
		.amdhsa_user_sgpr_dispatch_id 0
		.amdhsa_user_sgpr_kernarg_preload_length 0
		.amdhsa_user_sgpr_kernarg_preload_offset 0
		.amdhsa_user_sgpr_private_segment_size 0
		.amdhsa_wavefront_size32 1
		.amdhsa_uses_dynamic_stack 0
		.amdhsa_enable_private_segment 0
		.amdhsa_system_sgpr_workgroup_id_x 1
		.amdhsa_system_sgpr_workgroup_id_y 0
		.amdhsa_system_sgpr_workgroup_id_z 1
		.amdhsa_system_sgpr_workgroup_info 0
		.amdhsa_system_vgpr_workitem_id 1
		.amdhsa_next_free_vgpr 312
		.amdhsa_next_free_sgpr 78
		.amdhsa_named_barrier_count 0
		.amdhsa_reserve_vcc 1
		.amdhsa_float_round_mode_32 0
		.amdhsa_float_round_mode_16_64 0
		.amdhsa_float_denorm_mode_32 3
		.amdhsa_float_denorm_mode_16_64 3
		.amdhsa_fp16_overflow 0
		.amdhsa_memory_ordered 1
		.amdhsa_forward_progress 1
		.amdhsa_inst_pref_size 81
		.amdhsa_round_robin_scheduling 0
		.amdhsa_exception_fp_ieee_invalid_op 0
		.amdhsa_exception_fp_denorm_src 0
		.amdhsa_exception_fp_ieee_div_zero 0
		.amdhsa_exception_fp_ieee_overflow 0
		.amdhsa_exception_fp_ieee_underflow 0
		.amdhsa_exception_fp_ieee_inexact 0
		.amdhsa_exception_int_div_zero 0
	.end_amdhsa_kernel
	.section	.text._ZL26rocblas_hemvn_kernel_upperILb0ELi64ELi4ELi33ELi32ELi16Ei19rocblas_complex_numIdEPKS1_PS1_EviT6_lT7_lT5_lS6_lS7_lS5_lT8_i,"axG",@progbits,_ZL26rocblas_hemvn_kernel_upperILb0ELi64ELi4ELi33ELi32ELi16Ei19rocblas_complex_numIdEPKS1_PS1_EviT6_lT7_lT5_lS6_lS7_lS5_lT8_i,comdat
.Lfunc_end125:
	.size	_ZL26rocblas_hemvn_kernel_upperILb0ELi64ELi4ELi33ELi32ELi16Ei19rocblas_complex_numIdEPKS1_PS1_EviT6_lT7_lT5_lS6_lS7_lS5_lT8_i, .Lfunc_end125-_ZL26rocblas_hemvn_kernel_upperILb0ELi64ELi4ELi33ELi32ELi16Ei19rocblas_complex_numIdEPKS1_PS1_EviT6_lT7_lT5_lS6_lS7_lS5_lT8_i
                                        ; -- End function
	.set _ZL26rocblas_hemvn_kernel_upperILb0ELi64ELi4ELi33ELi32ELi16Ei19rocblas_complex_numIdEPKS1_PS1_EviT6_lT7_lT5_lS6_lS7_lS5_lT8_i.num_vgpr, 312
	.set _ZL26rocblas_hemvn_kernel_upperILb0ELi64ELi4ELi33ELi32ELi16Ei19rocblas_complex_numIdEPKS1_PS1_EviT6_lT7_lT5_lS6_lS7_lS5_lT8_i.num_agpr, 0
	.set _ZL26rocblas_hemvn_kernel_upperILb0ELi64ELi4ELi33ELi32ELi16Ei19rocblas_complex_numIdEPKS1_PS1_EviT6_lT7_lT5_lS6_lS7_lS5_lT8_i.numbered_sgpr, 78
	.set _ZL26rocblas_hemvn_kernel_upperILb0ELi64ELi4ELi33ELi32ELi16Ei19rocblas_complex_numIdEPKS1_PS1_EviT6_lT7_lT5_lS6_lS7_lS5_lT8_i.num_named_barrier, 0
	.set _ZL26rocblas_hemvn_kernel_upperILb0ELi64ELi4ELi33ELi32ELi16Ei19rocblas_complex_numIdEPKS1_PS1_EviT6_lT7_lT5_lS6_lS7_lS5_lT8_i.private_seg_size, 0
	.set _ZL26rocblas_hemvn_kernel_upperILb0ELi64ELi4ELi33ELi32ELi16Ei19rocblas_complex_numIdEPKS1_PS1_EviT6_lT7_lT5_lS6_lS7_lS5_lT8_i.uses_vcc, 1
	.set _ZL26rocblas_hemvn_kernel_upperILb0ELi64ELi4ELi33ELi32ELi16Ei19rocblas_complex_numIdEPKS1_PS1_EviT6_lT7_lT5_lS6_lS7_lS5_lT8_i.uses_flat_scratch, 0
	.set _ZL26rocblas_hemvn_kernel_upperILb0ELi64ELi4ELi33ELi32ELi16Ei19rocblas_complex_numIdEPKS1_PS1_EviT6_lT7_lT5_lS6_lS7_lS5_lT8_i.has_dyn_sized_stack, 0
	.set _ZL26rocblas_hemvn_kernel_upperILb0ELi64ELi4ELi33ELi32ELi16Ei19rocblas_complex_numIdEPKS1_PS1_EviT6_lT7_lT5_lS6_lS7_lS5_lT8_i.has_recursion, 0
	.set _ZL26rocblas_hemvn_kernel_upperILb0ELi64ELi4ELi33ELi32ELi16Ei19rocblas_complex_numIdEPKS1_PS1_EviT6_lT7_lT5_lS6_lS7_lS5_lT8_i.has_indirect_call, 0
	.section	.AMDGPU.csdata,"",@progbits
; Kernel info:
; codeLenInByte = 10344
; TotalNumSgprs: 80
; NumVgprs: 312
; ScratchSize: 0
; MemoryBound: 1
; FloatMode: 240
; IeeeMode: 1
; LDSByteSize: 19200 bytes/workgroup (compile time only)
; SGPRBlocks: 0
; VGPRBlocks: 19
; NumSGPRsForWavesPerEU: 80
; NumVGPRsForWavesPerEU: 312
; NamedBarCnt: 0
; Occupancy: 3
; WaveLimiterHint : 1
; COMPUTE_PGM_RSRC2:SCRATCH_EN: 0
; COMPUTE_PGM_RSRC2:USER_SGPR: 2
; COMPUTE_PGM_RSRC2:TRAP_HANDLER: 0
; COMPUTE_PGM_RSRC2:TGID_X_EN: 1
; COMPUTE_PGM_RSRC2:TGID_Y_EN: 0
; COMPUTE_PGM_RSRC2:TGID_Z_EN: 1
; COMPUTE_PGM_RSRC2:TIDIG_COMP_CNT: 1
	.section	.text._ZL26rocblas_hemvn_kernel_lowerILb0ELi64ELi4ELi33ELi32ELi16ElPK19rocblas_complex_numIdES3_PS1_EviT6_lT7_lT5_lS6_lS7_lS5_lT8_i,"axG",@progbits,_ZL26rocblas_hemvn_kernel_lowerILb0ELi64ELi4ELi33ELi32ELi16ElPK19rocblas_complex_numIdES3_PS1_EviT6_lT7_lT5_lS6_lS7_lS5_lT8_i,comdat
	.globl	_ZL26rocblas_hemvn_kernel_lowerILb0ELi64ELi4ELi33ELi32ELi16ElPK19rocblas_complex_numIdES3_PS1_EviT6_lT7_lT5_lS6_lS7_lS5_lT8_i ; -- Begin function _ZL26rocblas_hemvn_kernel_lowerILb0ELi64ELi4ELi33ELi32ELi16ElPK19rocblas_complex_numIdES3_PS1_EviT6_lT7_lT5_lS6_lS7_lS5_lT8_i
	.p2align	8
	.type	_ZL26rocblas_hemvn_kernel_lowerILb0ELi64ELi4ELi33ELi32ELi16ElPK19rocblas_complex_numIdES3_PS1_EviT6_lT7_lT5_lS6_lS7_lS5_lT8_i,@function
_ZL26rocblas_hemvn_kernel_lowerILb0ELi64ELi4ELi33ELi32ELi16ElPK19rocblas_complex_numIdES3_PS1_EviT6_lT7_lT5_lS6_lS7_lS5_lT8_i: ; @_ZL26rocblas_hemvn_kernel_lowerILb0ELi64ELi4ELi33ELi32ELi16ElPK19rocblas_complex_numIdES3_PS1_EviT6_lT7_lT5_lS6_lS7_lS5_lT8_i
; %bb.0:
	s_clause 0x1
	s_load_b64 s[2:3], s[0:1], 0x84
	s_load_b32 s33, s[0:1], 0x70
	s_bfe_u32 s4, ttmp6, 0x40014
	s_lshr_b32 s5, ttmp7, 16
	s_add_co_i32 s4, s4, 1
	s_bfe_u32 s7, ttmp6, 0x40008
	s_mul_i32 s4, s5, s4
	s_getreg_b32 s6, hwreg(HW_REG_IB_STS2, 6, 4)
	s_add_co_i32 s7, s7, s4
	s_mov_b32 s31, 0
	s_wait_kmcnt 0x0
	s_lshr_b32 s4, s2, 16
	s_and_b32 s2, s2, 0xffff
	s_and_b32 s3, s3, 0xffff
	s_mul_i32 s2, s4, s2
	s_cmp_eq_u32 s6, 0
	s_mul_i32 s2, s2, s3
	s_cselect_b32 s28, s5, s7
	s_cmp_lg_u32 s2, 0x100
	s_cselect_b32 s2, -1, 0
	s_cmp_ge_u32 s28, s33
	s_cselect_b32 s3, -1, 0
	s_delay_alu instid0(SALU_CYCLE_1) | instskip(NEXT) | instid1(SALU_CYCLE_1)
	s_or_b32 s2, s2, s3
	s_and_b32 vcc_lo, exec_lo, s2
	s_cbranch_vccnz .LBB126_106
; %bb.1:
	s_load_b32 s2, s[0:1], 0x0
	s_add_nc_u64 s[8:9], s[0:1], 0x78
	v_bfe_u32 v1, v0, 10, 10
	s_clause 0x2
	s_load_b512 s[36:51], s[0:1], 0x8
	s_load_b64 s[4:5], s[0:1], 0x68
	s_load_b256 s[20:27], s[0:1], 0x48
	s_load_b32 s30, s[8:9], 0x0
	s_wait_xcnt 0x0
	s_bfe_u32 s0, ttmp6, 0x4000c
	v_and_b32_e32 v144, 0x3ff, v0
	s_add_co_i32 s0, s0, 1
	v_dual_lshlrev_b32 v8, 6, v1 :: v_dual_bitop2_b32 v146, 31, v0 bitop3:0x40
	s_and_b32 s1, ttmp6, 15
	s_mul_i32 s3, ttmp9, s0
	v_dual_mov_b32 v147, 0 :: v_dual_lshlrev_b32 v145, 4, v144
	s_add_co_i32 s1, s1, s3
	v_dual_add_nc_u32 v9, v8, v144 :: v_dual_lshlrev_b32 v10, 4, v146
	s_delay_alu instid0(VALU_DEP_2) | instskip(NEXT) | instid1(VALU_DEP_3)
	v_sub_nc_u64_e32 v[148:149], 0, v[146:147]
	v_add_nc_u32_e32 v164, 0x4700, v145
	v_cmp_eq_u32_e64 s0, 0, v1
	s_wait_kmcnt 0x0
	s_ashr_i32 s3, s2, 31
	s_cmp_eq_u32 s6, 0
	v_lshl_or_b32 v12, v146, 9, v10
	s_cselect_b32 s72, ttmp9, s1
	s_mul_u64 s[52:53], s[30:31], s[2:3]
	s_lshl_b32 s18, s72, 6
	s_delay_alu instid0(SALU_CYCLE_1) | instskip(SKIP_3) | instid1(VALU_DEP_1)
	v_dual_lshrrev_b32 v11, 5, v9 :: v_dual_add_nc_u32 v150, s18, v144
	s_lshr_b32 s3, s3, 26
	s_add_co_i32 s1, s30, -1
	s_add_co_i32 s3, s2, s3
	v_mad_nc_u64_u32 v[2:3], s44, v11, v[146:147]
	v_ashrrev_i32_e32 v151, 31, v150
	s_and_not1_b32 s3, s3, 63
	s_lshl_b64 s[6:7], s[50:51], 4
	s_lshl_b64 s[8:9], s[42:43], 4
	s_mul_i32 s10, s2, s72
	v_mul_u64_e32 v[4:5], s[20:21], v[150:151]
	s_sub_co_i32 s2, s2, s3
	s_cmp_eq_u32 s72, s1
	s_add_nc_u64 s[8:9], s[40:41], s[8:9]
	s_cselect_b32 s40, s2, 0
	v_mad_u32 v3, s45, v11, v3
	s_cmp_eq_u32 s40, 0
	s_add_nc_u64 s[6:7], s[48:49], s[6:7]
	s_cselect_b32 s73, -1, 0
	s_cmp_lg_u32 s40, 0
	v_mad_u32_u24 v165, 0x210, v11, v10
	s_cselect_b32 s12, -1, 0
	s_ashr_i32 s19, s18, 31
	v_mad_u32_u24 v170, 0x840, v11, v10
	s_lshl_b64 s[2:3], s[18:19], 4
	s_mul_u64 s[60:61], s[44:45], s[18:19]
	s_add_nc_u64 s[2:3], s[8:9], s[2:3]
	s_ashr_i32 s11, s10, 31
	v_lshl_add_u64 v[6:7], v[2:3], 4, s[2:3]
	s_lshl_b64 s[8:9], s[10:11], 4
	v_lshlrev_b32_e32 v13, 6, v11
	s_sub_co_i32 s16, s40, 32
	s_add_nc_u64 s[50:51], s[4:5], s[8:9]
	v_lshl_add_u64 v[152:153], s[60:61], 4, v[6:7]
	s_delay_alu instid0(VALU_DEP_2) | instskip(SKIP_3) | instid1(VALU_DEP_4)
	v_dual_lshlrev_b32 v7, 2, v11 :: v_dual_add_nc_u32 v169, v12, v13
	v_add_nc_u32_e32 v178, 0x4700, v13
	v_cmp_le_i32_e64 s13, s16, v11
	v_sub_nc_u64_e32 v[158:159], 0, v[2:3]
	v_or_b32_e32 v14, 1, v7
	v_dual_add_nc_u32 v171, 16, v169 :: v_dual_bitop2_b32 v12, 2, v7 bitop3:0x54
	v_lshl_add_u64 v[154:155], v[4:5], 4, s[6:7]
	v_cmp_lt_u32_e64 s7, v7, v146
	s_delay_alu instid0(VALU_DEP_4) | instskip(SKIP_4) | instid1(VALU_DEP_4)
	v_mad_u32_u24 v172, 0x210, v14, v10
	v_dual_add_nc_u32 v173, 32, v169 :: v_dual_bitop2_b32 v7, 3, v7 bitop3:0x54
	v_mul_u32_u24_e32 v10, 33, v146
	v_dual_add_nc_u32 v4, 8, v11 :: v_dual_add_nc_u32 v5, 16, v11
	v_add_nc_u32_e32 v6, 24, v11
	v_cmp_lt_u32_e64 s10, v7, v146
	s_delay_alu instid0(VALU_DEP_4) | instskip(NEXT) | instid1(VALU_DEP_4)
	v_dual_lshlrev_b32 v7, 4, v11 :: v_dual_lshlrev_b32 v175, 4, v10
	v_cmp_le_i32_e64 s4, s40, v4
	v_cmp_le_i32_e64 s5, s40, v5
	;; [unrolled: 1-line block ×4, first 2 shown]
	v_dual_add_nc_u32 v179, v175, v7 :: v_dual_add_nc_u32 v180, v175, v13
	v_dual_mov_b32 v5, v147 :: v_dual_lshlrev_b32 v4, 2, v1
	v_cmp_le_i32_e64 s6, s40, v6
	v_cmp_le_i32_e64 s16, s16, v6
	s_delay_alu instid0(VALU_DEP_4) | instskip(SKIP_3) | instid1(VALU_DEP_3)
	v_add_nc_u32_e32 v183, 48, v180
	v_mul_i32_i24_e32 v6, 0xffffffd0, v11
	v_mul_u64_e32 v[156:157], s[44:45], v[4:5]
	v_dual_lshrrev_b32 v4, 4, v9 :: v_dual_bitop2_b32 v5, 15, v0 bitop3:0x40
	v_dual_add_nc_u32 v193, v178, v6 :: v_dual_bitop2_b32 v0, 48, v0 bitop3:0x40
	v_cmp_le_i32_e32 vcc_lo, s40, v144
	s_delay_alu instid0(VALU_DEP_3)
	v_lshlrev_b32_e32 v2, 6, v4
	v_cmp_gt_i32_e64 s1, s40, v146
	v_cmp_lt_u32_e64 s8, v14, v146
	v_cmp_lt_u32_e64 s9, v12, v146
	v_dual_add_nc_u32 v176, 48, v169 :: v_dual_bitop2_b32 v10, 32, v146 bitop3:0x54
	v_or_b32_e32 v3, 0xf0, v145
	v_lshlrev_b32_e32 v146, 4, v146
	v_mad_u32_u24 v188, 0x430, v5, v2
	v_mul_i32_i24_e32 v2, 0xffffffd0, v4
	v_lshlrev_b32_e32 v0, 4, v0
	s_and_b32 s2, s12, vcc_lo
	s_mul_u64 s[18:19], s[20:21], s[18:19]
	v_add_nc_u32_e32 v166, 0x1080, v165
	v_add_nc_u32_e32 v167, 0x2100, v165
	;; [unrolled: 1-line block ×3, first 2 shown]
	s_lshl_b64 s[42:43], s[44:45], 7
	s_lshl_b64 s[48:49], s[44:45], 8
	s_ashr_i32 s41, s40, 31
	v_cmp_le_i32_e64 s3, s40, v11
	v_add_nc_u32_e32 v174, 0x210, v172
	v_add_nc_u32_e32 v177, 0x420, v172
	v_cmp_gt_u32_e64 s11, 32, v9
	s_lshl_b64 s[54:55], s[44:45], 5
	v_cmp_gt_i32_e64 s12, s40, v10
	v_dual_add_nc_u32 v181, 16, v180 :: v_dual_add_nc_u32 v182, 32, v180
	v_cmp_eq_u32_e64 s17, 1, v11
	v_mad_u32_u24 v184, v11, 48, v179
	s_xor_b32 s29, s2, -1
	s_sub_nc_u64 s[58:59], 0, s[18:19]
	v_add_nc_u32_e32 v185, 0x4300, v145
	v_add_nc_u32_e32 v186, 0x4300, v8
	v_mad_u32_u24 v187, 0x10c0, v1, v145
	v_cmp_gt_u32_e64 s18, 64, v9
	v_mad_u32_u24 v190, 0x430, v5, v3
	v_mad_u32_u24 v191, 0x430, v1, v145
	v_add_nc_u32_e32 v192, 0x4700, v7
	v_add_nc_u32_e32 v194, v188, v2
	v_mad_u32_u24 v189, 0x430, v5, v0
	s_cmp_gt_i32 s72, 0
	s_mul_u64 s[34:35], s[44:45], 0x180
	s_sub_nc_u64 s[56:57], 0, s[54:55]
	s_cselect_b32 s74, -1, 0
	s_sub_nc_u64 s[60:61], 0, s[60:61]
	s_and_b32 s75, s0, s29
	s_mov_b64 s[62:63], 0xfffffffffffffdf0
	s_mov_b64 s[64:65], 0xfffffffffffffe00
	s_sub_nc_u64 s[66:67], 0, s[40:41]
	s_lshl_b64 s[68:69], s[44:45], 4
	s_mul_u64 s[44:45], s[44:45], 0xd0
	s_branch .LBB126_4
.LBB126_2:                              ;   in Loop: Header=BB126_4 Depth=1
	s_wait_xcnt 0x0
	s_or_b32 exec_lo, exec_lo, s19
.LBB126_3:                              ;   in Loop: Header=BB126_4 Depth=1
	s_add_co_i32 s28, s28, 0x10000
	s_delay_alu instid0(SALU_CYCLE_1)
	s_cmp_lt_u32 s28, s33
	s_cbranch_scc0 .LBB126_106
.LBB126_4:                              ; =>This Loop Header: Depth=1
                                        ;     Child Loop BB126_76 Depth 2
	s_mov_b32 s29, s31
	s_wait_xcnt 0x0
	s_mul_u64 s[70:71], s[38:39], s[28:29]
	s_delay_alu instid0(SALU_CYCLE_1) | instskip(NEXT) | instid1(SALU_CYCLE_1)
	s_lshl_b64 s[70:71], s[70:71], 4
	s_add_nc_u64 s[70:71], s[36:37], s[70:71]
	global_load_b128 v[0:3], v147, s[70:71]
	s_wait_loadcnt 0x0
	v_cmp_neq_f64_e32 vcc_lo, 0, v[0:1]
	v_cmp_neq_f64_e64 s19, 0, v[2:3]
	s_or_b32 s30, vcc_lo, s19
	s_mov_b32 s19, -1
	s_and_b32 vcc_lo, exec_lo, s30
	s_cbranch_vccnz .LBB126_6
; %bb.5:                                ;   in Loop: Header=BB126_4 Depth=1
	s_wait_xcnt 0x0
	s_mul_u64 s[70:71], s[26:27], s[28:29]
	s_delay_alu instid0(SALU_CYCLE_1) | instskip(NEXT) | instid1(SALU_CYCLE_1)
	s_lshl_b64 s[70:71], s[70:71], 4
	s_add_nc_u64 s[70:71], s[24:25], s[70:71]
	global_load_b128 v[0:3], v147, s[70:71]
	s_wait_loadcnt 0x0
	v_cmp_neq_f64_e32 vcc_lo, 1.0, v[0:1]
	v_cmp_neq_f64_e64 s19, 0, v[2:3]
	s_or_b32 s19, vcc_lo, s19
.LBB126_6:                              ;   in Loop: Header=BB126_4 Depth=1
	s_delay_alu instid0(SALU_CYCLE_1)
	s_and_not1_b32 vcc_lo, exec_lo, s19
	s_cbranch_vccnz .LBB126_3
; %bb.7:                                ;   in Loop: Header=BB126_4 Depth=1
	s_and_not1_b32 vcc_lo, exec_lo, s30
	s_cbranch_vccnz .LBB126_3
; %bb.8:                                ;   in Loop: Header=BB126_4 Depth=1
	s_wait_xcnt 0x0
	s_mul_u64 s[70:71], s[22:23], s[28:29]
	s_delay_alu instid0(SALU_CYCLE_1)
	v_lshl_add_u64 v[36:37], s[70:71], 4, v[154:155]
	s_and_saveexec_b32 s19, s0
	s_cbranch_execz .LBB126_13
; %bb.9:                                ;   in Loop: Header=BB126_4 Depth=1
	s_and_saveexec_b32 s30, s2
	s_delay_alu instid0(SALU_CYCLE_1)
	s_xor_b32 s30, exec_lo, s30
; %bb.10:                               ;   in Loop: Header=BB126_4 Depth=1
	v_dual_mov_b32 v0, v147 :: v_dual_mov_b32 v1, v147
	v_dual_mov_b32 v2, v147 :: v_dual_mov_b32 v3, v147
	ds_store_b128 v164, v[0:3]
; %bb.11:                               ;   in Loop: Header=BB126_4 Depth=1
	s_and_not1_saveexec_b32 s30, s30
	s_cbranch_execz .LBB126_13
; %bb.12:                               ;   in Loop: Header=BB126_4 Depth=1
	global_load_b128 v[0:3], v[36:37], off
	s_wait_loadcnt 0x0
	ds_store_2addr_b64 v164, v[0:1], v[2:3] offset1:1
.LBB126_13:                             ;   in Loop: Header=BB126_4 Depth=1
	s_wait_xcnt 0x0
	s_or_b32 exec_lo, exec_lo, s19
	s_mul_u64 s[70:71], s[46:47], s[28:29]
	s_and_not1_b32 vcc_lo, exec_lo, s73
	v_lshl_add_u64 v[4:5], s[70:71], 4, v[152:153]
	s_mov_b32 s19, -1
	s_cbranch_vccnz .LBB126_15
; %bb.14:                               ;   in Loop: Header=BB126_4 Depth=1
	global_load_b128 v[0:3], v[4:5], off
	v_add_nc_u64_e32 v[6:7], s[42:43], v[4:5]
	s_mov_b32 s19, 0
	s_wait_loadcnt 0x0
	ds_store_2addr_b64 v165, v[0:1], v[2:3] offset1:1
	global_load_b128 v[0:3], v[6:7], off
	s_wait_xcnt 0x0
	v_add_nc_u64_e32 v[6:7], s[42:43], v[6:7]
	s_wait_loadcnt 0x0
	ds_store_2addr_b64 v166, v[0:1], v[2:3] offset1:1
	global_load_b128 v[0:3], v[6:7], off
	s_wait_loadcnt 0x0
	ds_store_2addr_b64 v167, v[0:1], v[2:3] offset1:1
	v_add_nc_u64_e32 v[0:1], s[42:43], v[6:7]
	global_load_b128 v[0:3], v[0:1], off
	s_wait_loadcnt 0x0
	ds_store_2addr_b64 v168, v[0:1], v[2:3] offset1:1
.LBB126_15:                             ;   in Loop: Header=BB126_4 Depth=1
	s_and_not1_b32 vcc_lo, exec_lo, s19
	s_cbranch_vccnz .LBB126_27
; %bb.16:                               ;   in Loop: Header=BB126_4 Depth=1
	s_wait_xcnt 0x0
	s_and_saveexec_b32 s19, s3
	s_delay_alu instid0(SALU_CYCLE_1)
	s_xor_b32 s19, exec_lo, s19
; %bb.17:                               ;   in Loop: Header=BB126_4 Depth=1
	v_dual_mov_b32 v0, v147 :: v_dual_mov_b32 v1, v147
	v_dual_mov_b32 v2, v147 :: v_dual_mov_b32 v3, v147
	ds_store_b128 v165, v[0:3]
; %bb.18:                               ;   in Loop: Header=BB126_4 Depth=1
	s_or_saveexec_b32 s19, s19
	v_lshl_add_u64 v[0:1], v[148:149], 4, v[4:5]
	s_delay_alu instid0(VALU_DEP_1) | instskip(NEXT) | instid1(VALU_DEP_1)
	v_lshl_add_u64 v[0:1], s[40:41], 4, v[0:1]
	v_add_nc_u64_e32 v[0:1], -16, v[0:1]
	s_delay_alu instid0(VALU_DEP_1)
	v_dual_cndmask_b32 v1, v1, v5, s1 :: v_dual_cndmask_b32 v0, v0, v4, s1
	s_xor_b32 exec_lo, exec_lo, s19
	s_cbranch_execnz .LBB126_88
; %bb.19:                               ;   in Loop: Header=BB126_4 Depth=1
	s_or_b32 exec_lo, exec_lo, s19
	s_and_saveexec_b32 s19, s4
	s_delay_alu instid0(SALU_CYCLE_1)
	s_xor_b32 s19, exec_lo, s19
	s_cbranch_execnz .LBB126_89
.LBB126_20:                             ;   in Loop: Header=BB126_4 Depth=1
	s_and_not1_saveexec_b32 s19, s19
	s_cbranch_execnz .LBB126_90
.LBB126_21:                             ;   in Loop: Header=BB126_4 Depth=1
	s_or_b32 exec_lo, exec_lo, s19
	s_and_saveexec_b32 s19, s5
	s_delay_alu instid0(SALU_CYCLE_1)
	s_xor_b32 s19, exec_lo, s19
	s_cbranch_execnz .LBB126_91
.LBB126_22:                             ;   in Loop: Header=BB126_4 Depth=1
	s_and_not1_saveexec_b32 s19, s19
	s_cbranch_execnz .LBB126_92
.LBB126_23:                             ;   in Loop: Header=BB126_4 Depth=1
	s_or_b32 exec_lo, exec_lo, s19
	s_and_saveexec_b32 s19, s6
	s_delay_alu instid0(SALU_CYCLE_1)
	s_xor_b32 s19, exec_lo, s19
	s_cbranch_execnz .LBB126_93
.LBB126_24:                             ;   in Loop: Header=BB126_4 Depth=1
	s_and_not1_saveexec_b32 s19, s19
	s_cbranch_execz .LBB126_26
.LBB126_25:                             ;   in Loop: Header=BB126_4 Depth=1
	v_add_nc_u64_e32 v[2:3], s[34:35], v[0:1]
	global_load_b128 v[6:9], v[2:3], off
	s_wait_loadcnt 0x0
	ds_store_2addr_b64 v168, v[6:7], v[8:9] offset1:1
.LBB126_26:                             ;   in Loop: Header=BB126_4 Depth=1
	s_wait_xcnt 0x0
	s_or_b32 exec_lo, exec_lo, s19
	v_add_nc_u64_e32 v[0:1], v[0:1], v[146:147]
	s_delay_alu instid0(VALU_DEP_1) | instskip(NEXT) | instid1(VALU_DEP_1)
	v_lshl_add_u64 v[0:1], s[66:67], 4, v[0:1]
	v_add_nc_u64_e32 v[0:1], 16, v[0:1]
	s_delay_alu instid0(VALU_DEP_1)
	v_dual_cndmask_b32 v5, v1, v5, s1 :: v_dual_cndmask_b32 v4, v0, v4, s1
.LBB126_27:                             ;   in Loop: Header=BB126_4 Depth=1
	s_wait_dscnt 0x0
	s_barrier_signal -1
	s_barrier_wait -1
	s_wait_xcnt 0x0
	s_and_saveexec_b32 s19, s7
	s_cbranch_execnz .LBB126_82
; %bb.28:                               ;   in Loop: Header=BB126_4 Depth=1
	s_or_b32 exec_lo, exec_lo, s19
	s_and_saveexec_b32 s19, s8
	s_cbranch_execnz .LBB126_83
.LBB126_29:                             ;   in Loop: Header=BB126_4 Depth=1
	s_or_b32 exec_lo, exec_lo, s19
	s_and_saveexec_b32 s19, s9
	s_cbranch_execnz .LBB126_84
.LBB126_30:                             ;   in Loop: Header=BB126_4 Depth=1
	s_or_b32 exec_lo, exec_lo, s19
	s_and_saveexec_b32 s19, s10
	s_cbranch_execz .LBB126_32
.LBB126_31:                             ;   in Loop: Header=BB126_4 Depth=1
	ds_load_b128 v[0:3], v177
	s_wait_dscnt 0x0
	ds_store_b128 v176, v[0:3]
.LBB126_32:                             ;   in Loop: Header=BB126_4 Depth=1
	s_or_b32 exec_lo, exec_lo, s19
	s_wait_dscnt 0x0
	s_barrier_signal -1
	s_barrier_wait -1
	ds_load_b128 v[0:3], v178
	ds_load_b128 v[6:9], v178 offset:16
	ds_load_b128 v[10:13], v178 offset:32
	;; [unrolled: 1-line block ×3, first 2 shown]
	ds_load_b128 v[18:21], v170
	s_wait_dscnt 0x0
	v_mul_f64_e32 v[22:23], v[2:3], v[20:21]
	v_mul_f64_e32 v[20:21], v[0:1], v[20:21]
	s_delay_alu instid0(VALU_DEP_2) | instskip(NEXT) | instid1(VALU_DEP_2)
	v_fma_f64 v[22:23], v[0:1], v[18:19], -v[22:23]
	v_fmac_f64_e32 v[20:21], v[2:3], v[18:19]
	v_mov_b64_e32 v[0:1], 0
	s_delay_alu instid0(VALU_DEP_3) | instskip(NEXT) | instid1(VALU_DEP_3)
	v_add_f64_e32 v[2:3], 0, v[22:23]
	v_add_f64_e32 v[22:23], 0, v[20:21]
	ds_load_b128 v[18:21], v172
	s_wait_dscnt 0x0
	v_mul_f64_e32 v[24:25], v[8:9], v[20:21]
	s_delay_alu instid0(VALU_DEP_1) | instskip(SKIP_1) | instid1(VALU_DEP_2)
	v_fma_f64 v[24:25], v[6:7], v[18:19], -v[24:25]
	v_mul_f64_e32 v[6:7], v[6:7], v[20:21]
	v_add_f64_e32 v[2:3], v[2:3], v[24:25]
	s_delay_alu instid0(VALU_DEP_2) | instskip(NEXT) | instid1(VALU_DEP_1)
	v_fmac_f64_e32 v[6:7], v[8:9], v[18:19]
	v_add_f64_e32 v[18:19], v[22:23], v[6:7]
	ds_load_b128 v[6:9], v174
	s_wait_dscnt 0x0
	v_mul_f64_e32 v[20:21], v[12:13], v[8:9]
	v_mul_f64_e32 v[8:9], v[10:11], v[8:9]
	s_delay_alu instid0(VALU_DEP_2) | instskip(NEXT) | instid1(VALU_DEP_2)
	v_fma_f64 v[20:21], v[10:11], v[6:7], -v[20:21]
	v_fmac_f64_e32 v[8:9], v[12:13], v[6:7]
	s_delay_alu instid0(VALU_DEP_2) | instskip(NEXT) | instid1(VALU_DEP_2)
	v_add_f64_e32 v[2:3], v[2:3], v[20:21]
	v_add_f64_e32 v[10:11], v[18:19], v[8:9]
	ds_load_b128 v[6:9], v177
	s_wait_dscnt 0x0
	s_barrier_signal -1
	s_barrier_wait -1
	v_mul_f64_e32 v[12:13], v[16:17], v[8:9]
	v_mul_f64_e32 v[8:9], v[14:15], v[8:9]
	s_delay_alu instid0(VALU_DEP_2) | instskip(NEXT) | instid1(VALU_DEP_2)
	v_fma_f64 v[12:13], v[14:15], v[6:7], -v[12:13]
	v_fmac_f64_e32 v[8:9], v[16:17], v[6:7]
	s_delay_alu instid0(VALU_DEP_2) | instskip(NEXT) | instid1(VALU_DEP_2)
	v_add_f64_e32 v[6:7], v[2:3], v[12:13]
	v_add_f64_e32 v[8:9], v[10:11], v[8:9]
	v_mov_b64_e32 v[2:3], 0
	ds_store_b128 v179, v[6:9]
	s_wait_dscnt 0x0
	s_barrier_signal -1
	s_barrier_wait -1
	s_and_saveexec_b32 s19, s11
	s_cbranch_execz .LBB126_34
; %bb.33:                               ;   in Loop: Header=BB126_4 Depth=1
	ds_load_b128 v[0:3], v175
	ds_load_b128 v[6:9], v175 offset:16
	s_wait_dscnt 0x0
	v_add_f64_e32 v[10:11], v[6:7], v[0:1]
	v_add_f64_e32 v[12:13], v[8:9], v[2:3]
	ds_load_b128 v[0:3], v175 offset:32
	ds_load_b128 v[6:9], v175 offset:48
	s_wait_dscnt 0x1
	v_add_f64_e32 v[0:1], v[10:11], v[0:1]
	v_add_f64_e32 v[2:3], v[12:13], v[2:3]
	s_wait_dscnt 0x0
	s_delay_alu instid0(VALU_DEP_2) | instskip(NEXT) | instid1(VALU_DEP_2)
	v_add_f64_e32 v[10:11], v[0:1], v[6:7]
	v_add_f64_e32 v[12:13], v[2:3], v[8:9]
	ds_load_b128 v[0:3], v175 offset:64
	ds_load_b128 v[6:9], v175 offset:80
	s_wait_dscnt 0x1
	v_add_f64_e32 v[0:1], v[10:11], v[0:1]
	v_add_f64_e32 v[2:3], v[12:13], v[2:3]
	s_wait_dscnt 0x0
	s_delay_alu instid0(VALU_DEP_2) | instskip(NEXT) | instid1(VALU_DEP_2)
	;; [unrolled: 9-line block ×3, first 2 shown]
	v_add_f64_e32 v[0:1], v[0:1], v[6:7]
	v_add_f64_e32 v[2:3], v[2:3], v[8:9]
.LBB126_34:                             ;   in Loop: Header=BB126_4 Depth=1
	s_or_b32 exec_lo, exec_lo, s19
	v_lshl_add_u64 v[6:7], s[54:55], 4, v[4:5]
	s_and_not1_b32 vcc_lo, exec_lo, s73
	s_mov_b32 s19, -1
	s_barrier_signal -1
	s_delay_alu instid0(VALU_DEP_1)
	v_add_nc_u64_e32 v[4:5], 0x200, v[6:7]
	s_barrier_wait -1
	s_cbranch_vccnz .LBB126_36
; %bb.35:                               ;   in Loop: Header=BB126_4 Depth=1
	v_add_nc_u64_e32 v[12:13], s[42:43], v[6:7]
	s_mov_b32 s19, 0
	s_delay_alu instid0(VALU_DEP_1) | instskip(NEXT) | instid1(VALU_DEP_1)
	v_add_nc_u64_e32 v[16:17], s[42:43], v[12:13]
	v_add_nc_u64_e32 v[20:21], s[42:43], v[16:17]
	s_clause 0x3
	global_load_b128 v[8:11], v[4:5], off
	global_load_b128 v[12:15], v[12:13], off offset:512
	global_load_b128 v[16:19], v[16:17], off offset:512
	;; [unrolled: 1-line block ×3, first 2 shown]
	s_wait_loadcnt 0x3
	ds_store_2addr_b64 v165, v[8:9], v[10:11] offset1:1
	s_wait_loadcnt 0x2
	ds_store_2addr_b64 v166, v[12:13], v[14:15] offset1:1
	;; [unrolled: 2-line block ×4, first 2 shown]
.LBB126_36:                             ;   in Loop: Header=BB126_4 Depth=1
	s_and_not1_b32 vcc_lo, exec_lo, s19
	s_cbranch_vccnz .LBB126_48
; %bb.37:                               ;   in Loop: Header=BB126_4 Depth=1
	s_wait_xcnt 0x0
	s_and_saveexec_b32 s19, s13
	s_delay_alu instid0(SALU_CYCLE_1)
	s_xor_b32 s19, exec_lo, s19
; %bb.38:                               ;   in Loop: Header=BB126_4 Depth=1
	v_dual_mov_b32 v8, v147 :: v_dual_mov_b32 v9, v147
	v_dual_mov_b32 v10, v147 :: v_dual_mov_b32 v11, v147
	ds_store_b128 v165, v[8:11]
; %bb.39:                               ;   in Loop: Header=BB126_4 Depth=1
	s_or_saveexec_b32 s19, s19
	v_lshl_add_u64 v[6:7], v[148:149], 4, v[6:7]
	s_delay_alu instid0(VALU_DEP_1) | instskip(NEXT) | instid1(VALU_DEP_1)
	v_lshl_add_u64 v[6:7], s[40:41], 4, v[6:7]
	v_add_nc_u64_e32 v[6:7], -16, v[6:7]
	s_delay_alu instid0(VALU_DEP_1)
	v_dual_cndmask_b32 v7, v7, v5, s12 :: v_dual_cndmask_b32 v6, v6, v4, s12
	s_xor_b32 exec_lo, exec_lo, s19
	s_cbranch_execnz .LBB126_94
; %bb.40:                               ;   in Loop: Header=BB126_4 Depth=1
	s_or_b32 exec_lo, exec_lo, s19
	s_and_saveexec_b32 s19, s14
	s_delay_alu instid0(SALU_CYCLE_1)
	s_xor_b32 s19, exec_lo, s19
	s_cbranch_execnz .LBB126_95
.LBB126_41:                             ;   in Loop: Header=BB126_4 Depth=1
	s_and_not1_saveexec_b32 s19, s19
	s_cbranch_execnz .LBB126_96
.LBB126_42:                             ;   in Loop: Header=BB126_4 Depth=1
	s_or_b32 exec_lo, exec_lo, s19
	s_and_saveexec_b32 s19, s15
	s_delay_alu instid0(SALU_CYCLE_1)
	s_xor_b32 s19, exec_lo, s19
	s_cbranch_execnz .LBB126_97
.LBB126_43:                             ;   in Loop: Header=BB126_4 Depth=1
	s_and_not1_saveexec_b32 s19, s19
	s_cbranch_execnz .LBB126_98
.LBB126_44:                             ;   in Loop: Header=BB126_4 Depth=1
	s_or_b32 exec_lo, exec_lo, s19
	s_and_saveexec_b32 s19, s16
	s_delay_alu instid0(SALU_CYCLE_1)
	s_xor_b32 s19, exec_lo, s19
	s_cbranch_execnz .LBB126_99
.LBB126_45:                             ;   in Loop: Header=BB126_4 Depth=1
	s_and_not1_saveexec_b32 s19, s19
	s_cbranch_execz .LBB126_47
.LBB126_46:                             ;   in Loop: Header=BB126_4 Depth=1
	v_add_nc_u64_e32 v[8:9], s[34:35], v[6:7]
	global_load_b128 v[8:11], v[8:9], off
	s_wait_loadcnt 0x0
	ds_store_2addr_b64 v168, v[8:9], v[10:11] offset1:1
.LBB126_47:                             ;   in Loop: Header=BB126_4 Depth=1
	s_wait_xcnt 0x0
	s_or_b32 exec_lo, exec_lo, s19
	v_add_nc_u64_e32 v[6:7], v[6:7], v[146:147]
	s_delay_alu instid0(VALU_DEP_1) | instskip(NEXT) | instid1(VALU_DEP_1)
	v_lshl_add_u64 v[6:7], s[66:67], 4, v[6:7]
	v_add_nc_u64_e32 v[6:7], 0x210, v[6:7]
	s_delay_alu instid0(VALU_DEP_1)
	v_dual_cndmask_b32 v5, v7, v5, s12 :: v_dual_cndmask_b32 v4, v6, v4, s12
.LBB126_48:                             ;   in Loop: Header=BB126_4 Depth=1
	s_wait_dscnt 0x0
	s_barrier_signal -1
	s_barrier_wait -1
	s_wait_xcnt 0x0
	s_and_saveexec_b32 s19, s7
	s_cbranch_execnz .LBB126_85
; %bb.49:                               ;   in Loop: Header=BB126_4 Depth=1
	s_or_b32 exec_lo, exec_lo, s19
	s_and_saveexec_b32 s19, s8
	s_cbranch_execnz .LBB126_86
.LBB126_50:                             ;   in Loop: Header=BB126_4 Depth=1
	s_or_b32 exec_lo, exec_lo, s19
	s_and_saveexec_b32 s19, s9
	s_cbranch_execnz .LBB126_87
.LBB126_51:                             ;   in Loop: Header=BB126_4 Depth=1
	s_or_b32 exec_lo, exec_lo, s19
	s_and_saveexec_b32 s19, s10
	s_cbranch_execz .LBB126_53
.LBB126_52:                             ;   in Loop: Header=BB126_4 Depth=1
	ds_load_b128 v[6:9], v177
	s_wait_dscnt 0x0
	ds_store_b128 v183, v[6:9]
.LBB126_53:                             ;   in Loop: Header=BB126_4 Depth=1
	s_or_b32 exec_lo, exec_lo, s19
	s_wait_dscnt 0x0
	s_barrier_signal -1
	s_barrier_wait -1
	ds_load_b128 v[6:9], v178 offset:512
	ds_load_b128 v[10:13], v178 offset:528
	;; [unrolled: 1-line block ×4, first 2 shown]
	ds_load_b128 v[22:25], v170
	s_wait_dscnt 0x0
	v_mul_f64_e32 v[26:27], v[8:9], v[24:25]
	s_delay_alu instid0(VALU_DEP_1) | instskip(SKIP_1) | instid1(VALU_DEP_1)
	v_fma_f64 v[26:27], v[6:7], v[22:23], -v[26:27]
	v_mul_f64_e32 v[6:7], v[6:7], v[24:25]
	v_fmac_f64_e32 v[6:7], v[8:9], v[22:23]
	s_delay_alu instid0(VALU_DEP_3) | instskip(NEXT) | instid1(VALU_DEP_2)
	v_add_f64_e32 v[22:23], 0, v[26:27]
	v_add_f64_e32 v[24:25], 0, v[6:7]
	ds_load_b128 v[6:9], v172
	s_wait_dscnt 0x0
	v_mul_f64_e32 v[26:27], v[12:13], v[8:9]
	v_mul_f64_e32 v[8:9], v[10:11], v[8:9]
	s_delay_alu instid0(VALU_DEP_2) | instskip(NEXT) | instid1(VALU_DEP_2)
	v_fma_f64 v[26:27], v[10:11], v[6:7], -v[26:27]
	v_fmac_f64_e32 v[8:9], v[12:13], v[6:7]
	s_delay_alu instid0(VALU_DEP_2) | instskip(NEXT) | instid1(VALU_DEP_2)
	v_add_f64_e32 v[10:11], v[22:23], v[26:27]
	v_add_f64_e32 v[12:13], v[24:25], v[8:9]
	ds_load_b128 v[6:9], v174
	s_wait_dscnt 0x0
	v_mul_f64_e32 v[22:23], v[16:17], v[8:9]
	v_mul_f64_e32 v[8:9], v[14:15], v[8:9]
	s_delay_alu instid0(VALU_DEP_2) | instskip(NEXT) | instid1(VALU_DEP_2)
	v_fma_f64 v[22:23], v[14:15], v[6:7], -v[22:23]
	v_fmac_f64_e32 v[8:9], v[16:17], v[6:7]
	s_delay_alu instid0(VALU_DEP_2) | instskip(NEXT) | instid1(VALU_DEP_2)
	v_add_f64_e32 v[10:11], v[10:11], v[22:23]
	v_add_f64_e32 v[12:13], v[12:13], v[8:9]
	ds_load_b128 v[6:9], v177
	s_wait_dscnt 0x0
	s_barrier_signal -1
	s_barrier_wait -1
	v_mul_f64_e32 v[14:15], v[20:21], v[8:9]
	v_mul_f64_e32 v[8:9], v[18:19], v[8:9]
	s_delay_alu instid0(VALU_DEP_2) | instskip(NEXT) | instid1(VALU_DEP_2)
	v_fma_f64 v[14:15], v[18:19], v[6:7], -v[14:15]
	v_fmac_f64_e32 v[8:9], v[20:21], v[6:7]
	s_delay_alu instid0(VALU_DEP_2) | instskip(NEXT) | instid1(VALU_DEP_2)
	v_add_f64_e32 v[6:7], v[10:11], v[14:15]
	v_add_f64_e32 v[8:9], v[12:13], v[8:9]
	ds_store_b128 v179, v[6:9]
	s_wait_dscnt 0x0
	s_barrier_signal -1
	s_barrier_wait -1
	s_and_saveexec_b32 s19, s17
	s_cbranch_execz .LBB126_55
; %bb.54:                               ;   in Loop: Header=BB126_4 Depth=1
	ds_load_b128 v[0:3], v175
	ds_load_b128 v[6:9], v175 offset:16
	s_wait_dscnt 0x0
	v_add_f64_e32 v[10:11], v[6:7], v[0:1]
	v_add_f64_e32 v[12:13], v[8:9], v[2:3]
	ds_load_b128 v[0:3], v175 offset:32
	ds_load_b128 v[6:9], v175 offset:48
	s_wait_dscnt 0x1
	v_add_f64_e32 v[0:1], v[10:11], v[0:1]
	v_add_f64_e32 v[2:3], v[12:13], v[2:3]
	s_wait_dscnt 0x0
	s_delay_alu instid0(VALU_DEP_2) | instskip(NEXT) | instid1(VALU_DEP_2)
	v_add_f64_e32 v[10:11], v[0:1], v[6:7]
	v_add_f64_e32 v[12:13], v[2:3], v[8:9]
	ds_load_b128 v[0:3], v175 offset:64
	ds_load_b128 v[6:9], v175 offset:80
	s_wait_dscnt 0x1
	v_add_f64_e32 v[0:1], v[10:11], v[0:1]
	v_add_f64_e32 v[2:3], v[12:13], v[2:3]
	s_wait_dscnt 0x0
	s_delay_alu instid0(VALU_DEP_2) | instskip(NEXT) | instid1(VALU_DEP_2)
	;; [unrolled: 9-line block ×3, first 2 shown]
	v_add_f64_e32 v[0:1], v[0:1], v[6:7]
	v_add_f64_e32 v[2:3], v[2:3], v[8:9]
.LBB126_55:                             ;   in Loop: Header=BB126_4 Depth=1
	s_or_b32 exec_lo, exec_lo, s19
	v_lshl_add_u64 v[38:39], s[56:57], 4, v[4:5]
	s_and_not1_b32 vcc_lo, exec_lo, s73
	s_mov_b32 s19, -1
	s_barrier_signal -1
	s_barrier_wait -1
	s_cbranch_vccnz .LBB126_57
; %bb.56:                               ;   in Loop: Header=BB126_4 Depth=1
	v_add_nc_u64_e32 v[8:9], s[42:43], v[38:39]
	s_mov_b32 s19, 0
	s_delay_alu instid0(VALU_DEP_1) | instskip(NEXT) | instid1(VALU_DEP_1)
	v_add_nc_u64_e32 v[12:13], s[42:43], v[8:9]
	v_add_nc_u64_e32 v[16:17], s[42:43], v[12:13]
	s_clause 0x3
	global_load_b128 v[4:7], v[38:39], off
	global_load_b128 v[8:11], v[8:9], off
	;; [unrolled: 1-line block ×4, first 2 shown]
	s_wait_loadcnt 0x3
	ds_store_2addr_b64 v165, v[4:5], v[6:7] offset1:1
	s_wait_loadcnt 0x2
	ds_store_2addr_b64 v166, v[8:9], v[10:11] offset1:1
	;; [unrolled: 2-line block ×4, first 2 shown]
.LBB126_57:                             ;   in Loop: Header=BB126_4 Depth=1
	s_and_not1_b32 vcc_lo, exec_lo, s19
	s_cbranch_vccnz .LBB126_69
; %bb.58:                               ;   in Loop: Header=BB126_4 Depth=1
	s_wait_xcnt 0x0
	s_and_saveexec_b32 s19, s3
	s_delay_alu instid0(SALU_CYCLE_1)
	s_xor_b32 s19, exec_lo, s19
; %bb.59:                               ;   in Loop: Header=BB126_4 Depth=1
	v_dual_mov_b32 v4, v147 :: v_dual_mov_b32 v5, v147
	v_dual_mov_b32 v6, v147 :: v_dual_mov_b32 v7, v147
	ds_store_b128 v165, v[4:7]
; %bb.60:                               ;   in Loop: Header=BB126_4 Depth=1
	s_or_saveexec_b32 s19, s19
	v_lshl_add_u64 v[4:5], v[148:149], 4, v[38:39]
	s_delay_alu instid0(VALU_DEP_1) | instskip(NEXT) | instid1(VALU_DEP_1)
	v_lshl_add_u64 v[4:5], s[40:41], 4, v[4:5]
	v_add_nc_u64_e32 v[4:5], s[62:63], v[4:5]
	s_delay_alu instid0(VALU_DEP_1)
	v_dual_cndmask_b32 v5, v5, v39, s12 :: v_dual_cndmask_b32 v4, v4, v38, s12
	s_xor_b32 exec_lo, exec_lo, s19
	s_cbranch_execnz .LBB126_100
; %bb.61:                               ;   in Loop: Header=BB126_4 Depth=1
	s_or_b32 exec_lo, exec_lo, s19
	s_and_saveexec_b32 s19, s4
	s_delay_alu instid0(SALU_CYCLE_1)
	s_xor_b32 s19, exec_lo, s19
	s_cbranch_execnz .LBB126_101
.LBB126_62:                             ;   in Loop: Header=BB126_4 Depth=1
	s_and_not1_saveexec_b32 s19, s19
	s_cbranch_execnz .LBB126_102
.LBB126_63:                             ;   in Loop: Header=BB126_4 Depth=1
	s_or_b32 exec_lo, exec_lo, s19
	s_and_saveexec_b32 s19, s5
	s_delay_alu instid0(SALU_CYCLE_1)
	s_xor_b32 s19, exec_lo, s19
	s_cbranch_execnz .LBB126_103
.LBB126_64:                             ;   in Loop: Header=BB126_4 Depth=1
	s_and_not1_saveexec_b32 s19, s19
	s_cbranch_execnz .LBB126_104
.LBB126_65:                             ;   in Loop: Header=BB126_4 Depth=1
	s_or_b32 exec_lo, exec_lo, s19
	s_and_saveexec_b32 s19, s6
	s_delay_alu instid0(SALU_CYCLE_1)
	s_xor_b32 s19, exec_lo, s19
	s_cbranch_execnz .LBB126_105
.LBB126_66:                             ;   in Loop: Header=BB126_4 Depth=1
	s_and_not1_saveexec_b32 s19, s19
	s_cbranch_execz .LBB126_68
.LBB126_67:                             ;   in Loop: Header=BB126_4 Depth=1
	v_add_nc_u64_e32 v[6:7], s[34:35], v[4:5]
	global_load_b128 v[6:9], v[6:7], off
	s_wait_loadcnt 0x0
	ds_store_2addr_b64 v168, v[6:7], v[8:9] offset1:1
.LBB126_68:                             ;   in Loop: Header=BB126_4 Depth=1
	s_wait_xcnt 0x0
	s_or_b32 exec_lo, exec_lo, s19
	v_add_nc_u64_e32 v[4:5], v[4:5], v[146:147]
	s_delay_alu instid0(VALU_DEP_1) | instskip(NEXT) | instid1(VALU_DEP_1)
	v_lshl_add_u64 v[4:5], s[66:67], 4, v[4:5]
	v_add_nc_u64_e32 v[4:5], 0x210, v[4:5]
	s_delay_alu instid0(VALU_DEP_1)
	v_dual_cndmask_b32 v39, v5, v39, s12 :: v_dual_cndmask_b32 v38, v4, v38, s12
.LBB126_69:                             ;   in Loop: Header=BB126_4 Depth=1
	s_wait_dscnt 0x0
	s_barrier_signal -1
	s_barrier_wait -1
	ds_load_b128 v[4:7], v193
	s_wait_xcnt 0x2
	ds_load_b128 v[8:11], v165
	s_wait_xcnt 0x1
	;; [unrolled: 2-line block ×3, first 2 shown]
	ds_load_b128 v[16:19], v192 offset:384
	ds_load_b128 v[20:23], v192 offset:128
	;; [unrolled: 1-line block ×3, first 2 shown]
	s_wait_dscnt 0x4
	v_mul_f64_e32 v[28:29], v[6:7], v[10:11]
	v_mul_f64_e32 v[30:31], v[4:5], v[10:11]
	s_wait_dscnt 0x1
	v_mul_f64_e32 v[32:33], v[22:23], v[14:15]
	v_mul_f64_e32 v[14:15], v[20:21], v[14:15]
	s_delay_alu instid0(VALU_DEP_4) | instskip(NEXT) | instid1(VALU_DEP_4)
	v_fma_f64 v[28:29], v[4:5], v[8:9], -v[28:29]
	v_fmac_f64_e32 v[30:31], v[6:7], v[8:9]
	ds_load_b128 v[4:7], v167
	ds_load_b128 v[8:11], v168
	v_fma_f64 v[20:21], v[20:21], v[12:13], -v[32:33]
	v_fmac_f64_e32 v[14:15], v[22:23], v[12:13]
	s_wait_dscnt 0x1
	v_mul_f64_e32 v[34:35], v[26:27], v[6:7]
	v_mul_f64_e32 v[6:7], v[24:25], v[6:7]
	v_add_f64_e32 v[12:13], 0, v[28:29]
	v_add_f64_e32 v[22:23], 0, v[30:31]
	s_wait_dscnt 0x0
	v_mul_f64_e32 v[28:29], v[18:19], v[10:11]
	v_mul_f64_e32 v[10:11], v[16:17], v[10:11]
	v_fma_f64 v[24:25], v[24:25], v[4:5], -v[34:35]
	v_fmac_f64_e32 v[6:7], v[26:27], v[4:5]
	v_add_f64_e32 v[4:5], v[12:13], v[20:21]
	v_add_f64_e32 v[12:13], v[22:23], v[14:15]
	v_fma_f64 v[14:15], v[16:17], v[8:9], -v[28:29]
	v_fmac_f64_e32 v[10:11], v[18:19], v[8:9]
	s_delay_alu instid0(VALU_DEP_4) | instskip(NEXT) | instid1(VALU_DEP_4)
	v_add_f64_e32 v[4:5], v[4:5], v[24:25]
	v_add_f64_e32 v[6:7], v[12:13], v[6:7]
	s_delay_alu instid0(VALU_DEP_2) | instskip(NEXT) | instid1(VALU_DEP_2)
	v_add_f64_e32 v[40:41], v[4:5], v[14:15]
	v_add_f64_e32 v[42:43], v[6:7], v[10:11]
	ds_load_b128 v[28:31], v184
	ds_load_b128 v[20:23], v184 offset:16
	ds_load_b128 v[8:11], v184 offset:32
	;; [unrolled: 1-line block ×7, first 2 shown]
	s_wait_dscnt 0x0
	s_barrier_signal -1
	s_barrier_wait -1
	ds_store_b128 v179, v[40:43]
	s_wait_dscnt 0x0
	s_barrier_signal -1
	s_barrier_wait -1
	s_and_saveexec_b32 s19, s17
	s_cbranch_execz .LBB126_71
; %bb.70:                               ;   in Loop: Header=BB126_4 Depth=1
	ds_load_b128 v[40:43], v175
	ds_load_b128 v[44:47], v175 offset:16
	s_wait_dscnt 0x1
	v_add_f64_e32 v[0:1], v[0:1], v[40:41]
	v_add_f64_e32 v[2:3], v[2:3], v[42:43]
	s_wait_dscnt 0x0
	s_delay_alu instid0(VALU_DEP_2) | instskip(NEXT) | instid1(VALU_DEP_2)
	v_add_f64_e32 v[44:45], v[0:1], v[44:45]
	v_add_f64_e32 v[46:47], v[2:3], v[46:47]
	ds_load_b128 v[0:3], v175 offset:32
	ds_load_b128 v[40:43], v175 offset:48
	s_wait_dscnt 0x1
	v_add_f64_e32 v[0:1], v[44:45], v[0:1]
	v_add_f64_e32 v[2:3], v[46:47], v[2:3]
	s_wait_dscnt 0x0
	s_delay_alu instid0(VALU_DEP_2) | instskip(NEXT) | instid1(VALU_DEP_2)
	v_add_f64_e32 v[44:45], v[0:1], v[40:41]
	v_add_f64_e32 v[46:47], v[2:3], v[42:43]
	ds_load_b128 v[0:3], v175 offset:64
	;; [unrolled: 9-line block ×3, first 2 shown]
	ds_load_b128 v[40:43], v175 offset:112
	s_wait_dscnt 0x1
	v_add_f64_e32 v[0:1], v[44:45], v[0:1]
	v_add_f64_e32 v[2:3], v[46:47], v[2:3]
	s_wait_dscnt 0x0
	s_delay_alu instid0(VALU_DEP_2) | instskip(NEXT) | instid1(VALU_DEP_2)
	v_add_f64_e32 v[0:1], v[0:1], v[40:41]
	v_add_f64_e32 v[2:3], v[2:3], v[42:43]
.LBB126_71:                             ;   in Loop: Header=BB126_4 Depth=1
	s_or_b32 exec_lo, exec_lo, s19
	v_mul_f64_e32 v[40:41], v[30:31], v[34:35]
	v_mul_f64_e32 v[34:35], v[28:29], v[34:35]
	;; [unrolled: 1-line block ×4, first 2 shown]
	s_barrier_signal -1
	s_barrier_wait -1
	s_delay_alu instid0(VALU_DEP_4) | instskip(NEXT) | instid1(VALU_DEP_4)
	v_fma_f64 v[28:29], v[28:29], v[32:33], -v[40:41]
	v_fmac_f64_e32 v[34:35], v[30:31], v[32:33]
	v_mul_f64_e32 v[30:31], v[10:11], v[18:19]
	v_mul_f64_e32 v[18:19], v[8:9], v[18:19]
	v_fma_f64 v[20:21], v[20:21], v[24:25], -v[42:43]
	v_fmac_f64_e32 v[26:27], v[22:23], v[24:25]
	v_add_f64_e32 v[22:23], 0, v[28:29]
	v_add_f64_e32 v[24:25], 0, v[34:35]
	v_mul_f64_e32 v[28:29], v[6:7], v[14:15]
	v_mul_f64_e32 v[14:15], v[4:5], v[14:15]
	v_fma_f64 v[8:9], v[8:9], v[16:17], -v[30:31]
	v_fmac_f64_e32 v[18:19], v[10:11], v[16:17]
	v_add_f64_e32 v[10:11], v[22:23], v[20:21]
	v_add_f64_e32 v[16:17], v[24:25], v[26:27]
	v_fma_f64 v[4:5], v[4:5], v[12:13], -v[28:29]
	v_fmac_f64_e32 v[14:15], v[6:7], v[12:13]
	s_delay_alu instid0(VALU_DEP_4) | instskip(NEXT) | instid1(VALU_DEP_4)
	v_add_f64_e32 v[6:7], v[10:11], v[8:9]
	v_add_f64_e32 v[8:9], v[16:17], v[18:19]
	s_delay_alu instid0(VALU_DEP_2) | instskip(NEXT) | instid1(VALU_DEP_2)
	v_add_f64_e32 v[4:5], v[6:7], v[4:5]
	v_add_f64_e32 v[6:7], v[8:9], v[14:15]
	ds_store_b128 v179, v[4:7]
	s_wait_dscnt 0x0
	s_barrier_signal -1
	s_barrier_wait -1
	s_and_saveexec_b32 s19, s11
	s_cbranch_execz .LBB126_73
; %bb.72:                               ;   in Loop: Header=BB126_4 Depth=1
	ds_load_b128 v[4:7], v175
	ds_load_b128 v[8:11], v175 offset:16
	s_wait_dscnt 0x1
	v_add_f64_e32 v[0:1], v[0:1], v[4:5]
	v_add_f64_e32 v[2:3], v[2:3], v[6:7]
	s_wait_dscnt 0x0
	s_delay_alu instid0(VALU_DEP_2) | instskip(NEXT) | instid1(VALU_DEP_2)
	v_add_f64_e32 v[8:9], v[0:1], v[8:9]
	v_add_f64_e32 v[10:11], v[2:3], v[10:11]
	ds_load_b128 v[0:3], v175 offset:32
	ds_load_b128 v[4:7], v175 offset:48
	s_wait_dscnt 0x1
	v_add_f64_e32 v[0:1], v[8:9], v[0:1]
	v_add_f64_e32 v[2:3], v[10:11], v[2:3]
	s_wait_dscnt 0x0
	s_delay_alu instid0(VALU_DEP_2) | instskip(NEXT) | instid1(VALU_DEP_2)
	v_add_f64_e32 v[8:9], v[0:1], v[4:5]
	v_add_f64_e32 v[10:11], v[2:3], v[6:7]
	ds_load_b128 v[0:3], v175 offset:64
	;; [unrolled: 9-line block ×3, first 2 shown]
	ds_load_b128 v[4:7], v175 offset:112
	s_wait_dscnt 0x1
	v_add_f64_e32 v[0:1], v[8:9], v[0:1]
	v_add_f64_e32 v[2:3], v[10:11], v[2:3]
	s_wait_dscnt 0x0
	s_delay_alu instid0(VALU_DEP_2) | instskip(NEXT) | instid1(VALU_DEP_2)
	v_add_f64_e32 v[0:1], v[0:1], v[4:5]
	v_add_f64_e32 v[2:3], v[2:3], v[6:7]
.LBB126_73:                             ;   in Loop: Header=BB126_4 Depth=1
	s_or_b32 exec_lo, exec_lo, s19
	s_mul_u64 s[70:71], s[52:53], s[28:29]
	s_and_not1_b32 vcc_lo, exec_lo, s74
	s_lshl_b64 s[70:71], s[70:71], 4
	s_delay_alu instid0(SALU_CYCLE_1)
	s_add_nc_u64 s[70:71], s[50:51], s[70:71]
	s_barrier_signal -1
	s_barrier_wait -1
	s_cbranch_vccnz .LBB126_80
; %bb.74:                               ;   in Loop: Header=BB126_4 Depth=1
	v_lshl_add_u64 v[4:5], s[60:61], 4, v[38:39]
	v_dual_mov_b32 v7, v147 :: v_dual_lshlrev_b32 v6, 4, v144
	v_lshl_add_u64 v[160:161], s[58:59], 4, v[36:37]
	s_mov_b32 s30, 0
	s_delay_alu instid0(VALU_DEP_3) | instskip(SKIP_1) | instid1(VALU_DEP_1)
	v_lshl_add_u64 v[4:5], v[158:159], 4, v[4:5]
	s_mov_b32 s19, s72
	v_lshl_add_u64 v[4:5], v[156:157], 4, v[4:5]
	s_delay_alu instid0(VALU_DEP_1) | instskip(SKIP_1) | instid1(VALU_DEP_1)
	v_add_nc_u64_e32 v[6:7], v[4:5], v[6:7]
	v_lshl_add_u64 v[4:5], s[40:41], 4, v[4:5]
	v_add_nc_u64_e32 v[4:5], s[62:63], v[4:5]
	s_delay_alu instid0(VALU_DEP_3) | instskip(NEXT) | instid1(VALU_DEP_1)
	v_add_nc_u64_e32 v[6:7], s[64:65], v[6:7]
	v_dual_cndmask_b32 v5, v7, v5, s2 :: v_dual_cndmask_b32 v4, v6, v4, s2
	s_branch .LBB126_76
.LBB126_75:                             ;   in Loop: Header=BB126_76 Depth=2
	s_wait_xcnt 0x0
	s_or_b32 exec_lo, exec_lo, s29
	v_mul_f64_e32 v[84:85], v[18:19], v[42:43]
	v_mul_f64_e32 v[42:43], v[16:17], v[42:43]
	;; [unrolled: 1-line block ×4, first 2 shown]
	s_add_co_i32 s19, s19, -1
	s_add_co_i32 s30, s30, 64
	s_cmp_eq_u32 s19, 0
	s_wait_storecnt 0x0
	s_barrier_signal -1
	s_barrier_wait -1
	s_delay_alu instid0(VALU_DEP_4) | instskip(NEXT) | instid1(VALU_DEP_4)
	v_fma_f64 v[16:17], v[16:17], v[40:41], -v[84:85]
	v_fmac_f64_e32 v[42:43], v[18:19], v[40:41]
	v_mul_f64_e32 v[18:19], v[10:11], v[46:47]
	v_mul_f64_e32 v[40:41], v[8:9], v[46:47]
	v_fma_f64 v[12:13], v[12:13], v[48:49], -v[86:87]
	v_fmac_f64_e32 v[50:51], v[14:15], v[48:49]
	v_mul_f64_e32 v[14:15], v[6:7], v[38:39]
	v_add_f64_e32 v[0:1], v[0:1], v[16:17]
	v_add_f64_e32 v[2:3], v[2:3], v[42:43]
	v_mul_f64_e32 v[16:17], v[4:5], v[38:39]
	v_fma_f64 v[8:9], v[8:9], v[44:45], -v[18:19]
	v_fmac_f64_e32 v[40:41], v[10:11], v[44:45]
	v_mul_f64_e32 v[10:11], v[34:35], v[74:75]
	v_fma_f64 v[4:5], v[4:5], v[36:37], -v[14:15]
	v_mul_f64_e32 v[14:15], v[24:25], v[78:79]
	v_add_f64_e32 v[0:1], v[0:1], v[12:13]
	v_add_f64_e32 v[2:3], v[2:3], v[50:51]
	v_mul_f64_e32 v[12:13], v[32:33], v[74:75]
	v_fmac_f64_e32 v[16:17], v[6:7], v[36:37]
	v_mul_f64_e32 v[6:7], v[30:31], v[82:83]
	v_fma_f64 v[10:11], v[32:33], v[72:73], -v[10:11]
	v_fmac_f64_e32 v[14:15], v[26:27], v[76:77]
	v_add_f64_e32 v[0:1], v[0:1], v[8:9]
	v_add_f64_e32 v[2:3], v[2:3], v[40:41]
	v_mul_f64_e32 v[8:9], v[28:29], v[82:83]
	v_fmac_f64_e32 v[12:13], v[34:35], v[72:73]
	v_fma_f64 v[6:7], v[28:29], v[80:81], -v[6:7]
	v_add_f64_e32 v[0:1], v[0:1], v[4:5]
	v_add_f64_e32 v[2:3], v[2:3], v[16:17]
	v_mul_f64_e32 v[4:5], v[26:27], v[78:79]
	v_fmac_f64_e32 v[8:9], v[30:31], v[80:81]
	s_delay_alu instid0(VALU_DEP_4) | instskip(NEXT) | instid1(VALU_DEP_4)
	v_add_f64_e32 v[0:1], v[0:1], v[10:11]
	v_add_f64_e32 v[2:3], v[2:3], v[12:13]
	v_mul_f64_e32 v[10:11], v[22:23], v[70:71]
	v_mul_f64_e32 v[12:13], v[20:21], v[70:71]
	v_fma_f64 v[4:5], v[24:25], v[76:77], -v[4:5]
	v_add_f64_e32 v[0:1], v[0:1], v[6:7]
	v_add_f64_e32 v[2:3], v[2:3], v[8:9]
	v_mul_f64_e32 v[6:7], v[66:67], v[118:119]
	v_mul_f64_e32 v[8:9], v[64:65], v[118:119]
	v_fma_f64 v[10:11], v[20:21], v[68:69], -v[10:11]
	v_fmac_f64_e32 v[12:13], v[22:23], v[68:69]
	v_add_f64_e32 v[0:1], v[0:1], v[4:5]
	v_add_f64_e32 v[2:3], v[2:3], v[14:15]
	v_mul_f64_e32 v[4:5], v[62:63], v[126:127]
	v_mul_f64_e32 v[14:15], v[60:61], v[126:127]
	v_fma_f64 v[6:7], v[64:65], v[116:117], -v[6:7]
	v_fmac_f64_e32 v[8:9], v[66:67], v[116:117]
	;; [unrolled: 6-line block ×8, first 2 shown]
	v_add_f64_e32 v[0:1], v[0:1], v[10:11]
	v_add_f64_e32 v[2:3], v[2:3], v[12:13]
	v_fma_f64 v[4:5], v[92:93], v[132:133], -v[4:5]
	v_fmac_f64_e32 v[14:15], v[94:95], v[132:133]
	s_delay_alu instid0(VALU_DEP_4) | instskip(NEXT) | instid1(VALU_DEP_4)
	v_add_f64_e32 v[0:1], v[0:1], v[6:7]
	v_add_f64_e32 v[2:3], v[2:3], v[8:9]
	s_delay_alu instid0(VALU_DEP_2) | instskip(NEXT) | instid1(VALU_DEP_2)
	v_add_f64_e32 v[0:1], v[0:1], v[4:5]
	v_add_f64_e32 v[2:3], v[2:3], v[14:15]
	v_add_nc_u64_e32 v[4:5], s[44:45], v[162:163]
	s_cbranch_scc1 .LBB126_80
.LBB126_76:                             ;   Parent Loop BB126_4 Depth=1
                                        ; =>  This Inner Loop Header: Depth=2
	s_and_saveexec_b32 s29, s0
	s_cbranch_execz .LBB126_78
; %bb.77:                               ;   in Loop: Header=BB126_76 Depth=2
	s_mul_u64 s[76:77], s[20:21], s[30:31]
	s_delay_alu instid0(SALU_CYCLE_1)
	v_lshl_add_u64 v[6:7], s[76:77], 4, v[160:161]
	global_load_b128 v[6:9], v[6:7], off
	s_wait_loadcnt 0x0
	ds_store_2addr_b64 v185, v[6:7], v[8:9] offset1:1
.LBB126_78:                             ;   in Loop: Header=BB126_76 Depth=2
	s_wait_xcnt 0x0
	s_or_b32 exec_lo, exec_lo, s29
	s_delay_alu instid0(VALU_DEP_1) | instskip(SKIP_3) | instid1(VALU_DEP_1)
	v_add_nc_u64_e32 v[6:7], s[68:69], v[4:5]
	s_wait_dscnt 0x0
	s_barrier_signal -1
	s_barrier_wait -1
	v_add_nc_u64_e32 v[8:9], s[68:69], v[6:7]
	s_delay_alu instid0(VALU_DEP_1)
	v_add_nc_u64_e32 v[34:35], s[68:69], v[8:9]
	s_clause 0x3
	global_load_b128 v[16:19], v[4:5], off
	global_load_b128 v[12:15], v[6:7], off
	;; [unrolled: 1-line block ×4, first 2 shown]
	ds_load_b128 v[20:23], v164
	ds_load_b128 v[40:43], v186
	s_wait_loadcnt_dscnt 0x301
	v_mul_f64_e32 v[26:27], v[18:19], v[22:23]
	v_mul_f64_e32 v[24:25], v[16:17], v[22:23]
	s_wait_loadcnt 0x2
	v_mul_f64_e32 v[30:31], v[14:15], v[22:23]
	v_mul_f64_e32 v[28:29], v[12:13], v[22:23]
	s_wait_loadcnt 0x1
	;; [unrolled: 3-line block ×3, first 2 shown]
	v_mul_f64_e32 v[38:39], v[6:7], v[22:23]
	v_mul_f64_e32 v[54:55], v[4:5], v[22:23]
	v_fma_f64 v[22:23], v[16:17], v[20:21], -v[26:27]
	v_fmac_f64_e32 v[24:25], v[18:19], v[20:21]
	v_fma_f64 v[26:27], v[12:13], v[20:21], -v[30:31]
	v_fmac_f64_e32 v[28:29], v[14:15], v[20:21]
	;; [unrolled: 2-line block ×4, first 2 shown]
	v_add_nc_u64_e32 v[20:21], s[44:45], v[34:35]
	ds_load_b128 v[48:51], v186 offset:16
	ds_load_b128 v[44:47], v186 offset:32
	;; [unrolled: 1-line block ×3, first 2 shown]
	ds_store_b128 v187, v[22:25]
	ds_store_b128 v187, v[26:29] offset:1072
	ds_store_b128 v187, v[30:33] offset:2144
	;; [unrolled: 1-line block ×3, first 2 shown]
	v_add_nc_u64_e32 v[56:57], s[68:69], v[20:21]
	s_wait_dscnt 0x0
	s_barrier_signal -1
	s_barrier_wait -1
	ds_load_b128 v[196:199], v188
	ds_load_b128 v[108:111], v188 offset:16
	ds_load_b128 v[100:103], v188 offset:32
	;; [unrolled: 1-line block ×3, first 2 shown]
	s_wait_dscnt 0x0
	v_add_nc_u64_e32 v[58:59], s[68:69], v[56:57]
	s_barrier_signal -1
	s_barrier_wait -1
	s_delay_alu instid0(VALU_DEP_1)
	v_add_nc_u64_e32 v[66:67], s[68:69], v[58:59]
	s_clause 0x3
	global_load_b128 v[32:35], v[20:21], off
	global_load_b128 v[28:31], v[56:57], off
	;; [unrolled: 1-line block ×4, first 2 shown]
	ds_load_b128 v[52:55], v164
	ds_load_b128 v[72:75], v186 offset:256
	s_wait_loadcnt_dscnt 0x301
	s_wait_xcnt 0x1
	v_mul_f64_e32 v[58:59], v[34:35], v[54:55]
	v_mul_f64_e32 v[56:57], v[32:33], v[54:55]
	s_wait_loadcnt 0x2
	v_mul_f64_e32 v[62:63], v[30:31], v[54:55]
	v_mul_f64_e32 v[60:61], v[28:29], v[54:55]
	s_wait_loadcnt 0x1
	;; [unrolled: 3-line block ×3, first 2 shown]
	v_mul_f64_e32 v[70:71], v[22:23], v[54:55]
	v_mul_f64_e32 v[90:91], v[20:21], v[54:55]
	v_fma_f64 v[54:55], v[32:33], v[52:53], -v[58:59]
	v_fmac_f64_e32 v[56:57], v[34:35], v[52:53]
	v_fma_f64 v[58:59], v[28:29], v[52:53], -v[62:63]
	v_fmac_f64_e32 v[60:61], v[30:31], v[52:53]
	;; [unrolled: 2-line block ×4, first 2 shown]
	v_add_nc_u64_e32 v[52:53], s[44:45], v[66:67]
	ds_load_b128 v[80:83], v186 offset:272
	ds_load_b128 v[76:79], v186 offset:288
	;; [unrolled: 1-line block ×3, first 2 shown]
	ds_store_b128 v187, v[54:57]
	ds_store_b128 v187, v[58:61] offset:1072
	ds_store_b128 v187, v[62:65] offset:2144
	;; [unrolled: 1-line block ×3, first 2 shown]
	v_add_nc_u64_e32 v[92:93], s[68:69], v[52:53]
	s_wait_dscnt 0x0
	s_barrier_signal -1
	s_barrier_wait -1
	ds_load_b128 v[200:203], v188
	ds_load_b128 v[204:207], v188 offset:16
	ds_load_b128 v[208:211], v188 offset:32
	;; [unrolled: 1-line block ×3, first 2 shown]
	s_wait_dscnt 0x0
	v_add_nc_u64_e32 v[94:95], s[68:69], v[92:93]
	s_barrier_signal -1
	s_barrier_wait -1
	s_delay_alu instid0(VALU_DEP_1)
	v_add_nc_u64_e32 v[98:99], s[68:69], v[94:95]
	s_clause 0x2
	global_load_b128 v[64:67], v[52:53], off
	global_load_b128 v[60:63], v[92:93], off
	;; [unrolled: 1-line block ×4, first 2 shown]
	ds_load_b128 v[88:91], v164
	ds_load_b128 v[116:119], v186 offset:512
	v_add_f64_e32 v[200:201], 0, v[200:201]
	v_add_f64_e32 v[202:203], 0, v[202:203]
	s_delay_alu instid0(VALU_DEP_2) | instskip(NEXT) | instid1(VALU_DEP_2)
	v_add_f64_e32 v[200:201], v[200:201], v[204:205]
	v_add_f64_e32 v[202:203], v[202:203], v[206:207]
	s_delay_alu instid0(VALU_DEP_2) | instskip(NEXT) | instid1(VALU_DEP_2)
	v_add_f64_e32 v[200:201], v[200:201], v[208:209]
	v_add_f64_e32 v[202:203], v[202:203], v[210:211]
	s_wait_loadcnt_dscnt 0x301
	s_wait_xcnt 0x1
	v_mul_f64_e32 v[94:95], v[66:67], v[90:91]
	v_mul_f64_e32 v[92:93], v[64:65], v[90:91]
	s_wait_loadcnt 0x2
	v_mul_f64_e32 v[104:105], v[62:63], v[90:91]
	v_mul_f64_e32 v[96:97], v[60:61], v[90:91]
	s_wait_loadcnt 0x1
	;; [unrolled: 3-line block ×3, first 2 shown]
	v_mul_f64_e32 v[114:115], v[58:59], v[90:91]
	v_mul_f64_e32 v[130:131], v[56:57], v[90:91]
	v_fma_f64 v[90:91], v[64:65], v[88:89], -v[94:95]
	v_fmac_f64_e32 v[92:93], v[66:67], v[88:89]
	v_fma_f64 v[94:95], v[60:61], v[88:89], -v[104:105]
	v_fmac_f64_e32 v[96:97], v[62:63], v[88:89]
	;; [unrolled: 2-line block ×4, first 2 shown]
	v_add_nc_u64_e32 v[88:89], s[44:45], v[98:99]
	ds_load_b128 v[124:127], v186 offset:528
	ds_load_b128 v[120:123], v186 offset:544
	;; [unrolled: 1-line block ×3, first 2 shown]
	ds_store_b128 v187, v[90:93]
	ds_store_b128 v187, v[94:97] offset:1072
	ds_store_b128 v187, v[104:107] offset:2144
	;; [unrolled: 1-line block ×3, first 2 shown]
	s_wait_xcnt 0x0
	v_add_nc_u64_e32 v[98:99], s[68:69], v[88:89]
	s_wait_dscnt 0x0
	s_barrier_signal -1
	s_barrier_wait -1
	ds_load_b128 v[216:219], v188
	ds_load_b128 v[220:223], v188 offset:16
	ds_load_b128 v[224:227], v188 offset:32
	;; [unrolled: 1-line block ×3, first 2 shown]
	s_wait_dscnt 0x0
	v_add_nc_u64_e32 v[132:133], s[68:69], v[98:99]
	s_barrier_signal -1
	s_barrier_wait -1
	s_delay_alu instid0(VALU_DEP_1)
	v_add_nc_u64_e32 v[162:163], s[68:69], v[132:133]
	global_load_b128 v[104:107], v[88:89], off
	global_load_b128 v[96:99], v[98:99], off
	;; [unrolled: 1-line block ×4, first 2 shown]
	s_wait_xcnt 0x1
	ds_load_b128 v[132:135], v164
	ds_load_b128 v[128:131], v186 offset:768
	v_add_f64_e32 v[216:217], 0, v[216:217]
	v_add_f64_e32 v[218:219], 0, v[218:219]
	s_delay_alu instid0(VALU_DEP_2) | instskip(NEXT) | instid1(VALU_DEP_2)
	v_add_f64_e32 v[204:205], v[216:217], v[220:221]
	v_add_f64_e32 v[206:207], v[218:219], v[222:223]
	s_delay_alu instid0(VALU_DEP_2) | instskip(NEXT) | instid1(VALU_DEP_2)
	v_add_f64_e32 v[204:205], v[204:205], v[224:225]
	v_add_f64_e32 v[206:207], v[206:207], v[226:227]
	s_wait_loadcnt_dscnt 0x301
	v_mul_f64_e32 v[136:137], v[106:107], v[134:135]
	v_mul_f64_e32 v[234:235], v[104:105], v[134:135]
	s_wait_loadcnt 0x2
	v_mul_f64_e32 v[138:139], v[98:99], v[134:135]
	v_mul_f64_e32 v[238:239], v[96:97], v[134:135]
	s_wait_loadcnt 0x1
	;; [unrolled: 3-line block ×3, first 2 shown]
	v_mul_f64_e32 v[142:143], v[94:95], v[134:135]
	v_mul_f64_e32 v[246:247], v[92:93], v[134:135]
	v_fma_f64 v[232:233], v[104:105], v[132:133], -v[136:137]
	v_fmac_f64_e32 v[234:235], v[106:107], v[132:133]
	v_fma_f64 v[236:237], v[96:97], v[132:133], -v[138:139]
	v_fmac_f64_e32 v[238:239], v[98:99], v[132:133]
	;; [unrolled: 2-line block ×4, first 2 shown]
	ds_load_b128 v[140:143], v186 offset:784
	ds_load_b128 v[136:139], v186 offset:800
	ds_load_b128 v[132:135], v186 offset:816
	ds_store_b128 v187, v[232:235]
	ds_store_b128 v187, v[236:239] offset:1072
	ds_store_b128 v187, v[240:243] offset:2144
	;; [unrolled: 1-line block ×3, first 2 shown]
	s_wait_dscnt 0x0
	s_barrier_signal -1
	s_barrier_wait -1
	ds_load_b128 v[232:235], v188
	v_add_f64_e32 v[236:237], 0, v[196:197]
	v_add_f64_e32 v[238:239], 0, v[198:199]
	ds_load_b128 v[196:199], v188 offset:16
	s_wait_dscnt 0x1
	v_add_f64_e32 v[232:233], 0, v[232:233]
	v_add_f64_e32 v[234:235], 0, v[234:235]
	;; [unrolled: 1-line block ×4, first 2 shown]
	ds_load_b128 v[108:111], v188 offset:32
	s_wait_dscnt 0x1
	v_add_f64_e32 v[196:197], v[232:233], v[196:197]
	v_add_f64_e32 v[198:199], v[234:235], v[198:199]
	;; [unrolled: 1-line block ×4, first 2 shown]
	ds_load_b128 v[100:103], v188 offset:48
	s_wait_dscnt 0x0
	s_barrier_signal -1
	s_barrier_wait -1
	v_add_f64_e32 v[208:209], v[196:197], v[108:109]
	v_add_f64_e32 v[210:211], v[198:199], v[110:111]
	;; [unrolled: 1-line block ×10, first 2 shown]
	ds_store_b128 v194, v[84:87]
	ds_store_b128 v194, v[108:111] offset:256
	ds_store_b128 v194, v[196:199] offset:512
	;; [unrolled: 1-line block ×3, first 2 shown]
	s_wait_dscnt 0x0
	s_barrier_signal -1
	s_barrier_wait -1
	s_wait_xcnt 0x0
	s_and_saveexec_b32 s29, s18
	s_cbranch_execz .LBB126_75
; %bb.79:                               ;   in Loop: Header=BB126_76 Depth=2
	ds_load_b128 v[84:87], v189
	ds_load_b128 v[100:103], v189 offset:16
	s_wait_dscnt 0x0
	v_add_f64_e32 v[108:109], v[100:101], v[84:85]
	v_add_f64_e32 v[110:111], v[102:103], v[86:87]
	ds_load_b128 v[84:87], v189 offset:32
	ds_load_b128 v[100:103], v189 offset:48
	s_wait_dscnt 0x1
	v_add_f64_e32 v[84:85], v[108:109], v[84:85]
	v_add_f64_e32 v[86:87], v[110:111], v[86:87]
	s_wait_dscnt 0x0
	s_delay_alu instid0(VALU_DEP_2) | instskip(NEXT) | instid1(VALU_DEP_2)
	v_add_f64_e32 v[108:109], v[84:85], v[100:101]
	v_add_f64_e32 v[110:111], v[86:87], v[102:103]
	ds_load_b128 v[84:87], v189 offset:64
	ds_load_b128 v[100:103], v189 offset:80
	s_wait_dscnt 0x1
	v_add_f64_e32 v[84:85], v[108:109], v[84:85]
	v_add_f64_e32 v[86:87], v[110:111], v[86:87]
	s_wait_dscnt 0x0
	s_delay_alu instid0(VALU_DEP_2) | instskip(NEXT) | instid1(VALU_DEP_2)
	;; [unrolled: 9-line block ×6, first 2 shown]
	v_add_f64_e32 v[108:109], v[84:85], v[100:101]
	v_add_f64_e32 v[110:111], v[86:87], v[102:103]
	ds_load_b128 v[84:87], v189 offset:224
	ds_load_b128 v[100:103], v190
	s_wait_dscnt 0x1
	v_add_f64_e32 v[84:85], v[108:109], v[84:85]
	v_add_f64_e32 v[86:87], v[110:111], v[86:87]
	s_wait_dscnt 0x0
	s_delay_alu instid0(VALU_DEP_2) | instskip(NEXT) | instid1(VALU_DEP_2)
	v_add_f64_e32 v[84:85], v[84:85], v[100:101]
	v_dual_add_f64 v[86:87], v[86:87], v[102:103] :: v_dual_add_nc_u32 v100, s30, v144
	global_store_b128 v100, v[84:87], s[70:71] scale_offset
	s_branch .LBB126_75
.LBB126_80:                             ;   in Loop: Header=BB126_4 Depth=1
	ds_store_b128 v191, v[0:3]
	s_wait_dscnt 0x0
	s_barrier_signal -1
	s_barrier_wait -1
	s_and_saveexec_b32 s19, s75
	s_cbranch_execz .LBB126_2
; %bb.81:                               ;   in Loop: Header=BB126_4 Depth=1
	ds_load_b128 v[0:3], v145 offset:1072
	ds_load_b128 v[4:7], v145
	s_wait_dscnt 0x0
	v_add_f64_e32 v[8:9], v[0:1], v[4:5]
	v_add_f64_e32 v[10:11], v[2:3], v[6:7]
	ds_load_b128 v[0:3], v145 offset:2144
	ds_load_b128 v[4:7], v145 offset:3216
	s_wait_dscnt 0x1
	v_add_f64_e32 v[0:1], v[8:9], v[0:1]
	v_add_f64_e32 v[2:3], v[10:11], v[2:3]
	s_wait_dscnt 0x0
	s_delay_alu instid0(VALU_DEP_2) | instskip(NEXT) | instid1(VALU_DEP_2)
	v_add_f64_e32 v[0:1], v[0:1], v[4:5]
	v_add_f64_e32 v[2:3], v[2:3], v[6:7]
	v_lshl_add_u64 v[4:5], v[150:151], 4, s[70:71]
	global_store_b128 v[4:5], v[0:3], off
	s_branch .LBB126_2
.LBB126_82:                             ;   in Loop: Header=BB126_4 Depth=1
	ds_load_b128 v[0:3], v170
	s_wait_dscnt 0x0
	ds_store_b128 v169, v[0:3]
	s_or_b32 exec_lo, exec_lo, s19
	s_and_saveexec_b32 s19, s8
	s_cbranch_execz .LBB126_29
.LBB126_83:                             ;   in Loop: Header=BB126_4 Depth=1
	ds_load_b128 v[0:3], v172
	s_wait_dscnt 0x0
	ds_store_b128 v171, v[0:3]
	s_or_b32 exec_lo, exec_lo, s19
	s_and_saveexec_b32 s19, s9
	s_cbranch_execz .LBB126_30
.LBB126_84:                             ;   in Loop: Header=BB126_4 Depth=1
	ds_load_b128 v[0:3], v174
	s_wait_dscnt 0x0
	ds_store_b128 v173, v[0:3]
	s_or_b32 exec_lo, exec_lo, s19
	s_and_saveexec_b32 s19, s10
	s_cbranch_execnz .LBB126_31
	s_branch .LBB126_32
.LBB126_85:                             ;   in Loop: Header=BB126_4 Depth=1
	ds_load_b128 v[6:9], v170
	s_wait_dscnt 0x0
	ds_store_b128 v180, v[6:9]
	s_or_b32 exec_lo, exec_lo, s19
	s_and_saveexec_b32 s19, s8
	s_cbranch_execz .LBB126_50
.LBB126_86:                             ;   in Loop: Header=BB126_4 Depth=1
	ds_load_b128 v[6:9], v172
	s_wait_dscnt 0x0
	ds_store_b128 v181, v[6:9]
	s_or_b32 exec_lo, exec_lo, s19
	s_and_saveexec_b32 s19, s9
	s_cbranch_execz .LBB126_51
.LBB126_87:                             ;   in Loop: Header=BB126_4 Depth=1
	ds_load_b128 v[6:9], v174
	s_wait_dscnt 0x0
	ds_store_b128 v182, v[6:9]
	s_or_b32 exec_lo, exec_lo, s19
	s_and_saveexec_b32 s19, s10
	s_cbranch_execnz .LBB126_52
	s_branch .LBB126_53
.LBB126_88:                             ;   in Loop: Header=BB126_4 Depth=1
	global_load_b128 v[6:9], v[0:1], off
	s_wait_loadcnt 0x0
	ds_store_2addr_b64 v165, v[6:7], v[8:9] offset1:1
	s_wait_xcnt 0x0
	s_or_b32 exec_lo, exec_lo, s19
	s_and_saveexec_b32 s19, s4
	s_delay_alu instid0(SALU_CYCLE_1)
	s_xor_b32 s19, exec_lo, s19
	s_cbranch_execz .LBB126_20
.LBB126_89:                             ;   in Loop: Header=BB126_4 Depth=1
	v_dual_mov_b32 v6, v147 :: v_dual_mov_b32 v7, v147
	v_dual_mov_b32 v8, v147 :: v_dual_mov_b32 v9, v147
	ds_store_b128 v166, v[6:9]
	s_and_not1_saveexec_b32 s19, s19
	s_cbranch_execz .LBB126_21
.LBB126_90:                             ;   in Loop: Header=BB126_4 Depth=1
	v_add_nc_u64_e32 v[2:3], s[42:43], v[0:1]
	global_load_b128 v[6:9], v[2:3], off
	s_wait_loadcnt 0x0
	ds_store_2addr_b64 v166, v[6:7], v[8:9] offset1:1
	s_wait_xcnt 0x0
	s_or_b32 exec_lo, exec_lo, s19
	s_and_saveexec_b32 s19, s5
	s_delay_alu instid0(SALU_CYCLE_1)
	s_xor_b32 s19, exec_lo, s19
	s_cbranch_execz .LBB126_22
.LBB126_91:                             ;   in Loop: Header=BB126_4 Depth=1
	v_dual_mov_b32 v6, v147 :: v_dual_mov_b32 v7, v147
	v_dual_mov_b32 v8, v147 :: v_dual_mov_b32 v9, v147
	ds_store_b128 v167, v[6:9]
	s_and_not1_saveexec_b32 s19, s19
	s_cbranch_execz .LBB126_23
.LBB126_92:                             ;   in Loop: Header=BB126_4 Depth=1
	v_add_nc_u64_e32 v[2:3], s[48:49], v[0:1]
	global_load_b128 v[6:9], v[2:3], off
	s_wait_loadcnt 0x0
	ds_store_2addr_b64 v167, v[6:7], v[8:9] offset1:1
	s_wait_xcnt 0x0
	s_or_b32 exec_lo, exec_lo, s19
	s_and_saveexec_b32 s19, s6
	s_delay_alu instid0(SALU_CYCLE_1)
	s_xor_b32 s19, exec_lo, s19
	s_cbranch_execz .LBB126_24
.LBB126_93:                             ;   in Loop: Header=BB126_4 Depth=1
	v_dual_mov_b32 v6, v147 :: v_dual_mov_b32 v7, v147
	v_dual_mov_b32 v8, v147 :: v_dual_mov_b32 v9, v147
	ds_store_b128 v168, v[6:9]
	s_and_not1_saveexec_b32 s19, s19
	s_cbranch_execnz .LBB126_25
	s_branch .LBB126_26
.LBB126_94:                             ;   in Loop: Header=BB126_4 Depth=1
	global_load_b128 v[8:11], v[6:7], off
	s_wait_loadcnt 0x0
	ds_store_2addr_b64 v165, v[8:9], v[10:11] offset1:1
	s_wait_xcnt 0x0
	s_or_b32 exec_lo, exec_lo, s19
	s_and_saveexec_b32 s19, s14
	s_delay_alu instid0(SALU_CYCLE_1)
	s_xor_b32 s19, exec_lo, s19
	s_cbranch_execz .LBB126_41
.LBB126_95:                             ;   in Loop: Header=BB126_4 Depth=1
	v_dual_mov_b32 v8, v147 :: v_dual_mov_b32 v9, v147
	v_dual_mov_b32 v10, v147 :: v_dual_mov_b32 v11, v147
	ds_store_b128 v166, v[8:11]
	s_and_not1_saveexec_b32 s19, s19
	s_cbranch_execz .LBB126_42
.LBB126_96:                             ;   in Loop: Header=BB126_4 Depth=1
	v_add_nc_u64_e32 v[8:9], s[42:43], v[6:7]
	global_load_b128 v[8:11], v[8:9], off
	s_wait_loadcnt 0x0
	ds_store_2addr_b64 v166, v[8:9], v[10:11] offset1:1
	s_wait_xcnt 0x0
	s_or_b32 exec_lo, exec_lo, s19
	s_and_saveexec_b32 s19, s15
	s_delay_alu instid0(SALU_CYCLE_1)
	s_xor_b32 s19, exec_lo, s19
	s_cbranch_execz .LBB126_43
.LBB126_97:                             ;   in Loop: Header=BB126_4 Depth=1
	v_dual_mov_b32 v8, v147 :: v_dual_mov_b32 v9, v147
	v_dual_mov_b32 v10, v147 :: v_dual_mov_b32 v11, v147
	ds_store_b128 v167, v[8:11]
	s_and_not1_saveexec_b32 s19, s19
	s_cbranch_execz .LBB126_44
.LBB126_98:                             ;   in Loop: Header=BB126_4 Depth=1
	v_add_nc_u64_e32 v[8:9], s[48:49], v[6:7]
	global_load_b128 v[8:11], v[8:9], off
	s_wait_loadcnt 0x0
	ds_store_2addr_b64 v167, v[8:9], v[10:11] offset1:1
	s_wait_xcnt 0x0
	s_or_b32 exec_lo, exec_lo, s19
	s_and_saveexec_b32 s19, s16
	s_delay_alu instid0(SALU_CYCLE_1)
	s_xor_b32 s19, exec_lo, s19
	s_cbranch_execz .LBB126_45
.LBB126_99:                             ;   in Loop: Header=BB126_4 Depth=1
	v_dual_mov_b32 v8, v147 :: v_dual_mov_b32 v9, v147
	v_dual_mov_b32 v10, v147 :: v_dual_mov_b32 v11, v147
	ds_store_b128 v168, v[8:11]
	s_and_not1_saveexec_b32 s19, s19
	s_cbranch_execnz .LBB126_46
	s_branch .LBB126_47
.LBB126_100:                            ;   in Loop: Header=BB126_4 Depth=1
	global_load_b128 v[6:9], v[4:5], off
	s_wait_loadcnt 0x0
	ds_store_2addr_b64 v165, v[6:7], v[8:9] offset1:1
	s_wait_xcnt 0x0
	s_or_b32 exec_lo, exec_lo, s19
	s_and_saveexec_b32 s19, s4
	s_delay_alu instid0(SALU_CYCLE_1)
	s_xor_b32 s19, exec_lo, s19
	s_cbranch_execz .LBB126_62
.LBB126_101:                            ;   in Loop: Header=BB126_4 Depth=1
	v_dual_mov_b32 v6, v147 :: v_dual_mov_b32 v7, v147
	v_dual_mov_b32 v8, v147 :: v_dual_mov_b32 v9, v147
	ds_store_b128 v166, v[6:9]
	s_and_not1_saveexec_b32 s19, s19
	s_cbranch_execz .LBB126_63
.LBB126_102:                            ;   in Loop: Header=BB126_4 Depth=1
	v_add_nc_u64_e32 v[6:7], s[42:43], v[4:5]
	global_load_b128 v[6:9], v[6:7], off
	s_wait_loadcnt 0x0
	ds_store_2addr_b64 v166, v[6:7], v[8:9] offset1:1
	s_wait_xcnt 0x0
	s_or_b32 exec_lo, exec_lo, s19
	s_and_saveexec_b32 s19, s5
	s_delay_alu instid0(SALU_CYCLE_1)
	s_xor_b32 s19, exec_lo, s19
	s_cbranch_execz .LBB126_64
.LBB126_103:                            ;   in Loop: Header=BB126_4 Depth=1
	v_dual_mov_b32 v6, v147 :: v_dual_mov_b32 v7, v147
	v_dual_mov_b32 v8, v147 :: v_dual_mov_b32 v9, v147
	ds_store_b128 v167, v[6:9]
	s_and_not1_saveexec_b32 s19, s19
	s_cbranch_execz .LBB126_65
.LBB126_104:                            ;   in Loop: Header=BB126_4 Depth=1
	v_add_nc_u64_e32 v[6:7], s[48:49], v[4:5]
	global_load_b128 v[6:9], v[6:7], off
	s_wait_loadcnt 0x0
	ds_store_2addr_b64 v167, v[6:7], v[8:9] offset1:1
	s_wait_xcnt 0x0
	s_or_b32 exec_lo, exec_lo, s19
	s_and_saveexec_b32 s19, s6
	s_delay_alu instid0(SALU_CYCLE_1)
	s_xor_b32 s19, exec_lo, s19
	s_cbranch_execz .LBB126_66
.LBB126_105:                            ;   in Loop: Header=BB126_4 Depth=1
	v_dual_mov_b32 v6, v147 :: v_dual_mov_b32 v7, v147
	v_dual_mov_b32 v8, v147 :: v_dual_mov_b32 v9, v147
	ds_store_b128 v168, v[6:9]
	s_and_not1_saveexec_b32 s19, s19
	s_cbranch_execnz .LBB126_67
	s_branch .LBB126_68
.LBB126_106:
	s_sendmsg sendmsg(MSG_DEALLOC_VGPRS)
	s_endpgm
	.section	.rodata,"a",@progbits
	.p2align	6, 0x0
	.amdhsa_kernel _ZL26rocblas_hemvn_kernel_lowerILb0ELi64ELi4ELi33ELi32ELi16ElPK19rocblas_complex_numIdES3_PS1_EviT6_lT7_lT5_lS6_lS7_lS5_lT8_i
		.amdhsa_group_segment_fixed_size 19200
		.amdhsa_private_segment_fixed_size 0
		.amdhsa_kernarg_size 376
		.amdhsa_user_sgpr_count 2
		.amdhsa_user_sgpr_dispatch_ptr 0
		.amdhsa_user_sgpr_queue_ptr 0
		.amdhsa_user_sgpr_kernarg_segment_ptr 1
		.amdhsa_user_sgpr_dispatch_id 0
		.amdhsa_user_sgpr_kernarg_preload_length 0
		.amdhsa_user_sgpr_kernarg_preload_offset 0
		.amdhsa_user_sgpr_private_segment_size 0
		.amdhsa_wavefront_size32 1
		.amdhsa_uses_dynamic_stack 0
		.amdhsa_enable_private_segment 0
		.amdhsa_system_sgpr_workgroup_id_x 1
		.amdhsa_system_sgpr_workgroup_id_y 0
		.amdhsa_system_sgpr_workgroup_id_z 1
		.amdhsa_system_sgpr_workgroup_info 0
		.amdhsa_system_vgpr_workitem_id 1
		.amdhsa_next_free_vgpr 248
		.amdhsa_next_free_sgpr 78
		.amdhsa_named_barrier_count 0
		.amdhsa_reserve_vcc 1
		.amdhsa_float_round_mode_32 0
		.amdhsa_float_round_mode_16_64 0
		.amdhsa_float_denorm_mode_32 3
		.amdhsa_float_denorm_mode_16_64 3
		.amdhsa_fp16_overflow 0
		.amdhsa_memory_ordered 1
		.amdhsa_forward_progress 1
		.amdhsa_inst_pref_size 63
		.amdhsa_round_robin_scheduling 0
		.amdhsa_exception_fp_ieee_invalid_op 0
		.amdhsa_exception_fp_denorm_src 0
		.amdhsa_exception_fp_ieee_div_zero 0
		.amdhsa_exception_fp_ieee_overflow 0
		.amdhsa_exception_fp_ieee_underflow 0
		.amdhsa_exception_fp_ieee_inexact 0
		.amdhsa_exception_int_div_zero 0
	.end_amdhsa_kernel
	.section	.text._ZL26rocblas_hemvn_kernel_lowerILb0ELi64ELi4ELi33ELi32ELi16ElPK19rocblas_complex_numIdES3_PS1_EviT6_lT7_lT5_lS6_lS7_lS5_lT8_i,"axG",@progbits,_ZL26rocblas_hemvn_kernel_lowerILb0ELi64ELi4ELi33ELi32ELi16ElPK19rocblas_complex_numIdES3_PS1_EviT6_lT7_lT5_lS6_lS7_lS5_lT8_i,comdat
.Lfunc_end126:
	.size	_ZL26rocblas_hemvn_kernel_lowerILb0ELi64ELi4ELi33ELi32ELi16ElPK19rocblas_complex_numIdES3_PS1_EviT6_lT7_lT5_lS6_lS7_lS5_lT8_i, .Lfunc_end126-_ZL26rocblas_hemvn_kernel_lowerILb0ELi64ELi4ELi33ELi32ELi16ElPK19rocblas_complex_numIdES3_PS1_EviT6_lT7_lT5_lS6_lS7_lS5_lT8_i
                                        ; -- End function
	.set _ZL26rocblas_hemvn_kernel_lowerILb0ELi64ELi4ELi33ELi32ELi16ElPK19rocblas_complex_numIdES3_PS1_EviT6_lT7_lT5_lS6_lS7_lS5_lT8_i.num_vgpr, 248
	.set _ZL26rocblas_hemvn_kernel_lowerILb0ELi64ELi4ELi33ELi32ELi16ElPK19rocblas_complex_numIdES3_PS1_EviT6_lT7_lT5_lS6_lS7_lS5_lT8_i.num_agpr, 0
	.set _ZL26rocblas_hemvn_kernel_lowerILb0ELi64ELi4ELi33ELi32ELi16ElPK19rocblas_complex_numIdES3_PS1_EviT6_lT7_lT5_lS6_lS7_lS5_lT8_i.numbered_sgpr, 78
	.set _ZL26rocblas_hemvn_kernel_lowerILb0ELi64ELi4ELi33ELi32ELi16ElPK19rocblas_complex_numIdES3_PS1_EviT6_lT7_lT5_lS6_lS7_lS5_lT8_i.num_named_barrier, 0
	.set _ZL26rocblas_hemvn_kernel_lowerILb0ELi64ELi4ELi33ELi32ELi16ElPK19rocblas_complex_numIdES3_PS1_EviT6_lT7_lT5_lS6_lS7_lS5_lT8_i.private_seg_size, 0
	.set _ZL26rocblas_hemvn_kernel_lowerILb0ELi64ELi4ELi33ELi32ELi16ElPK19rocblas_complex_numIdES3_PS1_EviT6_lT7_lT5_lS6_lS7_lS5_lT8_i.uses_vcc, 1
	.set _ZL26rocblas_hemvn_kernel_lowerILb0ELi64ELi4ELi33ELi32ELi16ElPK19rocblas_complex_numIdES3_PS1_EviT6_lT7_lT5_lS6_lS7_lS5_lT8_i.uses_flat_scratch, 0
	.set _ZL26rocblas_hemvn_kernel_lowerILb0ELi64ELi4ELi33ELi32ELi16ElPK19rocblas_complex_numIdES3_PS1_EviT6_lT7_lT5_lS6_lS7_lS5_lT8_i.has_dyn_sized_stack, 0
	.set _ZL26rocblas_hemvn_kernel_lowerILb0ELi64ELi4ELi33ELi32ELi16ElPK19rocblas_complex_numIdES3_PS1_EviT6_lT7_lT5_lS6_lS7_lS5_lT8_i.has_recursion, 0
	.set _ZL26rocblas_hemvn_kernel_lowerILb0ELi64ELi4ELi33ELi32ELi16ElPK19rocblas_complex_numIdES3_PS1_EviT6_lT7_lT5_lS6_lS7_lS5_lT8_i.has_indirect_call, 0
	.section	.AMDGPU.csdata,"",@progbits
; Kernel info:
; codeLenInByte = 8060
; TotalNumSgprs: 80
; NumVgprs: 248
; ScratchSize: 0
; MemoryBound: 0
; FloatMode: 240
; IeeeMode: 1
; LDSByteSize: 19200 bytes/workgroup (compile time only)
; SGPRBlocks: 0
; VGPRBlocks: 15
; NumSGPRsForWavesPerEU: 80
; NumVGPRsForWavesPerEU: 248
; NamedBarCnt: 0
; Occupancy: 4
; WaveLimiterHint : 0
; COMPUTE_PGM_RSRC2:SCRATCH_EN: 0
; COMPUTE_PGM_RSRC2:USER_SGPR: 2
; COMPUTE_PGM_RSRC2:TRAP_HANDLER: 0
; COMPUTE_PGM_RSRC2:TGID_X_EN: 1
; COMPUTE_PGM_RSRC2:TGID_Y_EN: 0
; COMPUTE_PGM_RSRC2:TGID_Z_EN: 1
; COMPUTE_PGM_RSRC2:TIDIG_COMP_CNT: 1
	.section	.text._ZL26rocblas_hemvn_kernel_lowerILb0ELi64ELi4ELi33ELi32ELi16EiPK19rocblas_complex_numIdES3_PS1_EviT6_lT7_lT5_lS6_lS7_lS5_lT8_i,"axG",@progbits,_ZL26rocblas_hemvn_kernel_lowerILb0ELi64ELi4ELi33ELi32ELi16EiPK19rocblas_complex_numIdES3_PS1_EviT6_lT7_lT5_lS6_lS7_lS5_lT8_i,comdat
	.globl	_ZL26rocblas_hemvn_kernel_lowerILb0ELi64ELi4ELi33ELi32ELi16EiPK19rocblas_complex_numIdES3_PS1_EviT6_lT7_lT5_lS6_lS7_lS5_lT8_i ; -- Begin function _ZL26rocblas_hemvn_kernel_lowerILb0ELi64ELi4ELi33ELi32ELi16EiPK19rocblas_complex_numIdES3_PS1_EviT6_lT7_lT5_lS6_lS7_lS5_lT8_i
	.p2align	8
	.type	_ZL26rocblas_hemvn_kernel_lowerILb0ELi64ELi4ELi33ELi32ELi16EiPK19rocblas_complex_numIdES3_PS1_EviT6_lT7_lT5_lS6_lS7_lS5_lT8_i,@function
_ZL26rocblas_hemvn_kernel_lowerILb0ELi64ELi4ELi33ELi32ELi16EiPK19rocblas_complex_numIdES3_PS1_EviT6_lT7_lT5_lS6_lS7_lS5_lT8_i: ; @_ZL26rocblas_hemvn_kernel_lowerILb0ELi64ELi4ELi33ELi32ELi16EiPK19rocblas_complex_numIdES3_PS1_EviT6_lT7_lT5_lS6_lS7_lS5_lT8_i
; %bb.0:
	s_clause 0x1
	s_load_b64 s[2:3], s[0:1], 0x84
	s_load_b32 s33, s[0:1], 0x70
	s_bfe_u32 s4, ttmp6, 0x40014
	s_lshr_b32 s5, ttmp7, 16
	s_add_co_i32 s4, s4, 1
	s_bfe_u32 s6, ttmp6, 0x40008
	s_mul_i32 s7, s5, s4
	s_getreg_b32 s4, hwreg(HW_REG_IB_STS2, 6, 4)
	s_add_co_i32 s6, s6, s7
	s_mov_b32 s35, 0
	s_wait_kmcnt 0x0
	s_lshr_b32 s7, s2, 16
	s_and_b32 s2, s2, 0xffff
	s_and_b32 s3, s3, 0xffff
	s_mul_i32 s2, s7, s2
	s_cmp_eq_u32 s4, 0
	s_mul_i32 s2, s2, s3
	s_cselect_b32 s34, s5, s6
	s_cmp_lg_u32 s2, 0x100
	s_cselect_b32 s2, -1, 0
	s_cmp_ge_u32 s34, s33
	s_cselect_b32 s3, -1, 0
	s_delay_alu instid0(SALU_CYCLE_1) | instskip(NEXT) | instid1(SALU_CYCLE_1)
	s_or_b32 s2, s2, s3
	s_and_b32 vcc_lo, exec_lo, s2
	s_cbranch_vccnz .LBB127_106
; %bb.1:
	s_clause 0x5
	s_load_b32 s2, s[0:1], 0x0
	s_load_b32 s66, s[0:1], 0x28
	s_load_b256 s[20:27], s[0:1], 0x8
	s_load_b128 s[28:31], s[0:1], 0x30
	s_load_b96 s[16:18], s[0:1], 0x40
	s_load_b256 s[36:43], s[0:1], 0x50
	s_add_nc_u64 s[6:7], s[0:1], 0x78
	s_wait_xcnt 0x0
	s_bfe_u32 s1, ttmp6, 0x4000c
	v_bfe_u32 v1, v0, 10, 10
	s_add_co_i32 s1, s1, 1
	s_load_b32 s6, s[6:7], 0x0
	s_and_b32 s0, ttmp6, 15
	s_mul_i32 s1, ttmp9, s1
	v_and_b32_e32 v144, 0x3ff, v0
	s_add_co_i32 s1, s0, s1
	v_dual_lshlrev_b32 v6, 6, v1 :: v_dual_bitop2_b32 v146, 31, v0 bitop3:0x40
	v_mov_b32_e32 v147, 0
	s_wait_xcnt 0x0
	s_mov_b32 s7, s35
	v_cmp_eq_u32_e64 s0, 0, v1
	v_add_nc_u32_e32 v188, 0x4300, v6
	v_lshlrev_b32_e32 v9, 4, v146
	v_sub_nc_u64_e32 v[154:155], 0, v[146:147]
	s_wait_kmcnt 0x0
	s_ashr_i32 s3, s2, 31
	s_ashr_i32 s67, s66, 31
	s_cmp_eq_u32 s4, 0
	v_lshl_or_b32 v12, v146, 9, v9
	s_cselect_b32 s72, ttmp9, s1
	s_lshr_b32 s1, s3, 26
	s_lshl_b32 s52, s72, 6
	s_delay_alu instid0(SALU_CYCLE_1) | instskip(SKIP_3) | instid1(VALU_DEP_1)
	v_dual_add_nc_u32 v7, v6, v144 :: v_dual_add_nc_u32 v148, s52, v144
	s_add_co_i32 s1, s2, s1
	s_add_co_i32 s10, s6, -1
	s_and_not1_b32 s1, s1, 63
	v_dual_lshrrev_b32 v8, 5, v7 :: v_dual_lshlrev_b32 v166, 4, v144
	v_mul_lo_u32 v2, s18, v148
	s_lshl_b64 s[4:5], s[16:17], 4
	s_lshl_b64 s[8:9], s[26:27], 4
	s_delay_alu instid0(VALU_DEP_2)
	v_mad_u32 v4, s66, v8, v146
	s_sub_co_i32 s1, s2, s1
	s_cmp_eq_u32 s72, s10
	v_dual_add_nc_u32 v10, 24, v8 :: v_dual_lshlrev_b32 v11, 2, v8
	s_cselect_b32 s26, s1, 0
	v_lshlrev_b32_e32 v13, 6, v8
	s_cmp_eq_u32 s26, 0
	s_delay_alu instid0(VALU_DEP_4)
	v_ashrrev_i32_e32 v3, 31, v2
	s_cselect_b32 s73, -1, 0
	s_cmp_lg_u32 s26, 0
	s_add_nc_u64 s[4:5], s[30:31], s[4:5]
	s_cselect_b32 s1, -1, 0
	s_ashr_i32 s53, s52, 31
	v_ashrrev_i32_e32 v5, 31, v4
	s_add_nc_u64 s[8:9], s[24:25], s[8:9]
	v_lshl_add_u64 v[150:151], v[2:3], 4, s[4:5]
	s_mul_i32 s4, s2, s72
	s_mul_u64 s[24:25], s[6:7], s[2:3]
	s_lshl_b64 s[2:3], s[52:53], 4
	v_dual_add_nc_u32 v172, v12, v13 :: v_dual_bitop2_b32 v14, 1, v11 bitop3:0x54
	v_or_b32_e32 v12, 2, v11
	s_add_nc_u64 s[2:3], s[8:9], s[2:3]
	s_mul_i32 s54, s66, s52
	v_lshl_add_u64 v[2:3], v[4:5], 4, s[2:3]
	v_mad_u32_u24 v168, 0x210, v8, v9
	v_cmp_lt_u32_e64 s7, v11, v146
	v_mad_u32_u24 v173, 0x840, v8, v9
	v_add_nc_u32_e32 v174, 16, v172
	v_mad_u32_u24 v175, 0x210, v14, v9
	v_or_b32_e32 v9, 3, v11
	v_mul_u32_u24_e32 v11, 33, v146
	s_ashr_i32 s55, s54, 31
	s_ashr_i32 s5, s4, 31
	v_lshl_add_u64 v[152:153], s[54:55], 4, v[2:3]
	v_dual_add_nc_u32 v2, 8, v8 :: v_dual_add_nc_u32 v3, 16, v8
	v_dual_add_nc_u32 v176, 32, v172 :: v_dual_lshlrev_b32 v178, 4, v11
	v_cmp_lt_u32_e64 s10, v9, v146
	v_dual_lshlrev_b32 v9, 4, v8 :: v_dual_bitop2_b32 v11, 32, v146 bitop3:0x54
	s_lshl_b64 s[4:5], s[4:5], 4
	s_sub_co_i32 s16, s26, 32
	s_add_nc_u64 s[30:31], s[42:43], s[4:5]
	v_cmp_le_i32_e64 s4, s26, v2
	v_cmp_le_i32_e64 s14, s16, v2
	v_mul_lo_u32 v2, v1, s66
	v_dual_add_nc_u32 v179, 48, v172 :: v_dual_add_nc_u32 v182, v178, v9
	v_cmp_le_i32_e64 s3, s26, v8
	v_cmp_le_i32_e64 s5, s26, v3
	v_add_nc_u32_e32 v183, v178, v13
	v_cmp_le_i32_e64 s13, s16, v8
	v_cmp_le_i32_e64 s15, s16, v3
	v_cmp_eq_u32_e64 s17, 1, v8
	v_mul_i32_i24_e32 v3, 0xffffffd0, v8
	v_mad_u32_u24 v187, v8, 48, v182
	v_lshrrev_b32_e32 v8, 4, v7
	v_cmp_le_i32_e32 vcc_lo, s26, v144
	v_add_nc_u32_e32 v186, 48, v183
	v_lshl_add_u32 v156, v2, 2, v144
	v_and_b32_e32 v2, 15, v0
	v_sub_nc_u64_e32 v[158:159], 0, v[4:5]
	v_and_b32_e32 v0, 48, v0
	v_lshlrev_b32_e32 v4, 6, v8
	v_dual_mov_b32 v145, v147 :: v_dual_add_nc_u32 v170, 0x2100, v168
	s_and_b32 s1, s1, vcc_lo
	s_lshl_b32 s42, s66, 3
	s_lshl_b32 s44, s66, 4
	s_mul_i32 s46, s66, 24
	v_cmp_gt_i32_e64 s2, s26, v146
	v_cmp_lt_u32_e64 s8, v14, v146
	v_cmp_lt_u32_e64 s9, v12, v146
	v_add_nc_u32_e32 v181, 0x4700, v13
	s_lshl_b32 s48, s66, 5
	s_mul_i32 s52, s18, s52
	v_or_b32_e32 v5, 0xf0, v166
	v_mad_u32_u24 v190, 0x430, v2, v4
	v_mul_i32_i24_e32 v4, 0xffffffd0, v8
	v_dual_lshlrev_b32 v146, 4, v146 :: v_dual_lshlrev_b32 v0, 4, v0
	s_ashr_i32 s43, s42, 31
	s_ashr_i32 s45, s44, 31
	;; [unrolled: 1-line block ×5, first 2 shown]
	s_xor_b32 s19, s1, -1
	s_ashr_i32 s53, s52, 31
	s_cmp_gt_i32 s72, 0
	v_sub_nc_u64_e32 v[160:161], 0, v[144:145]
	v_add_nc_u32_e32 v167, 0x4700, v166
	v_add_nc_u32_e32 v169, 0x1080, v168
	;; [unrolled: 1-line block ×3, first 2 shown]
	v_cmp_le_i32_e64 s6, s26, v10
	v_add_nc_u32_e32 v177, 0x210, v175
	v_add_nc_u32_e32 v180, 0x420, v175
	v_cmp_gt_u32_e64 s11, 32, v7
	v_cmp_gt_i32_e64 s12, s26, v11
	v_cmp_le_i32_e64 s16, s16, v10
	v_dual_add_nc_u32 v184, 16, v183 :: v_dual_add_nc_u32 v185, 32, v183
	s_cselect_b32 s74, -1, 0
	v_dual_ashrrev_i32 v157, 31, v156 :: v_dual_add_nc_u32 v195, v181, v3
	s_lshl_b32 s75, s18, 6
	v_add_nc_u32_e32 v145, 0x4300, v166
	v_mad_u32_u24 v189, 0x10c0, v1, v166
	v_cmp_gt_u32_e64 s18, 64, v7
	v_mad_u32_u24 v191, 0x430, v2, v0
	v_mad_u32_u24 v192, 0x430, v2, v5
	;; [unrolled: 1-line block ×3, first 2 shown]
	v_ashrrev_i32_e32 v149, 31, v148
	v_add_nc_u32_e32 v194, 0x4700, v9
	v_add_nc_u32_e32 v196, v190, v4
	s_sub_nc_u64 s[50:51], 0, s[48:49]
	s_sub_nc_u64 s[52:53], 0, s[52:53]
	;; [unrolled: 1-line block ×3, first 2 shown]
	s_and_b32 s76, s0, s19
	s_lshl_b64 s[56:57], s[66:67], 7
	s_mov_b64 s[58:59], 0xfffffffffffffdf0
	s_mov_b64 s[60:61], 0xfffffffffffffe00
	s_sub_nc_u64 s[62:63], 0, s[26:27]
	s_lshl_b64 s[64:65], s[66:67], 4
	s_mul_u64 s[66:67], s[66:67], 0xd0
	s_branch .LBB127_4
.LBB127_2:                              ;   in Loop: Header=BB127_4 Depth=1
	s_wait_xcnt 0x0
	s_or_b32 exec_lo, exec_lo, s19
.LBB127_3:                              ;   in Loop: Header=BB127_4 Depth=1
	s_add_co_i32 s34, s34, 0x10000
	s_delay_alu instid0(SALU_CYCLE_1)
	s_cmp_lt_u32 s34, s33
	s_cbranch_scc0 .LBB127_106
.LBB127_4:                              ; =>This Loop Header: Depth=1
                                        ;     Child Loop BB127_76 Depth 2
	s_mul_u64 s[68:69], s[22:23], s[34:35]
	s_delay_alu instid0(SALU_CYCLE_1) | instskip(NEXT) | instid1(SALU_CYCLE_1)
	s_lshl_b64 s[68:69], s[68:69], 4
	s_add_nc_u64 s[68:69], s[20:21], s[68:69]
	global_load_b128 v[0:3], v147, s[68:69]
	s_wait_loadcnt 0x0
	v_cmp_neq_f64_e32 vcc_lo, 0, v[0:1]
	v_cmp_neq_f64_e64 s19, 0, v[2:3]
	s_wait_xcnt 0x0
	s_or_b32 s68, vcc_lo, s19
	s_mov_b32 s19, -1
	s_and_b32 vcc_lo, exec_lo, s68
	s_cbranch_vccnz .LBB127_6
; %bb.5:                                ;   in Loop: Header=BB127_4 Depth=1
	s_mul_u64 s[70:71], s[40:41], s[34:35]
	s_delay_alu instid0(SALU_CYCLE_1) | instskip(NEXT) | instid1(SALU_CYCLE_1)
	s_lshl_b64 s[70:71], s[70:71], 4
	s_add_nc_u64 s[70:71], s[38:39], s[70:71]
	global_load_b128 v[0:3], v147, s[70:71]
	s_wait_loadcnt 0x0
	v_cmp_neq_f64_e32 vcc_lo, 1.0, v[0:1]
	v_cmp_neq_f64_e64 s19, 0, v[2:3]
	s_or_b32 s19, vcc_lo, s19
.LBB127_6:                              ;   in Loop: Header=BB127_4 Depth=1
	s_delay_alu instid0(SALU_CYCLE_1)
	s_and_not1_b32 vcc_lo, exec_lo, s19
	s_cbranch_vccnz .LBB127_3
; %bb.7:                                ;   in Loop: Header=BB127_4 Depth=1
	s_and_not1_b32 vcc_lo, exec_lo, s68
	s_cbranch_vccnz .LBB127_3
; %bb.8:                                ;   in Loop: Header=BB127_4 Depth=1
	s_mul_u64 s[68:69], s[36:37], s[34:35]
	s_delay_alu instid0(SALU_CYCLE_1)
	v_lshl_add_u64 v[36:37], s[68:69], 4, v[150:151]
	s_wait_xcnt 0x0
	s_and_saveexec_b32 s19, s0
	s_cbranch_execz .LBB127_13
; %bb.9:                                ;   in Loop: Header=BB127_4 Depth=1
	s_and_saveexec_b32 s68, s1
	s_delay_alu instid0(SALU_CYCLE_1)
	s_xor_b32 s68, exec_lo, s68
; %bb.10:                               ;   in Loop: Header=BB127_4 Depth=1
	v_dual_mov_b32 v0, v147 :: v_dual_mov_b32 v1, v147
	v_dual_mov_b32 v2, v147 :: v_dual_mov_b32 v3, v147
	ds_store_b128 v167, v[0:3]
; %bb.11:                               ;   in Loop: Header=BB127_4 Depth=1
	s_and_not1_saveexec_b32 s68, s68
	s_cbranch_execz .LBB127_13
; %bb.12:                               ;   in Loop: Header=BB127_4 Depth=1
	global_load_b128 v[0:3], v[36:37], off
	s_wait_loadcnt 0x0
	ds_store_2addr_b64 v167, v[0:1], v[2:3] offset1:1
.LBB127_13:                             ;   in Loop: Header=BB127_4 Depth=1
	s_wait_xcnt 0x0
	s_or_b32 exec_lo, exec_lo, s19
	s_mul_u64 s[68:69], s[28:29], s[34:35]
	s_and_not1_b32 vcc_lo, exec_lo, s73
	v_lshl_add_u64 v[4:5], s[68:69], 4, v[152:153]
	s_mov_b32 s19, -1
	s_cbranch_vccnz .LBB127_15
; %bb.14:                               ;   in Loop: Header=BB127_4 Depth=1
	global_load_b128 v[0:3], v[4:5], off
	v_lshl_add_u64 v[6:7], s[42:43], 4, v[4:5]
	s_mov_b32 s19, 0
	s_wait_loadcnt 0x0
	ds_store_2addr_b64 v168, v[0:1], v[2:3] offset1:1
	global_load_b128 v[0:3], v[6:7], off
	s_wait_xcnt 0x0
	v_add_nc_u64_e32 v[6:7], s[56:57], v[6:7]
	s_wait_loadcnt 0x0
	ds_store_2addr_b64 v169, v[0:1], v[2:3] offset1:1
	global_load_b128 v[0:3], v[6:7], off
	s_wait_loadcnt 0x0
	ds_store_2addr_b64 v170, v[0:1], v[2:3] offset1:1
	v_add_nc_u64_e32 v[0:1], s[56:57], v[6:7]
	global_load_b128 v[0:3], v[0:1], off
	s_wait_loadcnt 0x0
	ds_store_2addr_b64 v171, v[0:1], v[2:3] offset1:1
.LBB127_15:                             ;   in Loop: Header=BB127_4 Depth=1
	s_and_not1_b32 vcc_lo, exec_lo, s19
	s_cbranch_vccnz .LBB127_27
; %bb.16:                               ;   in Loop: Header=BB127_4 Depth=1
	s_wait_xcnt 0x0
	s_and_saveexec_b32 s19, s3
	s_delay_alu instid0(SALU_CYCLE_1)
	s_xor_b32 s19, exec_lo, s19
; %bb.17:                               ;   in Loop: Header=BB127_4 Depth=1
	v_dual_mov_b32 v0, v147 :: v_dual_mov_b32 v1, v147
	v_dual_mov_b32 v2, v147 :: v_dual_mov_b32 v3, v147
	ds_store_b128 v168, v[0:3]
; %bb.18:                               ;   in Loop: Header=BB127_4 Depth=1
	s_or_saveexec_b32 s19, s19
	v_lshl_add_u64 v[0:1], v[154:155], 4, v[4:5]
	s_delay_alu instid0(VALU_DEP_1) | instskip(NEXT) | instid1(VALU_DEP_1)
	v_lshl_add_u64 v[0:1], s[26:27], 4, v[0:1]
	v_add_nc_u64_e32 v[0:1], -16, v[0:1]
	s_delay_alu instid0(VALU_DEP_1)
	v_dual_cndmask_b32 v1, v1, v5, s2 :: v_dual_cndmask_b32 v0, v0, v4, s2
	s_xor_b32 exec_lo, exec_lo, s19
	s_cbranch_execnz .LBB127_88
; %bb.19:                               ;   in Loop: Header=BB127_4 Depth=1
	s_or_b32 exec_lo, exec_lo, s19
	s_and_saveexec_b32 s19, s4
	s_delay_alu instid0(SALU_CYCLE_1)
	s_xor_b32 s19, exec_lo, s19
	s_cbranch_execnz .LBB127_89
.LBB127_20:                             ;   in Loop: Header=BB127_4 Depth=1
	s_and_not1_saveexec_b32 s19, s19
	s_cbranch_execnz .LBB127_90
.LBB127_21:                             ;   in Loop: Header=BB127_4 Depth=1
	s_or_b32 exec_lo, exec_lo, s19
	s_and_saveexec_b32 s19, s5
	s_delay_alu instid0(SALU_CYCLE_1)
	s_xor_b32 s19, exec_lo, s19
	s_cbranch_execnz .LBB127_91
.LBB127_22:                             ;   in Loop: Header=BB127_4 Depth=1
	s_and_not1_saveexec_b32 s19, s19
	s_cbranch_execnz .LBB127_92
.LBB127_23:                             ;   in Loop: Header=BB127_4 Depth=1
	s_or_b32 exec_lo, exec_lo, s19
	s_and_saveexec_b32 s19, s6
	s_delay_alu instid0(SALU_CYCLE_1)
	s_xor_b32 s19, exec_lo, s19
	s_cbranch_execnz .LBB127_93
.LBB127_24:                             ;   in Loop: Header=BB127_4 Depth=1
	s_and_not1_saveexec_b32 s19, s19
	s_cbranch_execz .LBB127_26
.LBB127_25:                             ;   in Loop: Header=BB127_4 Depth=1
	v_lshl_add_u64 v[2:3], s[46:47], 4, v[0:1]
	global_load_b128 v[6:9], v[2:3], off
	s_wait_loadcnt 0x0
	ds_store_2addr_b64 v171, v[6:7], v[8:9] offset1:1
.LBB127_26:                             ;   in Loop: Header=BB127_4 Depth=1
	s_wait_xcnt 0x0
	s_or_b32 exec_lo, exec_lo, s19
	v_add_nc_u64_e32 v[0:1], v[0:1], v[146:147]
	s_delay_alu instid0(VALU_DEP_1) | instskip(NEXT) | instid1(VALU_DEP_1)
	v_lshl_add_u64 v[0:1], s[62:63], 4, v[0:1]
	v_add_nc_u64_e32 v[0:1], 16, v[0:1]
	s_delay_alu instid0(VALU_DEP_1)
	v_dual_cndmask_b32 v5, v1, v5, s2 :: v_dual_cndmask_b32 v4, v0, v4, s2
.LBB127_27:                             ;   in Loop: Header=BB127_4 Depth=1
	s_wait_dscnt 0x0
	s_barrier_signal -1
	s_barrier_wait -1
	s_wait_xcnt 0x0
	s_and_saveexec_b32 s19, s7
	s_cbranch_execnz .LBB127_82
; %bb.28:                               ;   in Loop: Header=BB127_4 Depth=1
	s_or_b32 exec_lo, exec_lo, s19
	s_and_saveexec_b32 s19, s8
	s_cbranch_execnz .LBB127_83
.LBB127_29:                             ;   in Loop: Header=BB127_4 Depth=1
	s_or_b32 exec_lo, exec_lo, s19
	s_and_saveexec_b32 s19, s9
	s_cbranch_execnz .LBB127_84
.LBB127_30:                             ;   in Loop: Header=BB127_4 Depth=1
	s_or_b32 exec_lo, exec_lo, s19
	s_and_saveexec_b32 s19, s10
	s_cbranch_execz .LBB127_32
.LBB127_31:                             ;   in Loop: Header=BB127_4 Depth=1
	ds_load_b128 v[0:3], v180
	s_wait_dscnt 0x0
	ds_store_b128 v179, v[0:3]
.LBB127_32:                             ;   in Loop: Header=BB127_4 Depth=1
	s_or_b32 exec_lo, exec_lo, s19
	s_wait_dscnt 0x0
	s_barrier_signal -1
	s_barrier_wait -1
	ds_load_b128 v[0:3], v181
	ds_load_b128 v[6:9], v181 offset:16
	ds_load_b128 v[10:13], v181 offset:32
	;; [unrolled: 1-line block ×3, first 2 shown]
	ds_load_b128 v[18:21], v173
	s_wait_dscnt 0x0
	v_mul_f64_e32 v[22:23], v[2:3], v[20:21]
	v_mul_f64_e32 v[20:21], v[0:1], v[20:21]
	s_delay_alu instid0(VALU_DEP_2) | instskip(NEXT) | instid1(VALU_DEP_2)
	v_fma_f64 v[22:23], v[0:1], v[18:19], -v[22:23]
	v_fmac_f64_e32 v[20:21], v[2:3], v[18:19]
	v_mov_b64_e32 v[0:1], 0
	s_delay_alu instid0(VALU_DEP_3) | instskip(NEXT) | instid1(VALU_DEP_3)
	v_add_f64_e32 v[2:3], 0, v[22:23]
	v_add_f64_e32 v[22:23], 0, v[20:21]
	ds_load_b128 v[18:21], v175
	s_wait_dscnt 0x0
	v_mul_f64_e32 v[24:25], v[8:9], v[20:21]
	s_delay_alu instid0(VALU_DEP_1) | instskip(SKIP_1) | instid1(VALU_DEP_2)
	v_fma_f64 v[24:25], v[6:7], v[18:19], -v[24:25]
	v_mul_f64_e32 v[6:7], v[6:7], v[20:21]
	v_add_f64_e32 v[2:3], v[2:3], v[24:25]
	s_delay_alu instid0(VALU_DEP_2) | instskip(NEXT) | instid1(VALU_DEP_1)
	v_fmac_f64_e32 v[6:7], v[8:9], v[18:19]
	v_add_f64_e32 v[18:19], v[22:23], v[6:7]
	ds_load_b128 v[6:9], v177
	s_wait_dscnt 0x0
	v_mul_f64_e32 v[20:21], v[12:13], v[8:9]
	v_mul_f64_e32 v[8:9], v[10:11], v[8:9]
	s_delay_alu instid0(VALU_DEP_2) | instskip(NEXT) | instid1(VALU_DEP_2)
	v_fma_f64 v[20:21], v[10:11], v[6:7], -v[20:21]
	v_fmac_f64_e32 v[8:9], v[12:13], v[6:7]
	s_delay_alu instid0(VALU_DEP_2) | instskip(NEXT) | instid1(VALU_DEP_2)
	v_add_f64_e32 v[2:3], v[2:3], v[20:21]
	v_add_f64_e32 v[10:11], v[18:19], v[8:9]
	ds_load_b128 v[6:9], v180
	s_wait_dscnt 0x0
	s_barrier_signal -1
	s_barrier_wait -1
	v_mul_f64_e32 v[12:13], v[16:17], v[8:9]
	v_mul_f64_e32 v[8:9], v[14:15], v[8:9]
	s_delay_alu instid0(VALU_DEP_2) | instskip(NEXT) | instid1(VALU_DEP_2)
	v_fma_f64 v[12:13], v[14:15], v[6:7], -v[12:13]
	v_fmac_f64_e32 v[8:9], v[16:17], v[6:7]
	s_delay_alu instid0(VALU_DEP_2) | instskip(NEXT) | instid1(VALU_DEP_2)
	v_add_f64_e32 v[6:7], v[2:3], v[12:13]
	v_add_f64_e32 v[8:9], v[10:11], v[8:9]
	v_mov_b64_e32 v[2:3], 0
	ds_store_b128 v182, v[6:9]
	s_wait_dscnt 0x0
	s_barrier_signal -1
	s_barrier_wait -1
	s_and_saveexec_b32 s19, s11
	s_cbranch_execz .LBB127_34
; %bb.33:                               ;   in Loop: Header=BB127_4 Depth=1
	ds_load_b128 v[0:3], v178
	ds_load_b128 v[6:9], v178 offset:16
	s_wait_dscnt 0x0
	v_add_f64_e32 v[10:11], v[6:7], v[0:1]
	v_add_f64_e32 v[12:13], v[8:9], v[2:3]
	ds_load_b128 v[0:3], v178 offset:32
	ds_load_b128 v[6:9], v178 offset:48
	s_wait_dscnt 0x1
	v_add_f64_e32 v[0:1], v[10:11], v[0:1]
	v_add_f64_e32 v[2:3], v[12:13], v[2:3]
	s_wait_dscnt 0x0
	s_delay_alu instid0(VALU_DEP_2) | instskip(NEXT) | instid1(VALU_DEP_2)
	v_add_f64_e32 v[10:11], v[0:1], v[6:7]
	v_add_f64_e32 v[12:13], v[2:3], v[8:9]
	ds_load_b128 v[0:3], v178 offset:64
	ds_load_b128 v[6:9], v178 offset:80
	s_wait_dscnt 0x1
	v_add_f64_e32 v[0:1], v[10:11], v[0:1]
	v_add_f64_e32 v[2:3], v[12:13], v[2:3]
	s_wait_dscnt 0x0
	s_delay_alu instid0(VALU_DEP_2) | instskip(NEXT) | instid1(VALU_DEP_2)
	;; [unrolled: 9-line block ×3, first 2 shown]
	v_add_f64_e32 v[0:1], v[0:1], v[6:7]
	v_add_f64_e32 v[2:3], v[2:3], v[8:9]
.LBB127_34:                             ;   in Loop: Header=BB127_4 Depth=1
	s_or_b32 exec_lo, exec_lo, s19
	v_lshl_add_u64 v[6:7], s[48:49], 4, v[4:5]
	s_and_not1_b32 vcc_lo, exec_lo, s73
	s_mov_b32 s19, -1
	s_barrier_signal -1
	s_delay_alu instid0(VALU_DEP_1)
	v_add_nc_u64_e32 v[4:5], 0x200, v[6:7]
	s_barrier_wait -1
	s_cbranch_vccnz .LBB127_36
; %bb.35:                               ;   in Loop: Header=BB127_4 Depth=1
	v_lshl_add_u64 v[12:13], s[42:43], 4, v[6:7]
	s_mov_b32 s19, 0
	s_delay_alu instid0(VALU_DEP_1) | instskip(NEXT) | instid1(VALU_DEP_1)
	v_add_nc_u64_e32 v[16:17], s[56:57], v[12:13]
	v_add_nc_u64_e32 v[20:21], s[56:57], v[16:17]
	s_clause 0x3
	global_load_b128 v[8:11], v[4:5], off
	global_load_b128 v[12:15], v[12:13], off offset:512
	global_load_b128 v[16:19], v[16:17], off offset:512
	;; [unrolled: 1-line block ×3, first 2 shown]
	s_wait_loadcnt 0x3
	ds_store_2addr_b64 v168, v[8:9], v[10:11] offset1:1
	s_wait_loadcnt 0x2
	ds_store_2addr_b64 v169, v[12:13], v[14:15] offset1:1
	;; [unrolled: 2-line block ×4, first 2 shown]
.LBB127_36:                             ;   in Loop: Header=BB127_4 Depth=1
	s_and_not1_b32 vcc_lo, exec_lo, s19
	s_cbranch_vccnz .LBB127_48
; %bb.37:                               ;   in Loop: Header=BB127_4 Depth=1
	s_wait_xcnt 0x0
	s_and_saveexec_b32 s19, s13
	s_delay_alu instid0(SALU_CYCLE_1)
	s_xor_b32 s19, exec_lo, s19
; %bb.38:                               ;   in Loop: Header=BB127_4 Depth=1
	v_dual_mov_b32 v8, v147 :: v_dual_mov_b32 v9, v147
	v_dual_mov_b32 v10, v147 :: v_dual_mov_b32 v11, v147
	ds_store_b128 v168, v[8:11]
; %bb.39:                               ;   in Loop: Header=BB127_4 Depth=1
	s_or_saveexec_b32 s19, s19
	v_lshl_add_u64 v[6:7], v[154:155], 4, v[6:7]
	s_delay_alu instid0(VALU_DEP_1) | instskip(NEXT) | instid1(VALU_DEP_1)
	v_lshl_add_u64 v[6:7], s[26:27], 4, v[6:7]
	v_add_nc_u64_e32 v[6:7], -16, v[6:7]
	s_delay_alu instid0(VALU_DEP_1)
	v_dual_cndmask_b32 v7, v7, v5, s12 :: v_dual_cndmask_b32 v6, v6, v4, s12
	s_xor_b32 exec_lo, exec_lo, s19
	s_cbranch_execnz .LBB127_94
; %bb.40:                               ;   in Loop: Header=BB127_4 Depth=1
	s_or_b32 exec_lo, exec_lo, s19
	s_and_saveexec_b32 s19, s14
	s_delay_alu instid0(SALU_CYCLE_1)
	s_xor_b32 s19, exec_lo, s19
	s_cbranch_execnz .LBB127_95
.LBB127_41:                             ;   in Loop: Header=BB127_4 Depth=1
	s_and_not1_saveexec_b32 s19, s19
	s_cbranch_execnz .LBB127_96
.LBB127_42:                             ;   in Loop: Header=BB127_4 Depth=1
	s_or_b32 exec_lo, exec_lo, s19
	s_and_saveexec_b32 s19, s15
	s_delay_alu instid0(SALU_CYCLE_1)
	s_xor_b32 s19, exec_lo, s19
	s_cbranch_execnz .LBB127_97
.LBB127_43:                             ;   in Loop: Header=BB127_4 Depth=1
	s_and_not1_saveexec_b32 s19, s19
	s_cbranch_execnz .LBB127_98
.LBB127_44:                             ;   in Loop: Header=BB127_4 Depth=1
	s_or_b32 exec_lo, exec_lo, s19
	s_and_saveexec_b32 s19, s16
	s_delay_alu instid0(SALU_CYCLE_1)
	s_xor_b32 s19, exec_lo, s19
	s_cbranch_execnz .LBB127_99
.LBB127_45:                             ;   in Loop: Header=BB127_4 Depth=1
	s_and_not1_saveexec_b32 s19, s19
	s_cbranch_execz .LBB127_47
.LBB127_46:                             ;   in Loop: Header=BB127_4 Depth=1
	v_lshl_add_u64 v[8:9], s[46:47], 4, v[6:7]
	global_load_b128 v[8:11], v[8:9], off
	s_wait_loadcnt 0x0
	ds_store_2addr_b64 v171, v[8:9], v[10:11] offset1:1
.LBB127_47:                             ;   in Loop: Header=BB127_4 Depth=1
	s_wait_xcnt 0x0
	s_or_b32 exec_lo, exec_lo, s19
	v_add_nc_u64_e32 v[6:7], v[6:7], v[146:147]
	s_delay_alu instid0(VALU_DEP_1) | instskip(NEXT) | instid1(VALU_DEP_1)
	v_lshl_add_u64 v[6:7], s[62:63], 4, v[6:7]
	v_add_nc_u64_e32 v[6:7], 0x210, v[6:7]
	s_delay_alu instid0(VALU_DEP_1)
	v_dual_cndmask_b32 v5, v7, v5, s12 :: v_dual_cndmask_b32 v4, v6, v4, s12
.LBB127_48:                             ;   in Loop: Header=BB127_4 Depth=1
	s_wait_dscnt 0x0
	s_barrier_signal -1
	s_barrier_wait -1
	s_wait_xcnt 0x0
	s_and_saveexec_b32 s19, s7
	s_cbranch_execnz .LBB127_85
; %bb.49:                               ;   in Loop: Header=BB127_4 Depth=1
	s_or_b32 exec_lo, exec_lo, s19
	s_and_saveexec_b32 s19, s8
	s_cbranch_execnz .LBB127_86
.LBB127_50:                             ;   in Loop: Header=BB127_4 Depth=1
	s_or_b32 exec_lo, exec_lo, s19
	s_and_saveexec_b32 s19, s9
	s_cbranch_execnz .LBB127_87
.LBB127_51:                             ;   in Loop: Header=BB127_4 Depth=1
	s_or_b32 exec_lo, exec_lo, s19
	s_and_saveexec_b32 s19, s10
	s_cbranch_execz .LBB127_53
.LBB127_52:                             ;   in Loop: Header=BB127_4 Depth=1
	ds_load_b128 v[6:9], v180
	s_wait_dscnt 0x0
	ds_store_b128 v186, v[6:9]
.LBB127_53:                             ;   in Loop: Header=BB127_4 Depth=1
	s_or_b32 exec_lo, exec_lo, s19
	s_wait_dscnt 0x0
	s_barrier_signal -1
	s_barrier_wait -1
	ds_load_b128 v[6:9], v173
	ds_load_b128 v[10:13], v181 offset:512
	ds_load_b128 v[14:17], v181 offset:528
	ds_load_b128 v[18:21], v175
	s_wait_dscnt 0x2
	v_mul_f64_e32 v[22:23], v[12:13], v[8:9]
	v_mul_f64_e32 v[28:29], v[10:11], v[8:9]
	s_wait_dscnt 0x0
	v_mul_f64_e32 v[30:31], v[16:17], v[20:21]
	v_mul_f64_e32 v[32:33], v[14:15], v[20:21]
	s_delay_alu instid0(VALU_DEP_4) | instskip(NEXT) | instid1(VALU_DEP_4)
	v_fma_f64 v[34:35], v[10:11], v[6:7], -v[22:23]
	v_fmac_f64_e32 v[28:29], v[12:13], v[6:7]
	ds_load_b128 v[6:9], v177
	ds_load_b128 v[10:13], v181 offset:544
	ds_load_b128 v[20:23], v181 offset:560
	ds_load_b128 v[24:27], v180
	v_fma_f64 v[14:15], v[14:15], v[18:19], -v[30:31]
	v_fmac_f64_e32 v[32:33], v[16:17], v[18:19]
	s_wait_dscnt 0x0
	s_barrier_signal -1
	s_barrier_wait -1
	v_mul_f64_e32 v[38:39], v[12:13], v[8:9]
	v_mul_f64_e32 v[8:9], v[10:11], v[8:9]
	v_add_f64_e32 v[16:17], 0, v[34:35]
	v_add_f64_e32 v[18:19], 0, v[28:29]
	v_mul_f64_e32 v[28:29], v[22:23], v[26:27]
	v_mul_f64_e32 v[26:27], v[20:21], v[26:27]
	v_fma_f64 v[10:11], v[10:11], v[6:7], -v[38:39]
	v_fmac_f64_e32 v[8:9], v[12:13], v[6:7]
	v_add_f64_e32 v[6:7], v[16:17], v[14:15]
	v_add_f64_e32 v[12:13], v[18:19], v[32:33]
	v_fma_f64 v[14:15], v[20:21], v[24:25], -v[28:29]
	v_fmac_f64_e32 v[26:27], v[22:23], v[24:25]
	s_delay_alu instid0(VALU_DEP_4) | instskip(NEXT) | instid1(VALU_DEP_4)
	v_add_f64_e32 v[6:7], v[6:7], v[10:11]
	v_add_f64_e32 v[8:9], v[12:13], v[8:9]
	s_delay_alu instid0(VALU_DEP_2) | instskip(NEXT) | instid1(VALU_DEP_2)
	v_add_f64_e32 v[6:7], v[6:7], v[14:15]
	v_add_f64_e32 v[8:9], v[8:9], v[26:27]
	ds_store_b128 v182, v[6:9]
	s_wait_dscnt 0x0
	s_barrier_signal -1
	s_barrier_wait -1
	s_and_saveexec_b32 s19, s17
	s_cbranch_execz .LBB127_55
; %bb.54:                               ;   in Loop: Header=BB127_4 Depth=1
	ds_load_b128 v[0:3], v178
	ds_load_b128 v[6:9], v178 offset:16
	s_wait_dscnt 0x0
	v_add_f64_e32 v[10:11], v[6:7], v[0:1]
	v_add_f64_e32 v[12:13], v[8:9], v[2:3]
	ds_load_b128 v[0:3], v178 offset:32
	ds_load_b128 v[6:9], v178 offset:48
	s_wait_dscnt 0x1
	v_add_f64_e32 v[0:1], v[10:11], v[0:1]
	v_add_f64_e32 v[2:3], v[12:13], v[2:3]
	s_wait_dscnt 0x0
	s_delay_alu instid0(VALU_DEP_2) | instskip(NEXT) | instid1(VALU_DEP_2)
	v_add_f64_e32 v[10:11], v[0:1], v[6:7]
	v_add_f64_e32 v[12:13], v[2:3], v[8:9]
	ds_load_b128 v[0:3], v178 offset:64
	ds_load_b128 v[6:9], v178 offset:80
	s_wait_dscnt 0x1
	v_add_f64_e32 v[0:1], v[10:11], v[0:1]
	v_add_f64_e32 v[2:3], v[12:13], v[2:3]
	s_wait_dscnt 0x0
	s_delay_alu instid0(VALU_DEP_2) | instskip(NEXT) | instid1(VALU_DEP_2)
	;; [unrolled: 9-line block ×3, first 2 shown]
	v_add_f64_e32 v[0:1], v[0:1], v[6:7]
	v_add_f64_e32 v[2:3], v[2:3], v[8:9]
.LBB127_55:                             ;   in Loop: Header=BB127_4 Depth=1
	s_or_b32 exec_lo, exec_lo, s19
	v_lshl_add_u64 v[38:39], s[50:51], 4, v[4:5]
	s_and_not1_b32 vcc_lo, exec_lo, s73
	s_mov_b32 s19, -1
	s_barrier_signal -1
	s_barrier_wait -1
	s_cbranch_vccnz .LBB127_57
; %bb.56:                               ;   in Loop: Header=BB127_4 Depth=1
	v_lshl_add_u64 v[8:9], s[42:43], 4, v[38:39]
	s_mov_b32 s19, 0
	s_delay_alu instid0(VALU_DEP_1) | instskip(NEXT) | instid1(VALU_DEP_1)
	v_add_nc_u64_e32 v[12:13], s[56:57], v[8:9]
	v_add_nc_u64_e32 v[16:17], s[56:57], v[12:13]
	s_clause 0x3
	global_load_b128 v[4:7], v[38:39], off
	global_load_b128 v[8:11], v[8:9], off
	;; [unrolled: 1-line block ×4, first 2 shown]
	s_wait_loadcnt 0x3
	ds_store_2addr_b64 v168, v[4:5], v[6:7] offset1:1
	s_wait_loadcnt 0x2
	ds_store_2addr_b64 v169, v[8:9], v[10:11] offset1:1
	s_wait_loadcnt 0x1
	ds_store_2addr_b64 v170, v[12:13], v[14:15] offset1:1
	s_wait_loadcnt 0x0
	ds_store_2addr_b64 v171, v[16:17], v[18:19] offset1:1
.LBB127_57:                             ;   in Loop: Header=BB127_4 Depth=1
	s_and_not1_b32 vcc_lo, exec_lo, s19
	s_cbranch_vccnz .LBB127_69
; %bb.58:                               ;   in Loop: Header=BB127_4 Depth=1
	s_wait_xcnt 0x0
	s_and_saveexec_b32 s19, s3
	s_delay_alu instid0(SALU_CYCLE_1)
	s_xor_b32 s19, exec_lo, s19
; %bb.59:                               ;   in Loop: Header=BB127_4 Depth=1
	v_dual_mov_b32 v4, v147 :: v_dual_mov_b32 v5, v147
	v_dual_mov_b32 v6, v147 :: v_dual_mov_b32 v7, v147
	ds_store_b128 v168, v[4:7]
; %bb.60:                               ;   in Loop: Header=BB127_4 Depth=1
	s_or_saveexec_b32 s19, s19
	v_lshl_add_u64 v[4:5], v[154:155], 4, v[38:39]
	s_delay_alu instid0(VALU_DEP_1) | instskip(NEXT) | instid1(VALU_DEP_1)
	v_lshl_add_u64 v[4:5], s[26:27], 4, v[4:5]
	v_add_nc_u64_e32 v[4:5], s[58:59], v[4:5]
	s_delay_alu instid0(VALU_DEP_1)
	v_dual_cndmask_b32 v5, v5, v39, s12 :: v_dual_cndmask_b32 v4, v4, v38, s12
	s_xor_b32 exec_lo, exec_lo, s19
	s_cbranch_execnz .LBB127_100
; %bb.61:                               ;   in Loop: Header=BB127_4 Depth=1
	s_or_b32 exec_lo, exec_lo, s19
	s_and_saveexec_b32 s19, s4
	s_delay_alu instid0(SALU_CYCLE_1)
	s_xor_b32 s19, exec_lo, s19
	s_cbranch_execnz .LBB127_101
.LBB127_62:                             ;   in Loop: Header=BB127_4 Depth=1
	s_and_not1_saveexec_b32 s19, s19
	s_cbranch_execnz .LBB127_102
.LBB127_63:                             ;   in Loop: Header=BB127_4 Depth=1
	s_or_b32 exec_lo, exec_lo, s19
	s_and_saveexec_b32 s19, s5
	s_delay_alu instid0(SALU_CYCLE_1)
	s_xor_b32 s19, exec_lo, s19
	s_cbranch_execnz .LBB127_103
.LBB127_64:                             ;   in Loop: Header=BB127_4 Depth=1
	s_and_not1_saveexec_b32 s19, s19
	s_cbranch_execnz .LBB127_104
.LBB127_65:                             ;   in Loop: Header=BB127_4 Depth=1
	s_or_b32 exec_lo, exec_lo, s19
	s_and_saveexec_b32 s19, s6
	s_delay_alu instid0(SALU_CYCLE_1)
	s_xor_b32 s19, exec_lo, s19
	s_cbranch_execnz .LBB127_105
.LBB127_66:                             ;   in Loop: Header=BB127_4 Depth=1
	s_and_not1_saveexec_b32 s19, s19
	s_cbranch_execz .LBB127_68
.LBB127_67:                             ;   in Loop: Header=BB127_4 Depth=1
	v_lshl_add_u64 v[6:7], s[46:47], 4, v[4:5]
	global_load_b128 v[6:9], v[6:7], off
	s_wait_loadcnt 0x0
	ds_store_2addr_b64 v171, v[6:7], v[8:9] offset1:1
.LBB127_68:                             ;   in Loop: Header=BB127_4 Depth=1
	s_wait_xcnt 0x0
	s_or_b32 exec_lo, exec_lo, s19
	v_add_nc_u64_e32 v[4:5], v[4:5], v[146:147]
	s_delay_alu instid0(VALU_DEP_1) | instskip(NEXT) | instid1(VALU_DEP_1)
	v_lshl_add_u64 v[4:5], s[62:63], 4, v[4:5]
	v_add_nc_u64_e32 v[4:5], 0x210, v[4:5]
	s_delay_alu instid0(VALU_DEP_1)
	v_dual_cndmask_b32 v39, v5, v39, s12 :: v_dual_cndmask_b32 v38, v4, v38, s12
.LBB127_69:                             ;   in Loop: Header=BB127_4 Depth=1
	s_wait_dscnt 0x0
	s_barrier_signal -1
	s_barrier_wait -1
	ds_load_b128 v[4:7], v195
	s_wait_xcnt 0x2
	ds_load_b128 v[8:11], v168
	s_wait_xcnt 0x1
	;; [unrolled: 2-line block ×3, first 2 shown]
	ds_load_b128 v[16:19], v194 offset:384
	ds_load_b128 v[20:23], v194 offset:128
	;; [unrolled: 1-line block ×3, first 2 shown]
	s_wait_dscnt 0x4
	v_mul_f64_e32 v[28:29], v[6:7], v[10:11]
	v_mul_f64_e32 v[30:31], v[4:5], v[10:11]
	s_wait_dscnt 0x1
	v_mul_f64_e32 v[32:33], v[22:23], v[14:15]
	v_mul_f64_e32 v[14:15], v[20:21], v[14:15]
	s_delay_alu instid0(VALU_DEP_4) | instskip(NEXT) | instid1(VALU_DEP_4)
	v_fma_f64 v[28:29], v[4:5], v[8:9], -v[28:29]
	v_fmac_f64_e32 v[30:31], v[6:7], v[8:9]
	ds_load_b128 v[4:7], v170
	ds_load_b128 v[8:11], v171
	v_fma_f64 v[20:21], v[20:21], v[12:13], -v[32:33]
	v_fmac_f64_e32 v[14:15], v[22:23], v[12:13]
	s_wait_dscnt 0x1
	v_mul_f64_e32 v[34:35], v[26:27], v[6:7]
	v_mul_f64_e32 v[6:7], v[24:25], v[6:7]
	v_add_f64_e32 v[12:13], 0, v[28:29]
	v_add_f64_e32 v[22:23], 0, v[30:31]
	s_wait_dscnt 0x0
	v_mul_f64_e32 v[28:29], v[18:19], v[10:11]
	v_mul_f64_e32 v[10:11], v[16:17], v[10:11]
	v_fma_f64 v[24:25], v[24:25], v[4:5], -v[34:35]
	v_fmac_f64_e32 v[6:7], v[26:27], v[4:5]
	v_add_f64_e32 v[4:5], v[12:13], v[20:21]
	v_add_f64_e32 v[12:13], v[22:23], v[14:15]
	v_fma_f64 v[14:15], v[16:17], v[8:9], -v[28:29]
	v_fmac_f64_e32 v[10:11], v[18:19], v[8:9]
	s_delay_alu instid0(VALU_DEP_4) | instskip(NEXT) | instid1(VALU_DEP_4)
	v_add_f64_e32 v[4:5], v[4:5], v[24:25]
	v_add_f64_e32 v[6:7], v[12:13], v[6:7]
	s_delay_alu instid0(VALU_DEP_2) | instskip(NEXT) | instid1(VALU_DEP_2)
	v_add_f64_e32 v[40:41], v[4:5], v[14:15]
	v_add_f64_e32 v[42:43], v[6:7], v[10:11]
	ds_load_b128 v[28:31], v187
	ds_load_b128 v[20:23], v187 offset:16
	ds_load_b128 v[8:11], v187 offset:32
	;; [unrolled: 1-line block ×7, first 2 shown]
	s_wait_dscnt 0x0
	s_barrier_signal -1
	s_barrier_wait -1
	ds_store_b128 v182, v[40:43]
	s_wait_dscnt 0x0
	s_barrier_signal -1
	s_barrier_wait -1
	s_and_saveexec_b32 s19, s17
	s_cbranch_execz .LBB127_71
; %bb.70:                               ;   in Loop: Header=BB127_4 Depth=1
	ds_load_b128 v[40:43], v178
	ds_load_b128 v[44:47], v178 offset:16
	s_wait_dscnt 0x1
	v_add_f64_e32 v[0:1], v[0:1], v[40:41]
	v_add_f64_e32 v[2:3], v[2:3], v[42:43]
	s_wait_dscnt 0x0
	s_delay_alu instid0(VALU_DEP_2) | instskip(NEXT) | instid1(VALU_DEP_2)
	v_add_f64_e32 v[44:45], v[0:1], v[44:45]
	v_add_f64_e32 v[46:47], v[2:3], v[46:47]
	ds_load_b128 v[0:3], v178 offset:32
	ds_load_b128 v[40:43], v178 offset:48
	s_wait_dscnt 0x1
	v_add_f64_e32 v[0:1], v[44:45], v[0:1]
	v_add_f64_e32 v[2:3], v[46:47], v[2:3]
	s_wait_dscnt 0x0
	s_delay_alu instid0(VALU_DEP_2) | instskip(NEXT) | instid1(VALU_DEP_2)
	v_add_f64_e32 v[44:45], v[0:1], v[40:41]
	v_add_f64_e32 v[46:47], v[2:3], v[42:43]
	ds_load_b128 v[0:3], v178 offset:64
	;; [unrolled: 9-line block ×3, first 2 shown]
	ds_load_b128 v[40:43], v178 offset:112
	s_wait_dscnt 0x1
	v_add_f64_e32 v[0:1], v[44:45], v[0:1]
	v_add_f64_e32 v[2:3], v[46:47], v[2:3]
	s_wait_dscnt 0x0
	s_delay_alu instid0(VALU_DEP_2) | instskip(NEXT) | instid1(VALU_DEP_2)
	v_add_f64_e32 v[0:1], v[0:1], v[40:41]
	v_add_f64_e32 v[2:3], v[2:3], v[42:43]
.LBB127_71:                             ;   in Loop: Header=BB127_4 Depth=1
	s_or_b32 exec_lo, exec_lo, s19
	v_mul_f64_e32 v[40:41], v[30:31], v[34:35]
	v_mul_f64_e32 v[34:35], v[28:29], v[34:35]
	;; [unrolled: 1-line block ×4, first 2 shown]
	s_barrier_signal -1
	s_barrier_wait -1
	s_delay_alu instid0(VALU_DEP_4) | instskip(NEXT) | instid1(VALU_DEP_4)
	v_fma_f64 v[28:29], v[28:29], v[32:33], -v[40:41]
	v_fmac_f64_e32 v[34:35], v[30:31], v[32:33]
	v_mul_f64_e32 v[30:31], v[10:11], v[18:19]
	v_mul_f64_e32 v[18:19], v[8:9], v[18:19]
	v_fma_f64 v[20:21], v[20:21], v[24:25], -v[42:43]
	v_fmac_f64_e32 v[26:27], v[22:23], v[24:25]
	v_add_f64_e32 v[22:23], 0, v[28:29]
	v_add_f64_e32 v[24:25], 0, v[34:35]
	v_mul_f64_e32 v[28:29], v[6:7], v[14:15]
	v_mul_f64_e32 v[14:15], v[4:5], v[14:15]
	v_fma_f64 v[8:9], v[8:9], v[16:17], -v[30:31]
	v_fmac_f64_e32 v[18:19], v[10:11], v[16:17]
	v_add_f64_e32 v[10:11], v[22:23], v[20:21]
	v_add_f64_e32 v[16:17], v[24:25], v[26:27]
	v_fma_f64 v[4:5], v[4:5], v[12:13], -v[28:29]
	v_fmac_f64_e32 v[14:15], v[6:7], v[12:13]
	s_delay_alu instid0(VALU_DEP_4) | instskip(NEXT) | instid1(VALU_DEP_4)
	v_add_f64_e32 v[6:7], v[10:11], v[8:9]
	v_add_f64_e32 v[8:9], v[16:17], v[18:19]
	s_delay_alu instid0(VALU_DEP_2) | instskip(NEXT) | instid1(VALU_DEP_2)
	v_add_f64_e32 v[4:5], v[6:7], v[4:5]
	v_add_f64_e32 v[6:7], v[8:9], v[14:15]
	ds_store_b128 v182, v[4:7]
	s_wait_dscnt 0x0
	s_barrier_signal -1
	s_barrier_wait -1
	s_and_saveexec_b32 s19, s11
	s_cbranch_execz .LBB127_73
; %bb.72:                               ;   in Loop: Header=BB127_4 Depth=1
	ds_load_b128 v[4:7], v178
	ds_load_b128 v[8:11], v178 offset:16
	s_wait_dscnt 0x1
	v_add_f64_e32 v[0:1], v[0:1], v[4:5]
	v_add_f64_e32 v[2:3], v[2:3], v[6:7]
	s_wait_dscnt 0x0
	s_delay_alu instid0(VALU_DEP_2) | instskip(NEXT) | instid1(VALU_DEP_2)
	v_add_f64_e32 v[8:9], v[0:1], v[8:9]
	v_add_f64_e32 v[10:11], v[2:3], v[10:11]
	ds_load_b128 v[0:3], v178 offset:32
	ds_load_b128 v[4:7], v178 offset:48
	s_wait_dscnt 0x1
	v_add_f64_e32 v[0:1], v[8:9], v[0:1]
	v_add_f64_e32 v[2:3], v[10:11], v[2:3]
	s_wait_dscnt 0x0
	s_delay_alu instid0(VALU_DEP_2) | instskip(NEXT) | instid1(VALU_DEP_2)
	v_add_f64_e32 v[8:9], v[0:1], v[4:5]
	v_add_f64_e32 v[10:11], v[2:3], v[6:7]
	ds_load_b128 v[0:3], v178 offset:64
	;; [unrolled: 9-line block ×3, first 2 shown]
	ds_load_b128 v[4:7], v178 offset:112
	s_wait_dscnt 0x1
	v_add_f64_e32 v[0:1], v[8:9], v[0:1]
	v_add_f64_e32 v[2:3], v[10:11], v[2:3]
	s_wait_dscnt 0x0
	s_delay_alu instid0(VALU_DEP_2) | instskip(NEXT) | instid1(VALU_DEP_2)
	v_add_f64_e32 v[0:1], v[0:1], v[4:5]
	v_add_f64_e32 v[2:3], v[2:3], v[6:7]
.LBB127_73:                             ;   in Loop: Header=BB127_4 Depth=1
	s_or_b32 exec_lo, exec_lo, s19
	s_mul_u64 s[68:69], s[24:25], s[34:35]
	s_and_not1_b32 vcc_lo, exec_lo, s74
	s_lshl_b64 s[68:69], s[68:69], 4
	s_delay_alu instid0(SALU_CYCLE_1)
	s_add_nc_u64 s[68:69], s[30:31], s[68:69]
	s_barrier_signal -1
	s_barrier_wait -1
	s_cbranch_vccnz .LBB127_80
; %bb.74:                               ;   in Loop: Header=BB127_4 Depth=1
	v_lshl_add_u64 v[4:5], s[54:55], 4, v[38:39]
	v_lshl_add_u64 v[162:163], s[52:53], 4, v[36:37]
	v_mov_b32_e32 v197, v144
	s_mov_b32 s70, 0
	s_mov_b32 s19, s72
	v_lshl_add_u64 v[4:5], v[158:159], 4, v[4:5]
	s_delay_alu instid0(VALU_DEP_1) | instskip(NEXT) | instid1(VALU_DEP_1)
	v_lshl_add_u64 v[4:5], v[156:157], 4, v[4:5]
	v_lshl_add_u64 v[6:7], v[160:161], 4, v[4:5]
	v_add_nc_u64_e32 v[4:5], s[60:61], v[4:5]
	s_delay_alu instid0(VALU_DEP_2) | instskip(NEXT) | instid1(VALU_DEP_1)
	v_lshl_add_u64 v[6:7], s[26:27], 4, v[6:7]
	v_add_nc_u64_e32 v[6:7], s[58:59], v[6:7]
	s_delay_alu instid0(VALU_DEP_1)
	v_dual_cndmask_b32 v5, v5, v7, s1 :: v_dual_cndmask_b32 v4, v4, v6, s1
	s_branch .LBB127_76
.LBB127_75:                             ;   in Loop: Header=BB127_76 Depth=2
	s_wait_xcnt 0x0
	s_or_b32 exec_lo, exec_lo, s71
	v_dual_mul_f64 v[84:85], v[18:19], v[42:43] :: v_dual_add_nc_u32 v197, 64, v197
	v_mul_f64_e32 v[42:43], v[16:17], v[42:43]
	v_mul_f64_e32 v[86:87], v[14:15], v[50:51]
	;; [unrolled: 1-line block ×3, first 2 shown]
	s_add_co_i32 s19, s19, -1
	s_add_co_i32 s70, s70, s75
	s_cmp_eq_u32 s19, 0
	s_wait_storecnt 0x0
	s_barrier_signal -1
	s_barrier_wait -1
	s_delay_alu instid0(VALU_DEP_4) | instskip(NEXT) | instid1(VALU_DEP_4)
	v_fma_f64 v[16:17], v[16:17], v[40:41], -v[84:85]
	v_fmac_f64_e32 v[42:43], v[18:19], v[40:41]
	v_mul_f64_e32 v[18:19], v[10:11], v[46:47]
	v_mul_f64_e32 v[40:41], v[8:9], v[46:47]
	v_fma_f64 v[12:13], v[12:13], v[48:49], -v[86:87]
	v_fmac_f64_e32 v[50:51], v[14:15], v[48:49]
	v_mul_f64_e32 v[14:15], v[6:7], v[38:39]
	v_add_f64_e32 v[0:1], v[0:1], v[16:17]
	v_mul_f64_e32 v[16:17], v[4:5], v[38:39]
	v_add_f64_e32 v[2:3], v[2:3], v[42:43]
	v_fma_f64 v[8:9], v[8:9], v[44:45], -v[18:19]
	v_fmac_f64_e32 v[40:41], v[10:11], v[44:45]
	v_mul_f64_e32 v[10:11], v[34:35], v[74:75]
	v_fma_f64 v[4:5], v[4:5], v[36:37], -v[14:15]
	v_mul_f64_e32 v[14:15], v[24:25], v[78:79]
	v_add_f64_e32 v[0:1], v[0:1], v[12:13]
	v_mul_f64_e32 v[12:13], v[32:33], v[74:75]
	v_add_f64_e32 v[2:3], v[2:3], v[50:51]
	v_fmac_f64_e32 v[16:17], v[6:7], v[36:37]
	v_mul_f64_e32 v[6:7], v[30:31], v[82:83]
	v_fma_f64 v[10:11], v[32:33], v[72:73], -v[10:11]
	v_fmac_f64_e32 v[14:15], v[26:27], v[76:77]
	v_add_f64_e32 v[0:1], v[0:1], v[8:9]
	v_mul_f64_e32 v[8:9], v[28:29], v[82:83]
	v_add_f64_e32 v[2:3], v[2:3], v[40:41]
	v_fmac_f64_e32 v[12:13], v[34:35], v[72:73]
	v_fma_f64 v[6:7], v[28:29], v[80:81], -v[6:7]
	v_add_f64_e32 v[0:1], v[0:1], v[4:5]
	v_mul_f64_e32 v[4:5], v[26:27], v[78:79]
	v_add_f64_e32 v[2:3], v[2:3], v[16:17]
	v_fmac_f64_e32 v[8:9], v[30:31], v[80:81]
	s_delay_alu instid0(VALU_DEP_4) | instskip(SKIP_1) | instid1(VALU_DEP_4)
	v_add_f64_e32 v[0:1], v[0:1], v[10:11]
	v_mul_f64_e32 v[10:11], v[22:23], v[70:71]
	v_add_f64_e32 v[2:3], v[2:3], v[12:13]
	v_mul_f64_e32 v[12:13], v[20:21], v[70:71]
	v_fma_f64 v[4:5], v[24:25], v[76:77], -v[4:5]
	v_add_f64_e32 v[0:1], v[0:1], v[6:7]
	v_mul_f64_e32 v[6:7], v[66:67], v[118:119]
	v_add_f64_e32 v[2:3], v[2:3], v[8:9]
	v_mul_f64_e32 v[8:9], v[64:65], v[118:119]
	v_fma_f64 v[10:11], v[20:21], v[68:69], -v[10:11]
	v_fmac_f64_e32 v[12:13], v[22:23], v[68:69]
	v_add_f64_e32 v[0:1], v[0:1], v[4:5]
	v_mul_f64_e32 v[4:5], v[62:63], v[126:127]
	v_add_f64_e32 v[2:3], v[2:3], v[14:15]
	v_mul_f64_e32 v[14:15], v[60:61], v[126:127]
	v_fma_f64 v[6:7], v[64:65], v[116:117], -v[6:7]
	v_fmac_f64_e32 v[8:9], v[66:67], v[116:117]
	;; [unrolled: 6-line block ×8, first 2 shown]
	v_add_f64_e32 v[0:1], v[0:1], v[10:11]
	v_fma_f64 v[4:5], v[92:93], v[132:133], -v[4:5]
	v_add_f64_e32 v[2:3], v[2:3], v[12:13]
	v_fmac_f64_e32 v[14:15], v[94:95], v[132:133]
	s_delay_alu instid0(VALU_DEP_4) | instskip(NEXT) | instid1(VALU_DEP_3)
	v_add_f64_e32 v[0:1], v[0:1], v[6:7]
	v_add_f64_e32 v[2:3], v[2:3], v[8:9]
	s_delay_alu instid0(VALU_DEP_2) | instskip(SKIP_1) | instid1(VALU_DEP_3)
	v_add_f64_e32 v[0:1], v[0:1], v[4:5]
	v_add_nc_u64_e32 v[4:5], s[66:67], v[164:165]
	v_add_f64_e32 v[2:3], v[2:3], v[14:15]
	s_cbranch_scc1 .LBB127_80
.LBB127_76:                             ;   Parent Loop BB127_4 Depth=1
                                        ; =>  This Inner Loop Header: Depth=2
	s_and_saveexec_b32 s77, s0
	s_cbranch_execz .LBB127_78
; %bb.77:                               ;   in Loop: Header=BB127_76 Depth=2
	s_ashr_i32 s71, s70, 31
	s_delay_alu instid0(SALU_CYCLE_1)
	v_lshl_add_u64 v[6:7], s[70:71], 4, v[162:163]
	global_load_b128 v[6:9], v[6:7], off
	s_wait_loadcnt 0x0
	ds_store_2addr_b64 v145, v[6:7], v[8:9] offset1:1
.LBB127_78:                             ;   in Loop: Header=BB127_76 Depth=2
	s_wait_xcnt 0x0
	s_or_b32 exec_lo, exec_lo, s77
	v_add_nc_u64_e32 v[6:7], s[64:65], v[4:5]
	s_wait_dscnt 0x0
	s_barrier_signal -1
	s_barrier_wait -1
	s_delay_alu instid0(VALU_DEP_1) | instskip(NEXT) | instid1(VALU_DEP_1)
	v_add_nc_u64_e32 v[8:9], s[64:65], v[6:7]
	v_add_nc_u64_e32 v[34:35], s[64:65], v[8:9]
	s_clause 0x3
	global_load_b128 v[16:19], v[4:5], off
	global_load_b128 v[12:15], v[6:7], off
	;; [unrolled: 1-line block ×4, first 2 shown]
	ds_load_b128 v[20:23], v167
	ds_load_b128 v[40:43], v188
	s_wait_loadcnt_dscnt 0x301
	v_mul_f64_e32 v[26:27], v[18:19], v[22:23]
	v_mul_f64_e32 v[24:25], v[16:17], v[22:23]
	s_wait_loadcnt 0x2
	v_mul_f64_e32 v[30:31], v[14:15], v[22:23]
	v_mul_f64_e32 v[28:29], v[12:13], v[22:23]
	s_wait_loadcnt 0x1
	;; [unrolled: 3-line block ×3, first 2 shown]
	v_mul_f64_e32 v[38:39], v[6:7], v[22:23]
	v_mul_f64_e32 v[54:55], v[4:5], v[22:23]
	v_fma_f64 v[22:23], v[16:17], v[20:21], -v[26:27]
	v_fmac_f64_e32 v[24:25], v[18:19], v[20:21]
	v_fma_f64 v[26:27], v[12:13], v[20:21], -v[30:31]
	v_fmac_f64_e32 v[28:29], v[14:15], v[20:21]
	;; [unrolled: 2-line block ×4, first 2 shown]
	v_add_nc_u64_e32 v[20:21], s[66:67], v[34:35]
	ds_load_b128 v[48:51], v188 offset:16
	ds_load_b128 v[44:47], v188 offset:32
	;; [unrolled: 1-line block ×3, first 2 shown]
	ds_store_b128 v189, v[22:25]
	ds_store_b128 v189, v[26:29] offset:1072
	ds_store_b128 v189, v[30:33] offset:2144
	;; [unrolled: 1-line block ×3, first 2 shown]
	v_add_nc_u64_e32 v[56:57], s[64:65], v[20:21]
	s_wait_dscnt 0x0
	s_barrier_signal -1
	s_barrier_wait -1
	ds_load_b128 v[198:201], v190
	ds_load_b128 v[108:111], v190 offset:16
	ds_load_b128 v[100:103], v190 offset:32
	;; [unrolled: 1-line block ×3, first 2 shown]
	s_wait_dscnt 0x0
	v_add_nc_u64_e32 v[58:59], s[64:65], v[56:57]
	s_barrier_signal -1
	s_barrier_wait -1
	s_delay_alu instid0(VALU_DEP_1)
	v_add_nc_u64_e32 v[66:67], s[64:65], v[58:59]
	s_clause 0x3
	global_load_b128 v[32:35], v[20:21], off
	global_load_b128 v[28:31], v[56:57], off
	;; [unrolled: 1-line block ×4, first 2 shown]
	ds_load_b128 v[52:55], v167
	ds_load_b128 v[72:75], v188 offset:256
	s_wait_loadcnt_dscnt 0x301
	s_wait_xcnt 0x1
	v_mul_f64_e32 v[58:59], v[34:35], v[54:55]
	v_mul_f64_e32 v[56:57], v[32:33], v[54:55]
	s_wait_loadcnt 0x2
	v_mul_f64_e32 v[62:63], v[30:31], v[54:55]
	v_mul_f64_e32 v[60:61], v[28:29], v[54:55]
	s_wait_loadcnt 0x1
	;; [unrolled: 3-line block ×3, first 2 shown]
	v_mul_f64_e32 v[70:71], v[22:23], v[54:55]
	v_mul_f64_e32 v[90:91], v[20:21], v[54:55]
	v_fma_f64 v[54:55], v[32:33], v[52:53], -v[58:59]
	v_fmac_f64_e32 v[56:57], v[34:35], v[52:53]
	v_fma_f64 v[58:59], v[28:29], v[52:53], -v[62:63]
	v_fmac_f64_e32 v[60:61], v[30:31], v[52:53]
	;; [unrolled: 2-line block ×4, first 2 shown]
	v_add_nc_u64_e32 v[52:53], s[66:67], v[66:67]
	ds_load_b128 v[80:83], v188 offset:272
	ds_load_b128 v[76:79], v188 offset:288
	;; [unrolled: 1-line block ×3, first 2 shown]
	ds_store_b128 v189, v[54:57]
	ds_store_b128 v189, v[58:61] offset:1072
	ds_store_b128 v189, v[62:65] offset:2144
	;; [unrolled: 1-line block ×3, first 2 shown]
	v_add_nc_u64_e32 v[92:93], s[64:65], v[52:53]
	s_wait_dscnt 0x0
	s_barrier_signal -1
	s_barrier_wait -1
	ds_load_b128 v[202:205], v190
	ds_load_b128 v[206:209], v190 offset:16
	ds_load_b128 v[210:213], v190 offset:32
	;; [unrolled: 1-line block ×3, first 2 shown]
	s_wait_dscnt 0x0
	v_add_nc_u64_e32 v[94:95], s[64:65], v[92:93]
	s_barrier_signal -1
	s_barrier_wait -1
	s_delay_alu instid0(VALU_DEP_1)
	v_add_nc_u64_e32 v[98:99], s[64:65], v[94:95]
	s_clause 0x2
	global_load_b128 v[64:67], v[52:53], off
	global_load_b128 v[60:63], v[92:93], off
	global_load_b128 v[52:55], v[94:95], off
	global_load_b128 v[56:59], v[98:99], off
	ds_load_b128 v[88:91], v167
	ds_load_b128 v[116:119], v188 offset:512
	v_add_f64_e32 v[202:203], 0, v[202:203]
	v_add_f64_e32 v[204:205], 0, v[204:205]
	s_delay_alu instid0(VALU_DEP_2) | instskip(NEXT) | instid1(VALU_DEP_2)
	v_add_f64_e32 v[202:203], v[202:203], v[206:207]
	v_add_f64_e32 v[204:205], v[204:205], v[208:209]
	s_delay_alu instid0(VALU_DEP_2) | instskip(NEXT) | instid1(VALU_DEP_2)
	v_add_f64_e32 v[202:203], v[202:203], v[210:211]
	v_add_f64_e32 v[204:205], v[204:205], v[212:213]
	s_wait_loadcnt_dscnt 0x301
	s_wait_xcnt 0x1
	v_mul_f64_e32 v[94:95], v[66:67], v[90:91]
	v_mul_f64_e32 v[92:93], v[64:65], v[90:91]
	s_wait_loadcnt 0x2
	v_mul_f64_e32 v[104:105], v[62:63], v[90:91]
	v_mul_f64_e32 v[96:97], v[60:61], v[90:91]
	s_wait_loadcnt 0x1
	;; [unrolled: 3-line block ×3, first 2 shown]
	v_mul_f64_e32 v[114:115], v[58:59], v[90:91]
	v_mul_f64_e32 v[130:131], v[56:57], v[90:91]
	v_fma_f64 v[90:91], v[64:65], v[88:89], -v[94:95]
	v_fmac_f64_e32 v[92:93], v[66:67], v[88:89]
	v_fma_f64 v[94:95], v[60:61], v[88:89], -v[104:105]
	v_fmac_f64_e32 v[96:97], v[62:63], v[88:89]
	;; [unrolled: 2-line block ×4, first 2 shown]
	v_add_nc_u64_e32 v[88:89], s[66:67], v[98:99]
	ds_load_b128 v[124:127], v188 offset:528
	ds_load_b128 v[120:123], v188 offset:544
	;; [unrolled: 1-line block ×3, first 2 shown]
	ds_store_b128 v189, v[90:93]
	ds_store_b128 v189, v[94:97] offset:1072
	ds_store_b128 v189, v[104:107] offset:2144
	;; [unrolled: 1-line block ×3, first 2 shown]
	s_wait_xcnt 0x0
	v_add_nc_u64_e32 v[98:99], s[64:65], v[88:89]
	s_wait_dscnt 0x0
	s_barrier_signal -1
	s_barrier_wait -1
	ds_load_b128 v[218:221], v190
	ds_load_b128 v[222:225], v190 offset:16
	ds_load_b128 v[226:229], v190 offset:32
	;; [unrolled: 1-line block ×3, first 2 shown]
	s_wait_dscnt 0x0
	v_add_nc_u64_e32 v[132:133], s[64:65], v[98:99]
	s_barrier_signal -1
	s_barrier_wait -1
	s_delay_alu instid0(VALU_DEP_1)
	v_add_nc_u64_e32 v[164:165], s[64:65], v[132:133]
	global_load_b128 v[104:107], v[88:89], off
	global_load_b128 v[96:99], v[98:99], off
	;; [unrolled: 1-line block ×4, first 2 shown]
	s_wait_xcnt 0x1
	ds_load_b128 v[132:135], v167
	ds_load_b128 v[128:131], v188 offset:768
	v_add_f64_e32 v[218:219], 0, v[218:219]
	v_add_f64_e32 v[220:221], 0, v[220:221]
	s_delay_alu instid0(VALU_DEP_2) | instskip(NEXT) | instid1(VALU_DEP_2)
	v_add_f64_e32 v[206:207], v[218:219], v[222:223]
	v_add_f64_e32 v[208:209], v[220:221], v[224:225]
	s_delay_alu instid0(VALU_DEP_2) | instskip(NEXT) | instid1(VALU_DEP_2)
	v_add_f64_e32 v[206:207], v[206:207], v[226:227]
	v_add_f64_e32 v[208:209], v[208:209], v[228:229]
	s_wait_loadcnt_dscnt 0x301
	v_mul_f64_e32 v[136:137], v[106:107], v[134:135]
	v_mul_f64_e32 v[236:237], v[104:105], v[134:135]
	s_wait_loadcnt 0x2
	v_mul_f64_e32 v[138:139], v[98:99], v[134:135]
	v_mul_f64_e32 v[240:241], v[96:97], v[134:135]
	s_wait_loadcnt 0x1
	;; [unrolled: 3-line block ×3, first 2 shown]
	v_mul_f64_e32 v[142:143], v[94:95], v[134:135]
	v_mul_f64_e32 v[248:249], v[92:93], v[134:135]
	v_fma_f64 v[234:235], v[104:105], v[132:133], -v[136:137]
	v_fmac_f64_e32 v[236:237], v[106:107], v[132:133]
	v_fma_f64 v[238:239], v[96:97], v[132:133], -v[138:139]
	v_fmac_f64_e32 v[240:241], v[98:99], v[132:133]
	;; [unrolled: 2-line block ×4, first 2 shown]
	ds_load_b128 v[140:143], v188 offset:784
	ds_load_b128 v[136:139], v188 offset:800
	;; [unrolled: 1-line block ×3, first 2 shown]
	ds_store_b128 v189, v[234:237]
	ds_store_b128 v189, v[238:241] offset:1072
	ds_store_b128 v189, v[242:245] offset:2144
	;; [unrolled: 1-line block ×3, first 2 shown]
	s_wait_dscnt 0x0
	s_barrier_signal -1
	s_barrier_wait -1
	ds_load_b128 v[234:237], v190
	v_add_f64_e32 v[238:239], 0, v[198:199]
	v_add_f64_e32 v[240:241], 0, v[200:201]
	ds_load_b128 v[198:201], v190 offset:16
	s_wait_dscnt 0x1
	v_add_f64_e32 v[234:235], 0, v[234:235]
	v_add_f64_e32 v[236:237], 0, v[236:237]
	;; [unrolled: 1-line block ×4, first 2 shown]
	ds_load_b128 v[108:111], v190 offset:32
	s_wait_dscnt 0x1
	v_add_f64_e32 v[198:199], v[234:235], v[198:199]
	v_add_f64_e32 v[200:201], v[236:237], v[200:201]
	;; [unrolled: 1-line block ×4, first 2 shown]
	ds_load_b128 v[100:103], v190 offset:48
	s_wait_dscnt 0x0
	s_barrier_signal -1
	s_barrier_wait -1
	v_add_f64_e32 v[210:211], v[198:199], v[108:109]
	v_add_f64_e32 v[212:213], v[200:201], v[110:111]
	;; [unrolled: 1-line block ×10, first 2 shown]
	ds_store_b128 v196, v[84:87]
	ds_store_b128 v196, v[108:111] offset:256
	ds_store_b128 v196, v[198:201] offset:512
	;; [unrolled: 1-line block ×3, first 2 shown]
	s_wait_dscnt 0x0
	s_barrier_signal -1
	s_barrier_wait -1
	s_wait_xcnt 0x0
	s_and_saveexec_b32 s71, s18
	s_cbranch_execz .LBB127_75
; %bb.79:                               ;   in Loop: Header=BB127_76 Depth=2
	ds_load_b128 v[84:87], v191
	ds_load_b128 v[100:103], v191 offset:16
	s_wait_dscnt 0x0
	v_add_f64_e32 v[108:109], v[100:101], v[84:85]
	v_add_f64_e32 v[110:111], v[102:103], v[86:87]
	ds_load_b128 v[84:87], v191 offset:32
	ds_load_b128 v[100:103], v191 offset:48
	s_wait_dscnt 0x1
	v_add_f64_e32 v[84:85], v[108:109], v[84:85]
	v_add_f64_e32 v[86:87], v[110:111], v[86:87]
	s_wait_dscnt 0x0
	s_delay_alu instid0(VALU_DEP_2) | instskip(NEXT) | instid1(VALU_DEP_2)
	v_add_f64_e32 v[108:109], v[84:85], v[100:101]
	v_add_f64_e32 v[110:111], v[86:87], v[102:103]
	ds_load_b128 v[84:87], v191 offset:64
	ds_load_b128 v[100:103], v191 offset:80
	s_wait_dscnt 0x1
	v_add_f64_e32 v[84:85], v[108:109], v[84:85]
	v_add_f64_e32 v[86:87], v[110:111], v[86:87]
	s_wait_dscnt 0x0
	s_delay_alu instid0(VALU_DEP_2) | instskip(NEXT) | instid1(VALU_DEP_2)
	;; [unrolled: 9-line block ×6, first 2 shown]
	v_add_f64_e32 v[108:109], v[84:85], v[100:101]
	v_add_f64_e32 v[110:111], v[86:87], v[102:103]
	ds_load_b128 v[84:87], v191 offset:224
	ds_load_b128 v[100:103], v192
	s_wait_dscnt 0x1
	v_add_f64_e32 v[84:85], v[108:109], v[84:85]
	v_add_f64_e32 v[86:87], v[110:111], v[86:87]
	s_wait_dscnt 0x0
	s_delay_alu instid0(VALU_DEP_2) | instskip(NEXT) | instid1(VALU_DEP_2)
	v_add_f64_e32 v[84:85], v[84:85], v[100:101]
	v_add_f64_e32 v[86:87], v[86:87], v[102:103]
	global_store_b128 v197, v[84:87], s[68:69] scale_offset
	s_branch .LBB127_75
.LBB127_80:                             ;   in Loop: Header=BB127_4 Depth=1
	ds_store_b128 v193, v[0:3]
	s_wait_dscnt 0x0
	s_barrier_signal -1
	s_barrier_wait -1
	s_and_saveexec_b32 s19, s76
	s_cbranch_execz .LBB127_2
; %bb.81:                               ;   in Loop: Header=BB127_4 Depth=1
	ds_load_b128 v[0:3], v166 offset:1072
	ds_load_b128 v[4:7], v166
	s_wait_dscnt 0x0
	v_add_f64_e32 v[8:9], v[0:1], v[4:5]
	v_add_f64_e32 v[10:11], v[2:3], v[6:7]
	ds_load_b128 v[0:3], v166 offset:2144
	ds_load_b128 v[4:7], v166 offset:3216
	s_wait_dscnt 0x1
	v_add_f64_e32 v[0:1], v[8:9], v[0:1]
	v_add_f64_e32 v[2:3], v[10:11], v[2:3]
	s_wait_dscnt 0x0
	s_delay_alu instid0(VALU_DEP_2) | instskip(NEXT) | instid1(VALU_DEP_2)
	v_add_f64_e32 v[0:1], v[0:1], v[4:5]
	v_add_f64_e32 v[2:3], v[2:3], v[6:7]
	v_lshl_add_u64 v[4:5], v[148:149], 4, s[68:69]
	global_store_b128 v[4:5], v[0:3], off
	s_branch .LBB127_2
.LBB127_82:                             ;   in Loop: Header=BB127_4 Depth=1
	ds_load_b128 v[0:3], v173
	s_wait_dscnt 0x0
	ds_store_b128 v172, v[0:3]
	s_or_b32 exec_lo, exec_lo, s19
	s_and_saveexec_b32 s19, s8
	s_cbranch_execz .LBB127_29
.LBB127_83:                             ;   in Loop: Header=BB127_4 Depth=1
	ds_load_b128 v[0:3], v175
	s_wait_dscnt 0x0
	ds_store_b128 v174, v[0:3]
	s_or_b32 exec_lo, exec_lo, s19
	s_and_saveexec_b32 s19, s9
	s_cbranch_execz .LBB127_30
.LBB127_84:                             ;   in Loop: Header=BB127_4 Depth=1
	ds_load_b128 v[0:3], v177
	s_wait_dscnt 0x0
	ds_store_b128 v176, v[0:3]
	s_or_b32 exec_lo, exec_lo, s19
	s_and_saveexec_b32 s19, s10
	s_cbranch_execnz .LBB127_31
	s_branch .LBB127_32
.LBB127_85:                             ;   in Loop: Header=BB127_4 Depth=1
	ds_load_b128 v[6:9], v173
	s_wait_dscnt 0x0
	ds_store_b128 v183, v[6:9]
	s_or_b32 exec_lo, exec_lo, s19
	s_and_saveexec_b32 s19, s8
	s_cbranch_execz .LBB127_50
.LBB127_86:                             ;   in Loop: Header=BB127_4 Depth=1
	ds_load_b128 v[6:9], v175
	s_wait_dscnt 0x0
	ds_store_b128 v184, v[6:9]
	s_or_b32 exec_lo, exec_lo, s19
	s_and_saveexec_b32 s19, s9
	s_cbranch_execz .LBB127_51
.LBB127_87:                             ;   in Loop: Header=BB127_4 Depth=1
	ds_load_b128 v[6:9], v177
	s_wait_dscnt 0x0
	ds_store_b128 v185, v[6:9]
	s_or_b32 exec_lo, exec_lo, s19
	s_and_saveexec_b32 s19, s10
	s_cbranch_execnz .LBB127_52
	s_branch .LBB127_53
.LBB127_88:                             ;   in Loop: Header=BB127_4 Depth=1
	global_load_b128 v[6:9], v[0:1], off
	s_wait_loadcnt 0x0
	ds_store_2addr_b64 v168, v[6:7], v[8:9] offset1:1
	s_wait_xcnt 0x0
	s_or_b32 exec_lo, exec_lo, s19
	s_and_saveexec_b32 s19, s4
	s_delay_alu instid0(SALU_CYCLE_1)
	s_xor_b32 s19, exec_lo, s19
	s_cbranch_execz .LBB127_20
.LBB127_89:                             ;   in Loop: Header=BB127_4 Depth=1
	v_dual_mov_b32 v6, v147 :: v_dual_mov_b32 v7, v147
	v_dual_mov_b32 v8, v147 :: v_dual_mov_b32 v9, v147
	ds_store_b128 v169, v[6:9]
	s_and_not1_saveexec_b32 s19, s19
	s_cbranch_execz .LBB127_21
.LBB127_90:                             ;   in Loop: Header=BB127_4 Depth=1
	v_lshl_add_u64 v[2:3], s[42:43], 4, v[0:1]
	global_load_b128 v[6:9], v[2:3], off
	s_wait_loadcnt 0x0
	ds_store_2addr_b64 v169, v[6:7], v[8:9] offset1:1
	s_wait_xcnt 0x0
	s_or_b32 exec_lo, exec_lo, s19
	s_and_saveexec_b32 s19, s5
	s_delay_alu instid0(SALU_CYCLE_1)
	s_xor_b32 s19, exec_lo, s19
	s_cbranch_execz .LBB127_22
.LBB127_91:                             ;   in Loop: Header=BB127_4 Depth=1
	v_dual_mov_b32 v6, v147 :: v_dual_mov_b32 v7, v147
	v_dual_mov_b32 v8, v147 :: v_dual_mov_b32 v9, v147
	ds_store_b128 v170, v[6:9]
	s_and_not1_saveexec_b32 s19, s19
	s_cbranch_execz .LBB127_23
.LBB127_92:                             ;   in Loop: Header=BB127_4 Depth=1
	v_lshl_add_u64 v[2:3], s[44:45], 4, v[0:1]
	global_load_b128 v[6:9], v[2:3], off
	s_wait_loadcnt 0x0
	ds_store_2addr_b64 v170, v[6:7], v[8:9] offset1:1
	s_wait_xcnt 0x0
	s_or_b32 exec_lo, exec_lo, s19
	s_and_saveexec_b32 s19, s6
	s_delay_alu instid0(SALU_CYCLE_1)
	s_xor_b32 s19, exec_lo, s19
	s_cbranch_execz .LBB127_24
.LBB127_93:                             ;   in Loop: Header=BB127_4 Depth=1
	v_dual_mov_b32 v6, v147 :: v_dual_mov_b32 v7, v147
	v_dual_mov_b32 v8, v147 :: v_dual_mov_b32 v9, v147
	ds_store_b128 v171, v[6:9]
	s_and_not1_saveexec_b32 s19, s19
	s_cbranch_execnz .LBB127_25
	s_branch .LBB127_26
.LBB127_94:                             ;   in Loop: Header=BB127_4 Depth=1
	global_load_b128 v[8:11], v[6:7], off
	s_wait_loadcnt 0x0
	ds_store_2addr_b64 v168, v[8:9], v[10:11] offset1:1
	s_wait_xcnt 0x0
	s_or_b32 exec_lo, exec_lo, s19
	s_and_saveexec_b32 s19, s14
	s_delay_alu instid0(SALU_CYCLE_1)
	s_xor_b32 s19, exec_lo, s19
	s_cbranch_execz .LBB127_41
.LBB127_95:                             ;   in Loop: Header=BB127_4 Depth=1
	v_dual_mov_b32 v8, v147 :: v_dual_mov_b32 v9, v147
	v_dual_mov_b32 v10, v147 :: v_dual_mov_b32 v11, v147
	ds_store_b128 v169, v[8:11]
	s_and_not1_saveexec_b32 s19, s19
	s_cbranch_execz .LBB127_42
.LBB127_96:                             ;   in Loop: Header=BB127_4 Depth=1
	v_lshl_add_u64 v[8:9], s[42:43], 4, v[6:7]
	global_load_b128 v[8:11], v[8:9], off
	s_wait_loadcnt 0x0
	ds_store_2addr_b64 v169, v[8:9], v[10:11] offset1:1
	s_wait_xcnt 0x0
	s_or_b32 exec_lo, exec_lo, s19
	s_and_saveexec_b32 s19, s15
	s_delay_alu instid0(SALU_CYCLE_1)
	s_xor_b32 s19, exec_lo, s19
	s_cbranch_execz .LBB127_43
.LBB127_97:                             ;   in Loop: Header=BB127_4 Depth=1
	v_dual_mov_b32 v8, v147 :: v_dual_mov_b32 v9, v147
	v_dual_mov_b32 v10, v147 :: v_dual_mov_b32 v11, v147
	ds_store_b128 v170, v[8:11]
	s_and_not1_saveexec_b32 s19, s19
	s_cbranch_execz .LBB127_44
.LBB127_98:                             ;   in Loop: Header=BB127_4 Depth=1
	v_lshl_add_u64 v[8:9], s[44:45], 4, v[6:7]
	global_load_b128 v[8:11], v[8:9], off
	s_wait_loadcnt 0x0
	ds_store_2addr_b64 v170, v[8:9], v[10:11] offset1:1
	s_wait_xcnt 0x0
	s_or_b32 exec_lo, exec_lo, s19
	s_and_saveexec_b32 s19, s16
	s_delay_alu instid0(SALU_CYCLE_1)
	s_xor_b32 s19, exec_lo, s19
	s_cbranch_execz .LBB127_45
.LBB127_99:                             ;   in Loop: Header=BB127_4 Depth=1
	v_dual_mov_b32 v8, v147 :: v_dual_mov_b32 v9, v147
	v_dual_mov_b32 v10, v147 :: v_dual_mov_b32 v11, v147
	ds_store_b128 v171, v[8:11]
	s_and_not1_saveexec_b32 s19, s19
	s_cbranch_execnz .LBB127_46
	s_branch .LBB127_47
.LBB127_100:                            ;   in Loop: Header=BB127_4 Depth=1
	global_load_b128 v[6:9], v[4:5], off
	s_wait_loadcnt 0x0
	ds_store_2addr_b64 v168, v[6:7], v[8:9] offset1:1
	s_wait_xcnt 0x0
	s_or_b32 exec_lo, exec_lo, s19
	s_and_saveexec_b32 s19, s4
	s_delay_alu instid0(SALU_CYCLE_1)
	s_xor_b32 s19, exec_lo, s19
	s_cbranch_execz .LBB127_62
.LBB127_101:                            ;   in Loop: Header=BB127_4 Depth=1
	v_dual_mov_b32 v6, v147 :: v_dual_mov_b32 v7, v147
	v_dual_mov_b32 v8, v147 :: v_dual_mov_b32 v9, v147
	ds_store_b128 v169, v[6:9]
	s_and_not1_saveexec_b32 s19, s19
	s_cbranch_execz .LBB127_63
.LBB127_102:                            ;   in Loop: Header=BB127_4 Depth=1
	v_lshl_add_u64 v[6:7], s[42:43], 4, v[4:5]
	global_load_b128 v[6:9], v[6:7], off
	s_wait_loadcnt 0x0
	ds_store_2addr_b64 v169, v[6:7], v[8:9] offset1:1
	s_wait_xcnt 0x0
	s_or_b32 exec_lo, exec_lo, s19
	s_and_saveexec_b32 s19, s5
	s_delay_alu instid0(SALU_CYCLE_1)
	s_xor_b32 s19, exec_lo, s19
	s_cbranch_execz .LBB127_64
.LBB127_103:                            ;   in Loop: Header=BB127_4 Depth=1
	v_dual_mov_b32 v6, v147 :: v_dual_mov_b32 v7, v147
	v_dual_mov_b32 v8, v147 :: v_dual_mov_b32 v9, v147
	ds_store_b128 v170, v[6:9]
	s_and_not1_saveexec_b32 s19, s19
	s_cbranch_execz .LBB127_65
.LBB127_104:                            ;   in Loop: Header=BB127_4 Depth=1
	v_lshl_add_u64 v[6:7], s[44:45], 4, v[4:5]
	global_load_b128 v[6:9], v[6:7], off
	s_wait_loadcnt 0x0
	ds_store_2addr_b64 v170, v[6:7], v[8:9] offset1:1
	s_wait_xcnt 0x0
	s_or_b32 exec_lo, exec_lo, s19
	s_and_saveexec_b32 s19, s6
	s_delay_alu instid0(SALU_CYCLE_1)
	s_xor_b32 s19, exec_lo, s19
	s_cbranch_execz .LBB127_66
.LBB127_105:                            ;   in Loop: Header=BB127_4 Depth=1
	v_dual_mov_b32 v6, v147 :: v_dual_mov_b32 v7, v147
	v_dual_mov_b32 v8, v147 :: v_dual_mov_b32 v9, v147
	ds_store_b128 v171, v[6:9]
	s_and_not1_saveexec_b32 s19, s19
	s_cbranch_execnz .LBB127_67
	s_branch .LBB127_68
.LBB127_106:
	s_sendmsg sendmsg(MSG_DEALLOC_VGPRS)
	s_endpgm
	.section	.rodata,"a",@progbits
	.p2align	6, 0x0
	.amdhsa_kernel _ZL26rocblas_hemvn_kernel_lowerILb0ELi64ELi4ELi33ELi32ELi16EiPK19rocblas_complex_numIdES3_PS1_EviT6_lT7_lT5_lS6_lS7_lS5_lT8_i
		.amdhsa_group_segment_fixed_size 19200
		.amdhsa_private_segment_fixed_size 0
		.amdhsa_kernarg_size 376
		.amdhsa_user_sgpr_count 2
		.amdhsa_user_sgpr_dispatch_ptr 0
		.amdhsa_user_sgpr_queue_ptr 0
		.amdhsa_user_sgpr_kernarg_segment_ptr 1
		.amdhsa_user_sgpr_dispatch_id 0
		.amdhsa_user_sgpr_kernarg_preload_length 0
		.amdhsa_user_sgpr_kernarg_preload_offset 0
		.amdhsa_user_sgpr_private_segment_size 0
		.amdhsa_wavefront_size32 1
		.amdhsa_uses_dynamic_stack 0
		.amdhsa_enable_private_segment 0
		.amdhsa_system_sgpr_workgroup_id_x 1
		.amdhsa_system_sgpr_workgroup_id_y 0
		.amdhsa_system_sgpr_workgroup_id_z 1
		.amdhsa_system_sgpr_workgroup_info 0
		.amdhsa_system_vgpr_workitem_id 1
		.amdhsa_next_free_vgpr 250
		.amdhsa_next_free_sgpr 78
		.amdhsa_named_barrier_count 0
		.amdhsa_reserve_vcc 1
		.amdhsa_float_round_mode_32 0
		.amdhsa_float_round_mode_16_64 0
		.amdhsa_float_denorm_mode_32 3
		.amdhsa_float_denorm_mode_16_64 3
		.amdhsa_fp16_overflow 0
		.amdhsa_memory_ordered 1
		.amdhsa_forward_progress 1
		.amdhsa_inst_pref_size 64
		.amdhsa_round_robin_scheduling 0
		.amdhsa_exception_fp_ieee_invalid_op 0
		.amdhsa_exception_fp_denorm_src 0
		.amdhsa_exception_fp_ieee_div_zero 0
		.amdhsa_exception_fp_ieee_overflow 0
		.amdhsa_exception_fp_ieee_underflow 0
		.amdhsa_exception_fp_ieee_inexact 0
		.amdhsa_exception_int_div_zero 0
	.end_amdhsa_kernel
	.section	.text._ZL26rocblas_hemvn_kernel_lowerILb0ELi64ELi4ELi33ELi32ELi16EiPK19rocblas_complex_numIdES3_PS1_EviT6_lT7_lT5_lS6_lS7_lS5_lT8_i,"axG",@progbits,_ZL26rocblas_hemvn_kernel_lowerILb0ELi64ELi4ELi33ELi32ELi16EiPK19rocblas_complex_numIdES3_PS1_EviT6_lT7_lT5_lS6_lS7_lS5_lT8_i,comdat
.Lfunc_end127:
	.size	_ZL26rocblas_hemvn_kernel_lowerILb0ELi64ELi4ELi33ELi32ELi16EiPK19rocblas_complex_numIdES3_PS1_EviT6_lT7_lT5_lS6_lS7_lS5_lT8_i, .Lfunc_end127-_ZL26rocblas_hemvn_kernel_lowerILb0ELi64ELi4ELi33ELi32ELi16EiPK19rocblas_complex_numIdES3_PS1_EviT6_lT7_lT5_lS6_lS7_lS5_lT8_i
                                        ; -- End function
	.set _ZL26rocblas_hemvn_kernel_lowerILb0ELi64ELi4ELi33ELi32ELi16EiPK19rocblas_complex_numIdES3_PS1_EviT6_lT7_lT5_lS6_lS7_lS5_lT8_i.num_vgpr, 250
	.set _ZL26rocblas_hemvn_kernel_lowerILb0ELi64ELi4ELi33ELi32ELi16EiPK19rocblas_complex_numIdES3_PS1_EviT6_lT7_lT5_lS6_lS7_lS5_lT8_i.num_agpr, 0
	.set _ZL26rocblas_hemvn_kernel_lowerILb0ELi64ELi4ELi33ELi32ELi16EiPK19rocblas_complex_numIdES3_PS1_EviT6_lT7_lT5_lS6_lS7_lS5_lT8_i.numbered_sgpr, 78
	.set _ZL26rocblas_hemvn_kernel_lowerILb0ELi64ELi4ELi33ELi32ELi16EiPK19rocblas_complex_numIdES3_PS1_EviT6_lT7_lT5_lS6_lS7_lS5_lT8_i.num_named_barrier, 0
	.set _ZL26rocblas_hemvn_kernel_lowerILb0ELi64ELi4ELi33ELi32ELi16EiPK19rocblas_complex_numIdES3_PS1_EviT6_lT7_lT5_lS6_lS7_lS5_lT8_i.private_seg_size, 0
	.set _ZL26rocblas_hemvn_kernel_lowerILb0ELi64ELi4ELi33ELi32ELi16EiPK19rocblas_complex_numIdES3_PS1_EviT6_lT7_lT5_lS6_lS7_lS5_lT8_i.uses_vcc, 1
	.set _ZL26rocblas_hemvn_kernel_lowerILb0ELi64ELi4ELi33ELi32ELi16EiPK19rocblas_complex_numIdES3_PS1_EviT6_lT7_lT5_lS6_lS7_lS5_lT8_i.uses_flat_scratch, 0
	.set _ZL26rocblas_hemvn_kernel_lowerILb0ELi64ELi4ELi33ELi32ELi16EiPK19rocblas_complex_numIdES3_PS1_EviT6_lT7_lT5_lS6_lS7_lS5_lT8_i.has_dyn_sized_stack, 0
	.set _ZL26rocblas_hemvn_kernel_lowerILb0ELi64ELi4ELi33ELi32ELi16EiPK19rocblas_complex_numIdES3_PS1_EviT6_lT7_lT5_lS6_lS7_lS5_lT8_i.has_recursion, 0
	.set _ZL26rocblas_hemvn_kernel_lowerILb0ELi64ELi4ELi33ELi32ELi16EiPK19rocblas_complex_numIdES3_PS1_EviT6_lT7_lT5_lS6_lS7_lS5_lT8_i.has_indirect_call, 0
	.section	.AMDGPU.csdata,"",@progbits
; Kernel info:
; codeLenInByte = 8124
; TotalNumSgprs: 80
; NumVgprs: 250
; ScratchSize: 0
; MemoryBound: 0
; FloatMode: 240
; IeeeMode: 1
; LDSByteSize: 19200 bytes/workgroup (compile time only)
; SGPRBlocks: 0
; VGPRBlocks: 15
; NumSGPRsForWavesPerEU: 80
; NumVGPRsForWavesPerEU: 250
; NamedBarCnt: 0
; Occupancy: 4
; WaveLimiterHint : 0
; COMPUTE_PGM_RSRC2:SCRATCH_EN: 0
; COMPUTE_PGM_RSRC2:USER_SGPR: 2
; COMPUTE_PGM_RSRC2:TRAP_HANDLER: 0
; COMPUTE_PGM_RSRC2:TGID_X_EN: 1
; COMPUTE_PGM_RSRC2:TGID_Y_EN: 0
; COMPUTE_PGM_RSRC2:TGID_Z_EN: 1
; COMPUTE_PGM_RSRC2:TIDIG_COMP_CNT: 1
	.section	.text._ZL26rocblas_hemvn_kernel_lowerILb0ELi64ELi4ELi33ELi32ELi16El19rocblas_complex_numIdEPKS1_PS1_EviT6_lT7_lT5_lS6_lS7_lS5_lT8_i,"axG",@progbits,_ZL26rocblas_hemvn_kernel_lowerILb0ELi64ELi4ELi33ELi32ELi16El19rocblas_complex_numIdEPKS1_PS1_EviT6_lT7_lT5_lS6_lS7_lS5_lT8_i,comdat
	.globl	_ZL26rocblas_hemvn_kernel_lowerILb0ELi64ELi4ELi33ELi32ELi16El19rocblas_complex_numIdEPKS1_PS1_EviT6_lT7_lT5_lS6_lS7_lS5_lT8_i ; -- Begin function _ZL26rocblas_hemvn_kernel_lowerILb0ELi64ELi4ELi33ELi32ELi16El19rocblas_complex_numIdEPKS1_PS1_EviT6_lT7_lT5_lS6_lS7_lS5_lT8_i
	.p2align	8
	.type	_ZL26rocblas_hemvn_kernel_lowerILb0ELi64ELi4ELi33ELi32ELi16El19rocblas_complex_numIdEPKS1_PS1_EviT6_lT7_lT5_lS6_lS7_lS5_lT8_i,@function
_ZL26rocblas_hemvn_kernel_lowerILb0ELi64ELi4ELi33ELi32ELi16El19rocblas_complex_numIdEPKS1_PS1_EviT6_lT7_lT5_lS6_lS7_lS5_lT8_i: ; @_ZL26rocblas_hemvn_kernel_lowerILb0ELi64ELi4ELi33ELi32ELi16El19rocblas_complex_numIdEPKS1_PS1_EviT6_lT7_lT5_lS6_lS7_lS5_lT8_i
; %bb.0:
	s_clause 0x1
	s_load_b64 s[2:3], s[0:1], 0x94
	s_load_b32 s33, s[0:1], 0x80
	s_bfe_u32 s4, ttmp6, 0x40014
	s_lshr_b32 s5, ttmp7, 16
	s_add_co_i32 s4, s4, 1
	s_bfe_u32 s6, ttmp6, 0x40008
	s_mul_i32 s4, s5, s4
	s_getreg_b32 s14, hwreg(HW_REG_IB_STS2, 6, 4)
	s_add_co_i32 s6, s6, s4
	s_mov_b32 s37, 0
	s_wait_kmcnt 0x0
	s_lshr_b32 s4, s2, 16
	s_and_b32 s2, s2, 0xffff
	s_and_b32 s3, s3, 0xffff
	s_mul_i32 s2, s4, s2
	s_cmp_eq_u32 s14, 0
	s_mul_i32 s2, s2, s3
	s_cselect_b32 s34, s5, s6
	s_cmp_lg_u32 s2, 0x100
	s_cselect_b32 s2, -1, 0
	s_cmp_ge_u32 s34, s33
	s_cselect_b32 s3, -1, 0
	s_delay_alu instid0(SALU_CYCLE_1) | instskip(NEXT) | instid1(SALU_CYCLE_1)
	s_or_b32 s2, s2, s3
	s_and_b32 vcc_lo, exec_lo, s2
	s_cbranch_vccnz .LBB128_104
; %bb.1:
	s_clause 0x1
	s_load_b128 s[4:7], s[0:1], 0x8
	s_load_b32 s2, s[0:1], 0x0
	s_bfe_u32 s15, ttmp6, 0x4000c
	s_add_nc_u64 s[38:39], s[0:1], 0x88
	s_add_co_i32 s15, s15, 1
	s_clause 0x2
	s_load_b512 s[16:31], s[0:1], 0x20
	s_load_b64 s[12:13], s[0:1], 0x78
	s_load_b128 s[8:11], s[0:1], 0x60
	s_wait_xcnt 0x0
	s_mul_i32 s1, ttmp9, s15
	v_bfe_u32 v1, v0, 10, 10
	s_load_b32 s36, s[38:39], 0x0
	v_and_b32_e32 v144, 0x3ff, v0
	s_and_b32 s3, ttmp6, 15
	v_dual_mov_b32 v147, 0 :: v_dual_bitop2_b32 v146, 31, v0 bitop3:0x40
	s_delay_alu instid0(VALU_DEP_2) | instskip(SKIP_1) | instid1(VALU_DEP_2)
	v_dual_lshlrev_b32 v8, 6, v1 :: v_dual_lshlrev_b32 v145, 4, v144
	s_add_co_i32 s1, s3, s1
	v_lshlrev_b32_e32 v10, 4, v146
	v_cmp_eq_u32_e64 s0, 0, v1
	s_delay_alu instid0(VALU_DEP_3)
	v_add_nc_u32_e32 v9, v8, v144
	s_wait_kmcnt 0x0
	v_cmp_neq_f64_e64 s15, s[4:5], 0
	v_cmp_neq_f64_e64 s35, s[6:7], 0
	s_ashr_i32 s3, s2, 31
	s_cmp_eq_u32 s14, 0
	v_lshl_or_b32 v12, v146, 9, v10
	s_cselect_b32 s64, ttmp9, s1
	v_cmp_neq_f64_e64 s54, s[8:9], 1.0
	s_lshl_b32 s50, s64, 6
	s_delay_alu instid0(SALU_CYCLE_1) | instskip(SKIP_3) | instid1(VALU_DEP_1)
	v_dual_lshrrev_b32 v11, 5, v9 :: v_dual_add_nc_u32 v148, s50, v144
	s_mul_u64 s[40:41], s[36:37], s[2:3]
	s_lshr_b32 s3, s3, 26
	s_add_co_i32 s1, s36, -1
	v_mad_nc_u64_u32 v[2:3], s20, v11, v[146:147]
	s_add_co_i32 s3, s2, s3
	s_lshl_b64 s[4:5], s[26:27], 4
	s_and_not1_b32 s3, s3, 63
	s_lshl_b64 s[6:7], s[18:19], 4
	s_mul_i32 s8, s2, s64
	s_sub_co_i32 s2, s2, s3
	v_ashrrev_i32_e32 v149, 31, v148
	s_add_nc_u64 s[4:5], s[24:25], s[4:5]
	s_add_nc_u64 s[6:7], s[16:17], s[6:7]
	v_mad_u32_u24 v165, 0x210, v11, v10
	v_mad_u32 v3, s21, v11, v3
	v_mul_u64_e32 v[4:5], s[28:29], v[148:149]
	v_mad_u32_u24 v170, 0x840, v11, v10
	v_cmp_neq_f64_e64 s55, s[10:11], 0
	v_add_nc_u32_e32 v164, 0x4700, v145
	v_cmp_eq_u32_e64 s17, 1, v11
	v_sub_nc_u64_e32 v[154:155], 0, v[146:147]
	v_add_nc_u32_e32 v166, 0x1080, v165
	v_add_nc_u32_e32 v167, 0x2100, v165
	s_or_b32 s35, s15, s35
	s_cmp_eq_u32 s64, s1
	v_sub_nc_u64_e32 v[156:157], 0, v[2:3]
	s_cselect_b32 s24, s2, 0
	v_add_nc_u32_e32 v168, 0x3180, v165
	s_cmp_eq_u32 s24, 0
	v_cmp_le_i32_e32 vcc_lo, s24, v144
	s_cselect_b32 s19, -1, 0
	s_cmp_lg_u32 s24, 0
	v_cmp_gt_u32_e64 s11, 32, v9
	s_cselect_b32 s1, -1, 0
	s_ashr_i32 s51, s50, 31
	s_sub_co_i32 s16, s24, 32
	s_lshl_b64 s[2:3], s[50:51], 4
	s_mul_u64 s[52:53], s[20:21], s[50:51]
	s_add_nc_u64 s[2:3], s[6:7], s[2:3]
	s_ashr_i32 s9, s8, 31
	v_lshl_add_u64 v[6:7], v[2:3], 4, s[2:3]
	s_lshl_b64 s[2:3], s[8:9], 4
	v_lshlrev_b32_e32 v13, 6, v11
	s_add_nc_u64 s[44:45], s[12:13], s[2:3]
	v_cmp_le_i32_e64 s3, s24, v11
	v_lshl_add_u64 v[152:153], s[52:53], 4, v[6:7]
	s_delay_alu instid0(VALU_DEP_3) | instskip(SKIP_3) | instid1(VALU_DEP_4)
	v_dual_lshlrev_b32 v7, 2, v11 :: v_dual_add_nc_u32 v169, v12, v13
	v_lshl_add_u64 v[150:151], v[4:5], 4, s[4:5]
	v_dual_add_nc_u32 v4, 8, v11 :: v_dual_add_nc_u32 v5, 16, v11
	v_add_nc_u32_e32 v6, 24, v11
	v_or_b32_e32 v14, 1, v7
	v_cmp_lt_u32_e64 s7, v7, v146
	v_dual_add_nc_u32 v171, 16, v169 :: v_dual_bitop2_b32 v12, 2, v7 bitop3:0x54
	v_dual_add_nc_u32 v173, 32, v169 :: v_dual_bitop2_b32 v7, 3, v7 bitop3:0x54
	s_delay_alu instid0(VALU_DEP_4) | instskip(SKIP_2) | instid1(VALU_DEP_4)
	v_mad_u32_u24 v172, 0x210, v14, v10
	v_mul_u32_u24_e32 v10, 33, v146
	v_cmp_le_i32_e64 s4, s24, v4
	v_cmp_lt_u32_e64 s10, v7, v146
	v_lshlrev_b32_e32 v7, 4, v11
	v_cmp_le_i32_e64 s5, s24, v5
	v_lshlrev_b32_e32 v175, 4, v10
	v_cmp_le_i32_e64 s14, s16, v4
	v_cmp_le_i32_e64 s15, s16, v5
	v_dual_mov_b32 v5, v147 :: v_dual_lshlrev_b32 v4, 2, v1
	s_delay_alu instid0(VALU_DEP_4) | instskip(SKIP_1) | instid1(VALU_DEP_3)
	v_dual_add_nc_u32 v179, v175, v7 :: v_dual_add_nc_u32 v180, v175, v13
	v_dual_add_nc_u32 v176, 48, v169 :: v_dual_bitop2_b32 v10, 32, v146 bitop3:0x54
	v_mul_u64_e32 v[158:159], s[20:21], v[4:5]
	v_cmp_le_i32_e64 s6, s24, v6
	s_delay_alu instid0(VALU_DEP_4)
	v_add_nc_u32_e32 v183, 48, v180
	v_cmp_le_i32_e64 s13, s16, v11
	v_cmp_gt_i32_e64 s12, s24, v10
	v_lshrrev_b32_e32 v10, 4, v9
	v_cmp_le_i32_e64 s16, s16, v6
	v_mul_i32_i24_e32 v6, 0xffffffd0, v11
	v_mad_u32_u24 v184, v11, 48, v179
	v_and_b32_e32 v11, 15, v0
	v_dual_lshlrev_b32 v2, 6, v10 :: v_dual_bitop2_b32 v0, 48, v0 bitop3:0x40
	v_add_nc_u32_e32 v178, 0x4700, v13
	v_or_b32_e32 v3, 0xf0, v145
	s_and_b32 s1, s1, vcc_lo
	s_delay_alu instid0(VALU_DEP_3)
	v_lshlrev_b32_e32 v0, 4, v0
	v_mad_u32_u24 v188, 0x430, v11, v2
	v_mul_i32_i24_e32 v2, 0xffffffd0, v10
	s_lshl_b64 s[26:27], s[20:21], 7
	s_lshl_b64 s[42:43], s[20:21], 8
	s_ashr_i32 s25, s24, 31
	s_lshl_b64 s[46:47], s[20:21], 5
	s_xor_b32 s36, s1, -1
	s_cmp_gt_i32 s64, 0
	v_cmp_gt_i32_e64 s2, s24, v146
	v_cmp_lt_u32_e64 s8, v14, v146
	v_cmp_lt_u32_e64 s9, v12, v146
	v_add_nc_u32_e32 v174, 0x210, v172
	v_add_nc_u32_e32 v177, 0x420, v172
	v_dual_add_nc_u32 v181, 16, v180 :: v_dual_add_nc_u32 v182, 32, v180
	v_add_nc_u32_e32 v185, 0x4300, v145
	v_add_nc_u32_e32 v186, 0x4300, v8
	v_mad_u32_u24 v187, 0x10c0, v1, v145
	v_cmp_gt_u32_e64 s18, 64, v9
	v_mad_u32_u24 v190, 0x430, v11, v3
	v_mad_u32_u24 v191, 0x430, v1, v145
	v_cndmask_b32_e64 v192, 0, 1, s35
	v_add_nc_u32_e32 v193, 0x4700, v7
	v_add_nc_u32_e32 v194, v178, v6
	v_mad_u32_u24 v189, 0x430, v11, v0
	v_add_nc_u32_e32 v195, v188, v2
	v_lshlrev_b32_e32 v146, 4, v146
	s_mul_u64 s[50:51], s[28:29], s[50:51]
	s_cselect_b32 s65, -1, 0
	s_or_b32 s35, s35, s54
	s_mul_u64 s[38:39], s[20:21], 0x180
	s_sub_nc_u64 s[48:49], 0, s[46:47]
	s_sub_nc_u64 s[50:51], 0, s[50:51]
	;; [unrolled: 1-line block ×3, first 2 shown]
	s_and_b32 s66, s0, s36
	s_or_b32 s67, s35, s55
	s_mov_b64 s[54:55], 0xfffffffffffffdf0
	s_mov_b64 s[56:57], 0xfffffffffffffe00
	s_sub_nc_u64 s[58:59], 0, s[24:25]
	s_lshl_b64 s[60:61], s[20:21], 4
	s_mul_u64 s[20:21], s[20:21], 0xd0
	s_branch .LBB128_4
.LBB128_2:                              ;   in Loop: Header=BB128_4 Depth=1
	s_wait_xcnt 0x0
	s_or_b32 exec_lo, exec_lo, s35
.LBB128_3:                              ;   in Loop: Header=BB128_4 Depth=1
	s_add_co_i32 s34, s34, 0x10000
	s_delay_alu instid0(SALU_CYCLE_1)
	s_cmp_lt_u32 s34, s33
	s_cbranch_scc0 .LBB128_104
.LBB128_4:                              ; =>This Loop Header: Depth=1
                                        ;     Child Loop BB128_74 Depth 2
	s_and_not1_b32 vcc_lo, exec_lo, s67
	s_cbranch_vccnz .LBB128_3
; %bb.5:                                ;   in Loop: Header=BB128_4 Depth=1
	v_cmp_ne_u32_e32 vcc_lo, 1, v192
	s_cbranch_vccnz .LBB128_3
; %bb.6:                                ;   in Loop: Header=BB128_4 Depth=1
	s_mov_b32 s35, s37
	s_delay_alu instid0(SALU_CYCLE_1) | instskip(NEXT) | instid1(SALU_CYCLE_1)
	s_mul_u64 s[62:63], s[30:31], s[34:35]
	v_lshl_add_u64 v[36:37], s[62:63], 4, v[150:151]
	s_and_saveexec_b32 s36, s0
	s_cbranch_execz .LBB128_11
; %bb.7:                                ;   in Loop: Header=BB128_4 Depth=1
	s_and_saveexec_b32 s62, s1
	s_delay_alu instid0(SALU_CYCLE_1)
	s_xor_b32 s62, exec_lo, s62
; %bb.8:                                ;   in Loop: Header=BB128_4 Depth=1
	v_dual_mov_b32 v0, v147 :: v_dual_mov_b32 v1, v147
	v_dual_mov_b32 v2, v147 :: v_dual_mov_b32 v3, v147
	ds_store_b128 v164, v[0:3]
; %bb.9:                                ;   in Loop: Header=BB128_4 Depth=1
	s_and_not1_saveexec_b32 s62, s62
	s_cbranch_execz .LBB128_11
; %bb.10:                               ;   in Loop: Header=BB128_4 Depth=1
	global_load_b128 v[0:3], v[36:37], off
	s_wait_loadcnt 0x0
	ds_store_2addr_b64 v164, v[0:1], v[2:3] offset1:1
.LBB128_11:                             ;   in Loop: Header=BB128_4 Depth=1
	s_wait_xcnt 0x0
	s_or_b32 exec_lo, exec_lo, s36
	s_mul_u64 s[62:63], s[22:23], s[34:35]
	s_and_not1_b32 vcc_lo, exec_lo, s19
	v_lshl_add_u64 v[4:5], s[62:63], 4, v[152:153]
	s_mov_b32 s36, -1
	s_cbranch_vccnz .LBB128_13
; %bb.12:                               ;   in Loop: Header=BB128_4 Depth=1
	s_delay_alu instid0(VALU_DEP_1) | instskip(SKIP_1) | instid1(VALU_DEP_1)
	v_add_nc_u64_e32 v[6:7], s[26:27], v[4:5]
	s_mov_b32 s36, 0
	v_add_nc_u64_e32 v[10:11], s[26:27], v[6:7]
	s_delay_alu instid0(VALU_DEP_1)
	v_add_nc_u64_e32 v[14:15], s[26:27], v[10:11]
	s_clause 0x3
	global_load_b128 v[0:3], v[4:5], off
	global_load_b128 v[6:9], v[6:7], off
	;; [unrolled: 1-line block ×4, first 2 shown]
	s_wait_loadcnt 0x3
	ds_store_2addr_b64 v165, v[0:1], v[2:3] offset1:1
	s_wait_loadcnt 0x2
	ds_store_2addr_b64 v166, v[6:7], v[8:9] offset1:1
	;; [unrolled: 2-line block ×4, first 2 shown]
.LBB128_13:                             ;   in Loop: Header=BB128_4 Depth=1
	s_and_not1_b32 vcc_lo, exec_lo, s36
	s_cbranch_vccnz .LBB128_25
; %bb.14:                               ;   in Loop: Header=BB128_4 Depth=1
	s_wait_xcnt 0x0
	s_and_saveexec_b32 s36, s3
	s_delay_alu instid0(SALU_CYCLE_1)
	s_xor_b32 s36, exec_lo, s36
; %bb.15:                               ;   in Loop: Header=BB128_4 Depth=1
	v_dual_mov_b32 v0, v147 :: v_dual_mov_b32 v1, v147
	v_dual_mov_b32 v2, v147 :: v_dual_mov_b32 v3, v147
	ds_store_b128 v165, v[0:3]
; %bb.16:                               ;   in Loop: Header=BB128_4 Depth=1
	s_or_saveexec_b32 s36, s36
	v_lshl_add_u64 v[0:1], v[154:155], 4, v[4:5]
	s_delay_alu instid0(VALU_DEP_1) | instskip(NEXT) | instid1(VALU_DEP_1)
	v_lshl_add_u64 v[0:1], s[24:25], 4, v[0:1]
	v_add_nc_u64_e32 v[0:1], -16, v[0:1]
	s_delay_alu instid0(VALU_DEP_1)
	v_dual_cndmask_b32 v1, v1, v5, s2 :: v_dual_cndmask_b32 v0, v0, v4, s2
	s_xor_b32 exec_lo, exec_lo, s36
	s_cbranch_execnz .LBB128_86
; %bb.17:                               ;   in Loop: Header=BB128_4 Depth=1
	s_or_b32 exec_lo, exec_lo, s36
	s_and_saveexec_b32 s36, s4
	s_delay_alu instid0(SALU_CYCLE_1)
	s_xor_b32 s36, exec_lo, s36
	s_cbranch_execnz .LBB128_87
.LBB128_18:                             ;   in Loop: Header=BB128_4 Depth=1
	s_and_not1_saveexec_b32 s36, s36
	s_cbranch_execnz .LBB128_88
.LBB128_19:                             ;   in Loop: Header=BB128_4 Depth=1
	s_or_b32 exec_lo, exec_lo, s36
	s_and_saveexec_b32 s36, s5
	s_delay_alu instid0(SALU_CYCLE_1)
	s_xor_b32 s36, exec_lo, s36
	s_cbranch_execnz .LBB128_89
.LBB128_20:                             ;   in Loop: Header=BB128_4 Depth=1
	s_and_not1_saveexec_b32 s36, s36
	s_cbranch_execnz .LBB128_90
.LBB128_21:                             ;   in Loop: Header=BB128_4 Depth=1
	s_or_b32 exec_lo, exec_lo, s36
	s_and_saveexec_b32 s36, s6
	s_delay_alu instid0(SALU_CYCLE_1)
	s_xor_b32 s36, exec_lo, s36
	s_cbranch_execnz .LBB128_91
.LBB128_22:                             ;   in Loop: Header=BB128_4 Depth=1
	s_and_not1_saveexec_b32 s36, s36
	s_cbranch_execz .LBB128_24
.LBB128_23:                             ;   in Loop: Header=BB128_4 Depth=1
	v_add_nc_u64_e32 v[2:3], s[38:39], v[0:1]
	global_load_b128 v[6:9], v[2:3], off
	s_wait_loadcnt 0x0
	ds_store_2addr_b64 v168, v[6:7], v[8:9] offset1:1
.LBB128_24:                             ;   in Loop: Header=BB128_4 Depth=1
	s_wait_xcnt 0x0
	s_or_b32 exec_lo, exec_lo, s36
	v_add_nc_u64_e32 v[0:1], v[0:1], v[146:147]
	s_delay_alu instid0(VALU_DEP_1) | instskip(NEXT) | instid1(VALU_DEP_1)
	v_lshl_add_u64 v[0:1], s[58:59], 4, v[0:1]
	v_add_nc_u64_e32 v[0:1], 16, v[0:1]
	s_delay_alu instid0(VALU_DEP_1)
	v_dual_cndmask_b32 v5, v1, v5, s2 :: v_dual_cndmask_b32 v4, v0, v4, s2
.LBB128_25:                             ;   in Loop: Header=BB128_4 Depth=1
	s_wait_dscnt 0x0
	s_barrier_signal -1
	s_barrier_wait -1
	s_wait_xcnt 0x0
	s_and_saveexec_b32 s36, s7
	s_cbranch_execnz .LBB128_80
; %bb.26:                               ;   in Loop: Header=BB128_4 Depth=1
	s_or_b32 exec_lo, exec_lo, s36
	s_and_saveexec_b32 s36, s8
	s_cbranch_execnz .LBB128_81
.LBB128_27:                             ;   in Loop: Header=BB128_4 Depth=1
	s_or_b32 exec_lo, exec_lo, s36
	s_and_saveexec_b32 s36, s9
	s_cbranch_execnz .LBB128_82
.LBB128_28:                             ;   in Loop: Header=BB128_4 Depth=1
	s_or_b32 exec_lo, exec_lo, s36
	s_and_saveexec_b32 s36, s10
	s_cbranch_execz .LBB128_30
.LBB128_29:                             ;   in Loop: Header=BB128_4 Depth=1
	ds_load_b128 v[0:3], v177
	s_wait_dscnt 0x0
	ds_store_b128 v176, v[0:3]
.LBB128_30:                             ;   in Loop: Header=BB128_4 Depth=1
	s_or_b32 exec_lo, exec_lo, s36
	s_wait_dscnt 0x0
	s_barrier_signal -1
	s_barrier_wait -1
	ds_load_b128 v[0:3], v170
	ds_load_b128 v[6:9], v178
	ds_load_b128 v[10:13], v178 offset:16
	ds_load_b128 v[14:17], v172
	s_wait_dscnt 0x2
	v_mul_f64_e32 v[18:19], v[8:9], v[2:3]
	v_mul_f64_e32 v[24:25], v[6:7], v[2:3]
	s_wait_dscnt 0x0
	v_mul_f64_e32 v[26:27], v[12:13], v[16:17]
	v_mul_f64_e32 v[28:29], v[10:11], v[16:17]
	s_delay_alu instid0(VALU_DEP_4) | instskip(NEXT) | instid1(VALU_DEP_4)
	v_fma_f64 v[30:31], v[6:7], v[0:1], -v[18:19]
	v_fmac_f64_e32 v[24:25], v[8:9], v[0:1]
	ds_load_b128 v[0:3], v174
	ds_load_b128 v[6:9], v178 offset:32
	ds_load_b128 v[16:19], v178 offset:48
	ds_load_b128 v[20:23], v177
	v_fma_f64 v[10:11], v[10:11], v[14:15], -v[26:27]
	v_fmac_f64_e32 v[28:29], v[12:13], v[14:15]
	s_wait_dscnt 0x0
	s_barrier_signal -1
	s_barrier_wait -1
	v_mul_f64_e32 v[32:33], v[8:9], v[2:3]
	v_mul_f64_e32 v[2:3], v[6:7], v[2:3]
	v_add_f64_e32 v[12:13], 0, v[30:31]
	v_add_f64_e32 v[14:15], 0, v[24:25]
	v_mul_f64_e32 v[24:25], v[18:19], v[22:23]
	v_mul_f64_e32 v[22:23], v[16:17], v[22:23]
	v_fma_f64 v[6:7], v[6:7], v[0:1], -v[32:33]
	v_fmac_f64_e32 v[2:3], v[8:9], v[0:1]
	v_add_f64_e32 v[0:1], v[12:13], v[10:11]
	v_add_f64_e32 v[8:9], v[14:15], v[28:29]
	v_fma_f64 v[10:11], v[16:17], v[20:21], -v[24:25]
	v_fmac_f64_e32 v[22:23], v[18:19], v[20:21]
	s_delay_alu instid0(VALU_DEP_4) | instskip(NEXT) | instid1(VALU_DEP_4)
	v_add_f64_e32 v[0:1], v[0:1], v[6:7]
	v_add_f64_e32 v[2:3], v[8:9], v[2:3]
	s_delay_alu instid0(VALU_DEP_2) | instskip(NEXT) | instid1(VALU_DEP_2)
	v_add_f64_e32 v[6:7], v[0:1], v[10:11]
	v_add_f64_e32 v[8:9], v[2:3], v[22:23]
	v_mov_b64_e32 v[0:1], 0
	v_mov_b64_e32 v[2:3], 0
	ds_store_b128 v179, v[6:9]
	s_wait_dscnt 0x0
	s_barrier_signal -1
	s_barrier_wait -1
	s_and_saveexec_b32 s36, s11
	s_cbranch_execz .LBB128_32
; %bb.31:                               ;   in Loop: Header=BB128_4 Depth=1
	ds_load_b128 v[0:3], v175
	ds_load_b128 v[6:9], v175 offset:16
	s_wait_dscnt 0x0
	v_add_f64_e32 v[10:11], v[6:7], v[0:1]
	v_add_f64_e32 v[12:13], v[8:9], v[2:3]
	ds_load_b128 v[0:3], v175 offset:32
	ds_load_b128 v[6:9], v175 offset:48
	s_wait_dscnt 0x1
	v_add_f64_e32 v[0:1], v[10:11], v[0:1]
	v_add_f64_e32 v[2:3], v[12:13], v[2:3]
	s_wait_dscnt 0x0
	s_delay_alu instid0(VALU_DEP_2) | instskip(NEXT) | instid1(VALU_DEP_2)
	v_add_f64_e32 v[10:11], v[0:1], v[6:7]
	v_add_f64_e32 v[12:13], v[2:3], v[8:9]
	ds_load_b128 v[0:3], v175 offset:64
	ds_load_b128 v[6:9], v175 offset:80
	s_wait_dscnt 0x1
	v_add_f64_e32 v[0:1], v[10:11], v[0:1]
	v_add_f64_e32 v[2:3], v[12:13], v[2:3]
	s_wait_dscnt 0x0
	s_delay_alu instid0(VALU_DEP_2) | instskip(NEXT) | instid1(VALU_DEP_2)
	;; [unrolled: 9-line block ×3, first 2 shown]
	v_add_f64_e32 v[0:1], v[0:1], v[6:7]
	v_add_f64_e32 v[2:3], v[2:3], v[8:9]
.LBB128_32:                             ;   in Loop: Header=BB128_4 Depth=1
	s_or_b32 exec_lo, exec_lo, s36
	v_lshl_add_u64 v[6:7], s[46:47], 4, v[4:5]
	s_and_not1_b32 vcc_lo, exec_lo, s19
	s_mov_b32 s36, -1
	s_barrier_signal -1
	s_delay_alu instid0(VALU_DEP_1)
	v_add_nc_u64_e32 v[4:5], 0x200, v[6:7]
	s_barrier_wait -1
	s_cbranch_vccnz .LBB128_34
; %bb.33:                               ;   in Loop: Header=BB128_4 Depth=1
	v_add_nc_u64_e32 v[12:13], s[26:27], v[6:7]
	s_mov_b32 s36, 0
	s_delay_alu instid0(VALU_DEP_1) | instskip(NEXT) | instid1(VALU_DEP_1)
	v_add_nc_u64_e32 v[16:17], s[26:27], v[12:13]
	v_add_nc_u64_e32 v[20:21], s[26:27], v[16:17]
	s_clause 0x3
	global_load_b128 v[8:11], v[4:5], off
	global_load_b128 v[12:15], v[12:13], off offset:512
	global_load_b128 v[16:19], v[16:17], off offset:512
	global_load_b128 v[20:23], v[20:21], off offset:512
	s_wait_loadcnt 0x3
	ds_store_2addr_b64 v165, v[8:9], v[10:11] offset1:1
	s_wait_loadcnt 0x2
	ds_store_2addr_b64 v166, v[12:13], v[14:15] offset1:1
	;; [unrolled: 2-line block ×4, first 2 shown]
.LBB128_34:                             ;   in Loop: Header=BB128_4 Depth=1
	s_and_not1_b32 vcc_lo, exec_lo, s36
	s_cbranch_vccnz .LBB128_46
; %bb.35:                               ;   in Loop: Header=BB128_4 Depth=1
	s_wait_xcnt 0x0
	s_and_saveexec_b32 s36, s13
	s_delay_alu instid0(SALU_CYCLE_1)
	s_xor_b32 s36, exec_lo, s36
; %bb.36:                               ;   in Loop: Header=BB128_4 Depth=1
	v_dual_mov_b32 v8, v147 :: v_dual_mov_b32 v9, v147
	v_dual_mov_b32 v10, v147 :: v_dual_mov_b32 v11, v147
	ds_store_b128 v165, v[8:11]
; %bb.37:                               ;   in Loop: Header=BB128_4 Depth=1
	s_or_saveexec_b32 s36, s36
	v_lshl_add_u64 v[6:7], v[154:155], 4, v[6:7]
	s_delay_alu instid0(VALU_DEP_1) | instskip(NEXT) | instid1(VALU_DEP_1)
	v_lshl_add_u64 v[6:7], s[24:25], 4, v[6:7]
	v_add_nc_u64_e32 v[6:7], -16, v[6:7]
	s_delay_alu instid0(VALU_DEP_1)
	v_dual_cndmask_b32 v7, v7, v5, s12 :: v_dual_cndmask_b32 v6, v6, v4, s12
	s_xor_b32 exec_lo, exec_lo, s36
	s_cbranch_execnz .LBB128_92
; %bb.38:                               ;   in Loop: Header=BB128_4 Depth=1
	s_or_b32 exec_lo, exec_lo, s36
	s_and_saveexec_b32 s36, s14
	s_delay_alu instid0(SALU_CYCLE_1)
	s_xor_b32 s36, exec_lo, s36
	s_cbranch_execnz .LBB128_93
.LBB128_39:                             ;   in Loop: Header=BB128_4 Depth=1
	s_and_not1_saveexec_b32 s36, s36
	s_cbranch_execnz .LBB128_94
.LBB128_40:                             ;   in Loop: Header=BB128_4 Depth=1
	s_or_b32 exec_lo, exec_lo, s36
	s_and_saveexec_b32 s36, s15
	s_delay_alu instid0(SALU_CYCLE_1)
	s_xor_b32 s36, exec_lo, s36
	s_cbranch_execnz .LBB128_95
.LBB128_41:                             ;   in Loop: Header=BB128_4 Depth=1
	s_and_not1_saveexec_b32 s36, s36
	s_cbranch_execnz .LBB128_96
.LBB128_42:                             ;   in Loop: Header=BB128_4 Depth=1
	s_or_b32 exec_lo, exec_lo, s36
	s_and_saveexec_b32 s36, s16
	s_delay_alu instid0(SALU_CYCLE_1)
	s_xor_b32 s36, exec_lo, s36
	s_cbranch_execnz .LBB128_97
.LBB128_43:                             ;   in Loop: Header=BB128_4 Depth=1
	s_and_not1_saveexec_b32 s36, s36
	s_cbranch_execz .LBB128_45
.LBB128_44:                             ;   in Loop: Header=BB128_4 Depth=1
	v_add_nc_u64_e32 v[8:9], s[38:39], v[6:7]
	global_load_b128 v[8:11], v[8:9], off
	s_wait_loadcnt 0x0
	ds_store_2addr_b64 v168, v[8:9], v[10:11] offset1:1
.LBB128_45:                             ;   in Loop: Header=BB128_4 Depth=1
	s_wait_xcnt 0x0
	s_or_b32 exec_lo, exec_lo, s36
	v_add_nc_u64_e32 v[6:7], v[6:7], v[146:147]
	s_delay_alu instid0(VALU_DEP_1) | instskip(NEXT) | instid1(VALU_DEP_1)
	v_lshl_add_u64 v[6:7], s[58:59], 4, v[6:7]
	v_add_nc_u64_e32 v[6:7], 0x210, v[6:7]
	s_delay_alu instid0(VALU_DEP_1)
	v_dual_cndmask_b32 v5, v7, v5, s12 :: v_dual_cndmask_b32 v4, v6, v4, s12
.LBB128_46:                             ;   in Loop: Header=BB128_4 Depth=1
	s_wait_dscnt 0x0
	s_barrier_signal -1
	s_barrier_wait -1
	s_wait_xcnt 0x0
	s_and_saveexec_b32 s36, s7
	s_cbranch_execnz .LBB128_83
; %bb.47:                               ;   in Loop: Header=BB128_4 Depth=1
	s_or_b32 exec_lo, exec_lo, s36
	s_and_saveexec_b32 s36, s8
	s_cbranch_execnz .LBB128_84
.LBB128_48:                             ;   in Loop: Header=BB128_4 Depth=1
	s_or_b32 exec_lo, exec_lo, s36
	s_and_saveexec_b32 s36, s9
	s_cbranch_execnz .LBB128_85
.LBB128_49:                             ;   in Loop: Header=BB128_4 Depth=1
	s_or_b32 exec_lo, exec_lo, s36
	s_and_saveexec_b32 s36, s10
	s_cbranch_execz .LBB128_51
.LBB128_50:                             ;   in Loop: Header=BB128_4 Depth=1
	ds_load_b128 v[6:9], v177
	s_wait_dscnt 0x0
	ds_store_b128 v183, v[6:9]
.LBB128_51:                             ;   in Loop: Header=BB128_4 Depth=1
	s_or_b32 exec_lo, exec_lo, s36
	s_wait_dscnt 0x0
	s_barrier_signal -1
	s_barrier_wait -1
	ds_load_b128 v[6:9], v170
	ds_load_b128 v[10:13], v178 offset:512
	ds_load_b128 v[14:17], v178 offset:528
	ds_load_b128 v[18:21], v172
	s_wait_dscnt 0x2
	v_mul_f64_e32 v[22:23], v[12:13], v[8:9]
	v_mul_f64_e32 v[28:29], v[10:11], v[8:9]
	s_wait_dscnt 0x0
	v_mul_f64_e32 v[30:31], v[16:17], v[20:21]
	v_mul_f64_e32 v[32:33], v[14:15], v[20:21]
	s_delay_alu instid0(VALU_DEP_4) | instskip(NEXT) | instid1(VALU_DEP_4)
	v_fma_f64 v[34:35], v[10:11], v[6:7], -v[22:23]
	v_fmac_f64_e32 v[28:29], v[12:13], v[6:7]
	ds_load_b128 v[6:9], v174
	ds_load_b128 v[10:13], v178 offset:544
	ds_load_b128 v[20:23], v178 offset:560
	ds_load_b128 v[24:27], v177
	v_fma_f64 v[14:15], v[14:15], v[18:19], -v[30:31]
	v_fmac_f64_e32 v[32:33], v[16:17], v[18:19]
	s_wait_dscnt 0x0
	s_barrier_signal -1
	s_barrier_wait -1
	v_mul_f64_e32 v[38:39], v[12:13], v[8:9]
	v_mul_f64_e32 v[8:9], v[10:11], v[8:9]
	v_add_f64_e32 v[16:17], 0, v[34:35]
	v_add_f64_e32 v[18:19], 0, v[28:29]
	v_mul_f64_e32 v[28:29], v[22:23], v[26:27]
	v_mul_f64_e32 v[26:27], v[20:21], v[26:27]
	v_fma_f64 v[10:11], v[10:11], v[6:7], -v[38:39]
	v_fmac_f64_e32 v[8:9], v[12:13], v[6:7]
	v_add_f64_e32 v[6:7], v[16:17], v[14:15]
	v_add_f64_e32 v[12:13], v[18:19], v[32:33]
	v_fma_f64 v[14:15], v[20:21], v[24:25], -v[28:29]
	v_fmac_f64_e32 v[26:27], v[22:23], v[24:25]
	s_delay_alu instid0(VALU_DEP_4) | instskip(NEXT) | instid1(VALU_DEP_4)
	v_add_f64_e32 v[6:7], v[6:7], v[10:11]
	v_add_f64_e32 v[8:9], v[12:13], v[8:9]
	s_delay_alu instid0(VALU_DEP_2) | instskip(NEXT) | instid1(VALU_DEP_2)
	v_add_f64_e32 v[6:7], v[6:7], v[14:15]
	v_add_f64_e32 v[8:9], v[8:9], v[26:27]
	ds_store_b128 v179, v[6:9]
	s_wait_dscnt 0x0
	s_barrier_signal -1
	s_barrier_wait -1
	s_and_saveexec_b32 s36, s17
	s_cbranch_execz .LBB128_53
; %bb.52:                               ;   in Loop: Header=BB128_4 Depth=1
	ds_load_b128 v[0:3], v175
	ds_load_b128 v[6:9], v175 offset:16
	s_wait_dscnt 0x0
	v_add_f64_e32 v[10:11], v[6:7], v[0:1]
	v_add_f64_e32 v[12:13], v[8:9], v[2:3]
	ds_load_b128 v[0:3], v175 offset:32
	ds_load_b128 v[6:9], v175 offset:48
	s_wait_dscnt 0x1
	v_add_f64_e32 v[0:1], v[10:11], v[0:1]
	v_add_f64_e32 v[2:3], v[12:13], v[2:3]
	s_wait_dscnt 0x0
	s_delay_alu instid0(VALU_DEP_2) | instskip(NEXT) | instid1(VALU_DEP_2)
	v_add_f64_e32 v[10:11], v[0:1], v[6:7]
	v_add_f64_e32 v[12:13], v[2:3], v[8:9]
	ds_load_b128 v[0:3], v175 offset:64
	ds_load_b128 v[6:9], v175 offset:80
	s_wait_dscnt 0x1
	v_add_f64_e32 v[0:1], v[10:11], v[0:1]
	v_add_f64_e32 v[2:3], v[12:13], v[2:3]
	s_wait_dscnt 0x0
	s_delay_alu instid0(VALU_DEP_2) | instskip(NEXT) | instid1(VALU_DEP_2)
	;; [unrolled: 9-line block ×3, first 2 shown]
	v_add_f64_e32 v[0:1], v[0:1], v[6:7]
	v_add_f64_e32 v[2:3], v[2:3], v[8:9]
.LBB128_53:                             ;   in Loop: Header=BB128_4 Depth=1
	s_or_b32 exec_lo, exec_lo, s36
	v_lshl_add_u64 v[38:39], s[48:49], 4, v[4:5]
	s_and_not1_b32 vcc_lo, exec_lo, s19
	s_mov_b32 s36, -1
	s_barrier_signal -1
	s_barrier_wait -1
	s_cbranch_vccnz .LBB128_55
; %bb.54:                               ;   in Loop: Header=BB128_4 Depth=1
	v_add_nc_u64_e32 v[8:9], s[26:27], v[38:39]
	s_mov_b32 s36, 0
	s_delay_alu instid0(VALU_DEP_1) | instskip(NEXT) | instid1(VALU_DEP_1)
	v_add_nc_u64_e32 v[12:13], s[26:27], v[8:9]
	v_add_nc_u64_e32 v[16:17], s[26:27], v[12:13]
	s_clause 0x3
	global_load_b128 v[4:7], v[38:39], off
	global_load_b128 v[8:11], v[8:9], off
	;; [unrolled: 1-line block ×4, first 2 shown]
	s_wait_loadcnt 0x3
	ds_store_2addr_b64 v165, v[4:5], v[6:7] offset1:1
	s_wait_loadcnt 0x2
	ds_store_2addr_b64 v166, v[8:9], v[10:11] offset1:1
	;; [unrolled: 2-line block ×4, first 2 shown]
.LBB128_55:                             ;   in Loop: Header=BB128_4 Depth=1
	s_and_not1_b32 vcc_lo, exec_lo, s36
	s_cbranch_vccnz .LBB128_67
; %bb.56:                               ;   in Loop: Header=BB128_4 Depth=1
	s_wait_xcnt 0x0
	s_and_saveexec_b32 s36, s3
	s_delay_alu instid0(SALU_CYCLE_1)
	s_xor_b32 s36, exec_lo, s36
; %bb.57:                               ;   in Loop: Header=BB128_4 Depth=1
	v_dual_mov_b32 v4, v147 :: v_dual_mov_b32 v5, v147
	v_dual_mov_b32 v6, v147 :: v_dual_mov_b32 v7, v147
	ds_store_b128 v165, v[4:7]
; %bb.58:                               ;   in Loop: Header=BB128_4 Depth=1
	s_or_saveexec_b32 s36, s36
	v_lshl_add_u64 v[4:5], v[154:155], 4, v[38:39]
	s_delay_alu instid0(VALU_DEP_1) | instskip(NEXT) | instid1(VALU_DEP_1)
	v_lshl_add_u64 v[4:5], s[24:25], 4, v[4:5]
	v_add_nc_u64_e32 v[4:5], s[54:55], v[4:5]
	s_delay_alu instid0(VALU_DEP_1)
	v_dual_cndmask_b32 v5, v5, v39, s12 :: v_dual_cndmask_b32 v4, v4, v38, s12
	s_xor_b32 exec_lo, exec_lo, s36
	s_cbranch_execnz .LBB128_98
; %bb.59:                               ;   in Loop: Header=BB128_4 Depth=1
	s_or_b32 exec_lo, exec_lo, s36
	s_and_saveexec_b32 s36, s4
	s_delay_alu instid0(SALU_CYCLE_1)
	s_xor_b32 s36, exec_lo, s36
	s_cbranch_execnz .LBB128_99
.LBB128_60:                             ;   in Loop: Header=BB128_4 Depth=1
	s_and_not1_saveexec_b32 s36, s36
	s_cbranch_execnz .LBB128_100
.LBB128_61:                             ;   in Loop: Header=BB128_4 Depth=1
	s_or_b32 exec_lo, exec_lo, s36
	s_and_saveexec_b32 s36, s5
	s_delay_alu instid0(SALU_CYCLE_1)
	s_xor_b32 s36, exec_lo, s36
	s_cbranch_execnz .LBB128_101
.LBB128_62:                             ;   in Loop: Header=BB128_4 Depth=1
	s_and_not1_saveexec_b32 s36, s36
	s_cbranch_execnz .LBB128_102
.LBB128_63:                             ;   in Loop: Header=BB128_4 Depth=1
	s_or_b32 exec_lo, exec_lo, s36
	s_and_saveexec_b32 s36, s6
	s_delay_alu instid0(SALU_CYCLE_1)
	s_xor_b32 s36, exec_lo, s36
	s_cbranch_execnz .LBB128_103
.LBB128_64:                             ;   in Loop: Header=BB128_4 Depth=1
	s_and_not1_saveexec_b32 s36, s36
	s_cbranch_execz .LBB128_66
.LBB128_65:                             ;   in Loop: Header=BB128_4 Depth=1
	v_add_nc_u64_e32 v[6:7], s[38:39], v[4:5]
	global_load_b128 v[6:9], v[6:7], off
	s_wait_loadcnt 0x0
	ds_store_2addr_b64 v168, v[6:7], v[8:9] offset1:1
.LBB128_66:                             ;   in Loop: Header=BB128_4 Depth=1
	s_wait_xcnt 0x0
	s_or_b32 exec_lo, exec_lo, s36
	v_add_nc_u64_e32 v[4:5], v[4:5], v[146:147]
	s_delay_alu instid0(VALU_DEP_1) | instskip(NEXT) | instid1(VALU_DEP_1)
	v_lshl_add_u64 v[4:5], s[58:59], 4, v[4:5]
	v_add_nc_u64_e32 v[4:5], 0x210, v[4:5]
	s_delay_alu instid0(VALU_DEP_1)
	v_dual_cndmask_b32 v39, v5, v39, s12 :: v_dual_cndmask_b32 v38, v4, v38, s12
.LBB128_67:                             ;   in Loop: Header=BB128_4 Depth=1
	s_wait_dscnt 0x0
	s_barrier_signal -1
	s_barrier_wait -1
	ds_load_b128 v[4:7], v194
	s_wait_xcnt 0x2
	ds_load_b128 v[8:11], v165
	s_wait_xcnt 0x1
	;; [unrolled: 2-line block ×3, first 2 shown]
	ds_load_b128 v[16:19], v193 offset:384
	ds_load_b128 v[20:23], v193 offset:128
	;; [unrolled: 1-line block ×3, first 2 shown]
	s_wait_dscnt 0x4
	v_mul_f64_e32 v[28:29], v[6:7], v[10:11]
	v_mul_f64_e32 v[30:31], v[4:5], v[10:11]
	s_wait_dscnt 0x1
	v_mul_f64_e32 v[32:33], v[22:23], v[14:15]
	v_mul_f64_e32 v[14:15], v[20:21], v[14:15]
	s_delay_alu instid0(VALU_DEP_4) | instskip(NEXT) | instid1(VALU_DEP_4)
	v_fma_f64 v[28:29], v[4:5], v[8:9], -v[28:29]
	v_fmac_f64_e32 v[30:31], v[6:7], v[8:9]
	ds_load_b128 v[4:7], v167
	ds_load_b128 v[8:11], v168
	v_fma_f64 v[20:21], v[20:21], v[12:13], -v[32:33]
	v_fmac_f64_e32 v[14:15], v[22:23], v[12:13]
	s_wait_dscnt 0x1
	v_mul_f64_e32 v[34:35], v[26:27], v[6:7]
	v_mul_f64_e32 v[6:7], v[24:25], v[6:7]
	v_add_f64_e32 v[12:13], 0, v[28:29]
	v_add_f64_e32 v[22:23], 0, v[30:31]
	s_wait_dscnt 0x0
	v_mul_f64_e32 v[28:29], v[18:19], v[10:11]
	v_mul_f64_e32 v[10:11], v[16:17], v[10:11]
	v_fma_f64 v[24:25], v[24:25], v[4:5], -v[34:35]
	v_fmac_f64_e32 v[6:7], v[26:27], v[4:5]
	v_add_f64_e32 v[4:5], v[12:13], v[20:21]
	v_add_f64_e32 v[12:13], v[22:23], v[14:15]
	v_fma_f64 v[14:15], v[16:17], v[8:9], -v[28:29]
	v_fmac_f64_e32 v[10:11], v[18:19], v[8:9]
	s_delay_alu instid0(VALU_DEP_4) | instskip(NEXT) | instid1(VALU_DEP_4)
	v_add_f64_e32 v[4:5], v[4:5], v[24:25]
	v_add_f64_e32 v[6:7], v[12:13], v[6:7]
	s_delay_alu instid0(VALU_DEP_2) | instskip(NEXT) | instid1(VALU_DEP_2)
	v_add_f64_e32 v[40:41], v[4:5], v[14:15]
	v_add_f64_e32 v[42:43], v[6:7], v[10:11]
	ds_load_b128 v[28:31], v184
	ds_load_b128 v[20:23], v184 offset:16
	ds_load_b128 v[8:11], v184 offset:32
	;; [unrolled: 1-line block ×7, first 2 shown]
	s_wait_dscnt 0x0
	s_barrier_signal -1
	s_barrier_wait -1
	ds_store_b128 v179, v[40:43]
	s_wait_dscnt 0x0
	s_barrier_signal -1
	s_barrier_wait -1
	s_and_saveexec_b32 s36, s17
	s_cbranch_execz .LBB128_69
; %bb.68:                               ;   in Loop: Header=BB128_4 Depth=1
	ds_load_b128 v[40:43], v175
	ds_load_b128 v[44:47], v175 offset:16
	s_wait_dscnt 0x1
	v_add_f64_e32 v[0:1], v[0:1], v[40:41]
	v_add_f64_e32 v[2:3], v[2:3], v[42:43]
	s_wait_dscnt 0x0
	s_delay_alu instid0(VALU_DEP_2) | instskip(NEXT) | instid1(VALU_DEP_2)
	v_add_f64_e32 v[44:45], v[0:1], v[44:45]
	v_add_f64_e32 v[46:47], v[2:3], v[46:47]
	ds_load_b128 v[0:3], v175 offset:32
	ds_load_b128 v[40:43], v175 offset:48
	s_wait_dscnt 0x1
	v_add_f64_e32 v[0:1], v[44:45], v[0:1]
	v_add_f64_e32 v[2:3], v[46:47], v[2:3]
	s_wait_dscnt 0x0
	s_delay_alu instid0(VALU_DEP_2) | instskip(NEXT) | instid1(VALU_DEP_2)
	v_add_f64_e32 v[44:45], v[0:1], v[40:41]
	v_add_f64_e32 v[46:47], v[2:3], v[42:43]
	ds_load_b128 v[0:3], v175 offset:64
	;; [unrolled: 9-line block ×3, first 2 shown]
	ds_load_b128 v[40:43], v175 offset:112
	s_wait_dscnt 0x1
	v_add_f64_e32 v[0:1], v[44:45], v[0:1]
	v_add_f64_e32 v[2:3], v[46:47], v[2:3]
	s_wait_dscnt 0x0
	s_delay_alu instid0(VALU_DEP_2) | instskip(NEXT) | instid1(VALU_DEP_2)
	v_add_f64_e32 v[0:1], v[0:1], v[40:41]
	v_add_f64_e32 v[2:3], v[2:3], v[42:43]
.LBB128_69:                             ;   in Loop: Header=BB128_4 Depth=1
	s_or_b32 exec_lo, exec_lo, s36
	v_mul_f64_e32 v[40:41], v[30:31], v[34:35]
	v_mul_f64_e32 v[34:35], v[28:29], v[34:35]
	;; [unrolled: 1-line block ×4, first 2 shown]
	s_barrier_signal -1
	s_barrier_wait -1
	s_delay_alu instid0(VALU_DEP_4) | instskip(NEXT) | instid1(VALU_DEP_4)
	v_fma_f64 v[28:29], v[28:29], v[32:33], -v[40:41]
	v_fmac_f64_e32 v[34:35], v[30:31], v[32:33]
	v_mul_f64_e32 v[30:31], v[10:11], v[18:19]
	v_mul_f64_e32 v[18:19], v[8:9], v[18:19]
	v_fma_f64 v[20:21], v[20:21], v[24:25], -v[42:43]
	v_fmac_f64_e32 v[26:27], v[22:23], v[24:25]
	v_add_f64_e32 v[22:23], 0, v[28:29]
	v_add_f64_e32 v[24:25], 0, v[34:35]
	v_mul_f64_e32 v[28:29], v[6:7], v[14:15]
	v_mul_f64_e32 v[14:15], v[4:5], v[14:15]
	v_fma_f64 v[8:9], v[8:9], v[16:17], -v[30:31]
	v_fmac_f64_e32 v[18:19], v[10:11], v[16:17]
	v_add_f64_e32 v[10:11], v[22:23], v[20:21]
	v_add_f64_e32 v[16:17], v[24:25], v[26:27]
	v_fma_f64 v[4:5], v[4:5], v[12:13], -v[28:29]
	v_fmac_f64_e32 v[14:15], v[6:7], v[12:13]
	s_delay_alu instid0(VALU_DEP_4) | instskip(NEXT) | instid1(VALU_DEP_4)
	v_add_f64_e32 v[6:7], v[10:11], v[8:9]
	v_add_f64_e32 v[8:9], v[16:17], v[18:19]
	s_delay_alu instid0(VALU_DEP_2) | instskip(NEXT) | instid1(VALU_DEP_2)
	v_add_f64_e32 v[4:5], v[6:7], v[4:5]
	v_add_f64_e32 v[6:7], v[8:9], v[14:15]
	ds_store_b128 v179, v[4:7]
	s_wait_dscnt 0x0
	s_barrier_signal -1
	s_barrier_wait -1
	s_and_saveexec_b32 s36, s11
	s_cbranch_execz .LBB128_71
; %bb.70:                               ;   in Loop: Header=BB128_4 Depth=1
	ds_load_b128 v[4:7], v175
	ds_load_b128 v[8:11], v175 offset:16
	s_wait_dscnt 0x1
	v_add_f64_e32 v[0:1], v[0:1], v[4:5]
	v_add_f64_e32 v[2:3], v[2:3], v[6:7]
	s_wait_dscnt 0x0
	s_delay_alu instid0(VALU_DEP_2) | instskip(NEXT) | instid1(VALU_DEP_2)
	v_add_f64_e32 v[8:9], v[0:1], v[8:9]
	v_add_f64_e32 v[10:11], v[2:3], v[10:11]
	ds_load_b128 v[0:3], v175 offset:32
	ds_load_b128 v[4:7], v175 offset:48
	s_wait_dscnt 0x1
	v_add_f64_e32 v[0:1], v[8:9], v[0:1]
	v_add_f64_e32 v[2:3], v[10:11], v[2:3]
	s_wait_dscnt 0x0
	s_delay_alu instid0(VALU_DEP_2) | instskip(NEXT) | instid1(VALU_DEP_2)
	v_add_f64_e32 v[8:9], v[0:1], v[4:5]
	v_add_f64_e32 v[10:11], v[2:3], v[6:7]
	ds_load_b128 v[0:3], v175 offset:64
	ds_load_b128 v[4:7], v175 offset:80
	s_wait_dscnt 0x1
	v_add_f64_e32 v[0:1], v[8:9], v[0:1]
	v_add_f64_e32 v[2:3], v[10:11], v[2:3]
	s_wait_dscnt 0x0
	s_delay_alu instid0(VALU_DEP_2) | instskip(NEXT) | instid1(VALU_DEP_2)
	v_add_f64_e32 v[8:9], v[0:1], v[4:5]
	v_add_f64_e32 v[10:11], v[2:3], v[6:7]
	ds_load_b128 v[0:3], v175 offset:96
	ds_load_b128 v[4:7], v175 offset:112
	s_wait_dscnt 0x1
	v_add_f64_e32 v[0:1], v[8:9], v[0:1]
	v_add_f64_e32 v[2:3], v[10:11], v[2:3]
	s_wait_dscnt 0x0
	s_delay_alu instid0(VALU_DEP_2) | instskip(NEXT) | instid1(VALU_DEP_2)
	v_add_f64_e32 v[0:1], v[0:1], v[4:5]
	v_add_f64_e32 v[2:3], v[2:3], v[6:7]
.LBB128_71:                             ;   in Loop: Header=BB128_4 Depth=1
	s_or_b32 exec_lo, exec_lo, s36
	s_mul_u64 s[62:63], s[40:41], s[34:35]
	s_and_not1_b32 vcc_lo, exec_lo, s65
	s_lshl_b64 s[62:63], s[62:63], 4
	s_delay_alu instid0(SALU_CYCLE_1)
	s_add_nc_u64 s[62:63], s[44:45], s[62:63]
	s_barrier_signal -1
	s_barrier_wait -1
	s_cbranch_vccnz .LBB128_78
; %bb.72:                               ;   in Loop: Header=BB128_4 Depth=1
	v_lshl_add_u64 v[4:5], s[52:53], 4, v[38:39]
	v_dual_mov_b32 v7, v147 :: v_dual_lshlrev_b32 v6, 4, v144
	v_lshl_add_u64 v[160:161], s[50:51], 4, v[36:37]
	s_mov_b32 s36, 0
	s_delay_alu instid0(VALU_DEP_3) | instskip(SKIP_1) | instid1(VALU_DEP_1)
	v_lshl_add_u64 v[4:5], v[156:157], 4, v[4:5]
	s_mov_b32 s35, s64
	v_lshl_add_u64 v[4:5], v[158:159], 4, v[4:5]
	s_delay_alu instid0(VALU_DEP_1) | instskip(SKIP_1) | instid1(VALU_DEP_1)
	v_add_nc_u64_e32 v[6:7], v[4:5], v[6:7]
	v_lshl_add_u64 v[4:5], s[24:25], 4, v[4:5]
	v_add_nc_u64_e32 v[4:5], s[54:55], v[4:5]
	s_delay_alu instid0(VALU_DEP_3) | instskip(NEXT) | instid1(VALU_DEP_1)
	v_add_nc_u64_e32 v[6:7], s[56:57], v[6:7]
	v_dual_cndmask_b32 v5, v7, v5, s1 :: v_dual_cndmask_b32 v4, v6, v4, s1
	s_branch .LBB128_74
.LBB128_73:                             ;   in Loop: Header=BB128_74 Depth=2
	s_wait_xcnt 0x0
	s_or_b32 exec_lo, exec_lo, s68
	v_mul_f64_e32 v[84:85], v[18:19], v[42:43]
	v_mul_f64_e32 v[42:43], v[16:17], v[42:43]
	;; [unrolled: 1-line block ×4, first 2 shown]
	s_add_co_i32 s35, s35, -1
	s_add_co_i32 s36, s36, 64
	s_cmp_eq_u32 s35, 0
	s_wait_storecnt 0x0
	s_barrier_signal -1
	s_barrier_wait -1
	s_delay_alu instid0(VALU_DEP_4) | instskip(NEXT) | instid1(VALU_DEP_4)
	v_fma_f64 v[16:17], v[16:17], v[40:41], -v[84:85]
	v_fmac_f64_e32 v[42:43], v[18:19], v[40:41]
	v_mul_f64_e32 v[18:19], v[10:11], v[46:47]
	v_mul_f64_e32 v[40:41], v[8:9], v[46:47]
	v_fma_f64 v[12:13], v[12:13], v[48:49], -v[86:87]
	v_fmac_f64_e32 v[50:51], v[14:15], v[48:49]
	v_mul_f64_e32 v[14:15], v[6:7], v[38:39]
	v_add_f64_e32 v[0:1], v[0:1], v[16:17]
	v_add_f64_e32 v[2:3], v[2:3], v[42:43]
	v_mul_f64_e32 v[16:17], v[4:5], v[38:39]
	v_fma_f64 v[8:9], v[8:9], v[44:45], -v[18:19]
	v_fmac_f64_e32 v[40:41], v[10:11], v[44:45]
	v_mul_f64_e32 v[10:11], v[34:35], v[74:75]
	v_fma_f64 v[4:5], v[4:5], v[36:37], -v[14:15]
	v_mul_f64_e32 v[14:15], v[24:25], v[78:79]
	v_add_f64_e32 v[0:1], v[0:1], v[12:13]
	v_add_f64_e32 v[2:3], v[2:3], v[50:51]
	v_mul_f64_e32 v[12:13], v[32:33], v[74:75]
	v_fmac_f64_e32 v[16:17], v[6:7], v[36:37]
	v_mul_f64_e32 v[6:7], v[30:31], v[82:83]
	v_fma_f64 v[10:11], v[32:33], v[72:73], -v[10:11]
	v_fmac_f64_e32 v[14:15], v[26:27], v[76:77]
	v_add_f64_e32 v[0:1], v[0:1], v[8:9]
	v_add_f64_e32 v[2:3], v[2:3], v[40:41]
	v_mul_f64_e32 v[8:9], v[28:29], v[82:83]
	v_fmac_f64_e32 v[12:13], v[34:35], v[72:73]
	v_fma_f64 v[6:7], v[28:29], v[80:81], -v[6:7]
	v_add_f64_e32 v[0:1], v[0:1], v[4:5]
	v_add_f64_e32 v[2:3], v[2:3], v[16:17]
	v_mul_f64_e32 v[4:5], v[26:27], v[78:79]
	v_fmac_f64_e32 v[8:9], v[30:31], v[80:81]
	s_delay_alu instid0(VALU_DEP_4) | instskip(NEXT) | instid1(VALU_DEP_4)
	v_add_f64_e32 v[0:1], v[0:1], v[10:11]
	v_add_f64_e32 v[2:3], v[2:3], v[12:13]
	v_mul_f64_e32 v[10:11], v[22:23], v[70:71]
	v_mul_f64_e32 v[12:13], v[20:21], v[70:71]
	v_fma_f64 v[4:5], v[24:25], v[76:77], -v[4:5]
	v_add_f64_e32 v[0:1], v[0:1], v[6:7]
	v_add_f64_e32 v[2:3], v[2:3], v[8:9]
	v_mul_f64_e32 v[6:7], v[66:67], v[118:119]
	v_mul_f64_e32 v[8:9], v[64:65], v[118:119]
	v_fma_f64 v[10:11], v[20:21], v[68:69], -v[10:11]
	v_fmac_f64_e32 v[12:13], v[22:23], v[68:69]
	v_add_f64_e32 v[0:1], v[0:1], v[4:5]
	v_add_f64_e32 v[2:3], v[2:3], v[14:15]
	v_mul_f64_e32 v[4:5], v[62:63], v[126:127]
	v_mul_f64_e32 v[14:15], v[60:61], v[126:127]
	v_fma_f64 v[6:7], v[64:65], v[116:117], -v[6:7]
	v_fmac_f64_e32 v[8:9], v[66:67], v[116:117]
	v_add_f64_e32 v[0:1], v[0:1], v[10:11]
	v_add_f64_e32 v[2:3], v[2:3], v[12:13]
	v_mul_f64_e32 v[10:11], v[54:55], v[122:123]
	v_mul_f64_e32 v[12:13], v[52:53], v[122:123]
	v_fma_f64 v[4:5], v[60:61], v[124:125], -v[4:5]
	v_fmac_f64_e32 v[14:15], v[62:63], v[124:125]
	v_add_f64_e32 v[0:1], v[0:1], v[6:7]
	v_add_f64_e32 v[2:3], v[2:3], v[8:9]
	v_mul_f64_e32 v[6:7], v[58:59], v[114:115]
	v_mul_f64_e32 v[8:9], v[56:57], v[114:115]
	v_fma_f64 v[10:11], v[52:53], v[120:121], -v[10:11]
	v_fmac_f64_e32 v[12:13], v[54:55], v[120:121]
	v_add_f64_e32 v[0:1], v[0:1], v[4:5]
	v_add_f64_e32 v[2:3], v[2:3], v[14:15]
	v_mul_f64_e32 v[4:5], v[106:107], v[130:131]
	v_mul_f64_e32 v[14:15], v[104:105], v[130:131]
	v_fma_f64 v[6:7], v[56:57], v[112:113], -v[6:7]
	v_fmac_f64_e32 v[8:9], v[58:59], v[112:113]
	v_add_f64_e32 v[0:1], v[0:1], v[10:11]
	v_add_f64_e32 v[2:3], v[2:3], v[12:13]
	v_mul_f64_e32 v[10:11], v[98:99], v[142:143]
	v_mul_f64_e32 v[12:13], v[96:97], v[142:143]
	v_fma_f64 v[4:5], v[104:105], v[128:129], -v[4:5]
	v_fmac_f64_e32 v[14:15], v[106:107], v[128:129]
	v_add_f64_e32 v[0:1], v[0:1], v[6:7]
	v_add_f64_e32 v[2:3], v[2:3], v[8:9]
	v_mul_f64_e32 v[6:7], v[90:91], v[138:139]
	v_mul_f64_e32 v[8:9], v[88:89], v[138:139]
	v_fma_f64 v[10:11], v[96:97], v[140:141], -v[10:11]
	v_fmac_f64_e32 v[12:13], v[98:99], v[140:141]
	v_add_f64_e32 v[0:1], v[0:1], v[4:5]
	v_add_f64_e32 v[2:3], v[2:3], v[14:15]
	v_mul_f64_e32 v[4:5], v[94:95], v[134:135]
	v_mul_f64_e32 v[14:15], v[92:93], v[134:135]
	v_fma_f64 v[6:7], v[88:89], v[136:137], -v[6:7]
	v_fmac_f64_e32 v[8:9], v[90:91], v[136:137]
	v_add_f64_e32 v[0:1], v[0:1], v[10:11]
	v_add_f64_e32 v[2:3], v[2:3], v[12:13]
	v_fma_f64 v[4:5], v[92:93], v[132:133], -v[4:5]
	v_fmac_f64_e32 v[14:15], v[94:95], v[132:133]
	s_delay_alu instid0(VALU_DEP_4) | instskip(NEXT) | instid1(VALU_DEP_4)
	v_add_f64_e32 v[0:1], v[0:1], v[6:7]
	v_add_f64_e32 v[2:3], v[2:3], v[8:9]
	s_delay_alu instid0(VALU_DEP_2) | instskip(NEXT) | instid1(VALU_DEP_2)
	v_add_f64_e32 v[0:1], v[0:1], v[4:5]
	v_add_f64_e32 v[2:3], v[2:3], v[14:15]
	v_add_nc_u64_e32 v[4:5], s[20:21], v[162:163]
	s_cbranch_scc1 .LBB128_78
.LBB128_74:                             ;   Parent Loop BB128_4 Depth=1
                                        ; =>  This Inner Loop Header: Depth=2
	s_and_saveexec_b32 s68, s0
	s_cbranch_execz .LBB128_76
; %bb.75:                               ;   in Loop: Header=BB128_74 Depth=2
	s_mul_u64 s[70:71], s[28:29], s[36:37]
	s_delay_alu instid0(SALU_CYCLE_1)
	v_lshl_add_u64 v[6:7], s[70:71], 4, v[160:161]
	global_load_b128 v[6:9], v[6:7], off
	s_wait_loadcnt 0x0
	ds_store_2addr_b64 v185, v[6:7], v[8:9] offset1:1
.LBB128_76:                             ;   in Loop: Header=BB128_74 Depth=2
	s_wait_xcnt 0x0
	s_or_b32 exec_lo, exec_lo, s68
	s_delay_alu instid0(VALU_DEP_1) | instskip(SKIP_3) | instid1(VALU_DEP_1)
	v_add_nc_u64_e32 v[6:7], s[60:61], v[4:5]
	s_wait_dscnt 0x0
	s_barrier_signal -1
	s_barrier_wait -1
	v_add_nc_u64_e32 v[8:9], s[60:61], v[6:7]
	s_delay_alu instid0(VALU_DEP_1)
	v_add_nc_u64_e32 v[34:35], s[60:61], v[8:9]
	s_clause 0x3
	global_load_b128 v[16:19], v[4:5], off
	global_load_b128 v[12:15], v[6:7], off
	;; [unrolled: 1-line block ×4, first 2 shown]
	ds_load_b128 v[20:23], v164
	ds_load_b128 v[40:43], v186
	s_wait_loadcnt_dscnt 0x301
	v_mul_f64_e32 v[26:27], v[18:19], v[22:23]
	v_mul_f64_e32 v[24:25], v[16:17], v[22:23]
	s_wait_loadcnt 0x2
	v_mul_f64_e32 v[30:31], v[14:15], v[22:23]
	v_mul_f64_e32 v[28:29], v[12:13], v[22:23]
	s_wait_loadcnt 0x1
	;; [unrolled: 3-line block ×3, first 2 shown]
	v_mul_f64_e32 v[38:39], v[6:7], v[22:23]
	v_mul_f64_e32 v[54:55], v[4:5], v[22:23]
	v_fma_f64 v[22:23], v[16:17], v[20:21], -v[26:27]
	v_fmac_f64_e32 v[24:25], v[18:19], v[20:21]
	v_fma_f64 v[26:27], v[12:13], v[20:21], -v[30:31]
	v_fmac_f64_e32 v[28:29], v[14:15], v[20:21]
	;; [unrolled: 2-line block ×4, first 2 shown]
	v_add_nc_u64_e32 v[20:21], s[20:21], v[34:35]
	ds_load_b128 v[48:51], v186 offset:16
	ds_load_b128 v[44:47], v186 offset:32
	;; [unrolled: 1-line block ×3, first 2 shown]
	ds_store_b128 v187, v[22:25]
	ds_store_b128 v187, v[26:29] offset:1072
	ds_store_b128 v187, v[30:33] offset:2144
	;; [unrolled: 1-line block ×3, first 2 shown]
	v_add_nc_u64_e32 v[56:57], s[60:61], v[20:21]
	s_wait_dscnt 0x0
	s_barrier_signal -1
	s_barrier_wait -1
	ds_load_b128 v[196:199], v188
	ds_load_b128 v[108:111], v188 offset:16
	ds_load_b128 v[100:103], v188 offset:32
	;; [unrolled: 1-line block ×3, first 2 shown]
	s_wait_dscnt 0x0
	v_add_nc_u64_e32 v[58:59], s[60:61], v[56:57]
	s_barrier_signal -1
	s_barrier_wait -1
	s_delay_alu instid0(VALU_DEP_1)
	v_add_nc_u64_e32 v[66:67], s[60:61], v[58:59]
	s_clause 0x3
	global_load_b128 v[32:35], v[20:21], off
	global_load_b128 v[28:31], v[56:57], off
	;; [unrolled: 1-line block ×4, first 2 shown]
	ds_load_b128 v[52:55], v164
	ds_load_b128 v[72:75], v186 offset:256
	s_wait_loadcnt_dscnt 0x301
	s_wait_xcnt 0x1
	v_mul_f64_e32 v[58:59], v[34:35], v[54:55]
	v_mul_f64_e32 v[56:57], v[32:33], v[54:55]
	s_wait_loadcnt 0x2
	v_mul_f64_e32 v[62:63], v[30:31], v[54:55]
	v_mul_f64_e32 v[60:61], v[28:29], v[54:55]
	s_wait_loadcnt 0x1
	;; [unrolled: 3-line block ×3, first 2 shown]
	v_mul_f64_e32 v[70:71], v[22:23], v[54:55]
	v_mul_f64_e32 v[90:91], v[20:21], v[54:55]
	v_fma_f64 v[54:55], v[32:33], v[52:53], -v[58:59]
	v_fmac_f64_e32 v[56:57], v[34:35], v[52:53]
	v_fma_f64 v[58:59], v[28:29], v[52:53], -v[62:63]
	v_fmac_f64_e32 v[60:61], v[30:31], v[52:53]
	;; [unrolled: 2-line block ×4, first 2 shown]
	v_add_nc_u64_e32 v[52:53], s[20:21], v[66:67]
	ds_load_b128 v[80:83], v186 offset:272
	ds_load_b128 v[76:79], v186 offset:288
	;; [unrolled: 1-line block ×3, first 2 shown]
	ds_store_b128 v187, v[54:57]
	ds_store_b128 v187, v[58:61] offset:1072
	ds_store_b128 v187, v[62:65] offset:2144
	;; [unrolled: 1-line block ×3, first 2 shown]
	v_add_nc_u64_e32 v[92:93], s[60:61], v[52:53]
	s_wait_dscnt 0x0
	s_barrier_signal -1
	s_barrier_wait -1
	ds_load_b128 v[200:203], v188
	ds_load_b128 v[204:207], v188 offset:16
	ds_load_b128 v[208:211], v188 offset:32
	;; [unrolled: 1-line block ×3, first 2 shown]
	s_wait_dscnt 0x0
	v_add_nc_u64_e32 v[94:95], s[60:61], v[92:93]
	s_barrier_signal -1
	s_barrier_wait -1
	s_delay_alu instid0(VALU_DEP_1)
	v_add_nc_u64_e32 v[98:99], s[60:61], v[94:95]
	s_clause 0x2
	global_load_b128 v[64:67], v[52:53], off
	global_load_b128 v[60:63], v[92:93], off
	;; [unrolled: 1-line block ×4, first 2 shown]
	ds_load_b128 v[88:91], v164
	ds_load_b128 v[116:119], v186 offset:512
	v_add_f64_e32 v[200:201], 0, v[200:201]
	v_add_f64_e32 v[202:203], 0, v[202:203]
	s_delay_alu instid0(VALU_DEP_2) | instskip(NEXT) | instid1(VALU_DEP_2)
	v_add_f64_e32 v[200:201], v[200:201], v[204:205]
	v_add_f64_e32 v[202:203], v[202:203], v[206:207]
	s_delay_alu instid0(VALU_DEP_2) | instskip(NEXT) | instid1(VALU_DEP_2)
	v_add_f64_e32 v[200:201], v[200:201], v[208:209]
	v_add_f64_e32 v[202:203], v[202:203], v[210:211]
	s_wait_loadcnt_dscnt 0x301
	s_wait_xcnt 0x1
	v_mul_f64_e32 v[94:95], v[66:67], v[90:91]
	v_mul_f64_e32 v[92:93], v[64:65], v[90:91]
	s_wait_loadcnt 0x2
	v_mul_f64_e32 v[104:105], v[62:63], v[90:91]
	v_mul_f64_e32 v[96:97], v[60:61], v[90:91]
	s_wait_loadcnt 0x1
	;; [unrolled: 3-line block ×3, first 2 shown]
	v_mul_f64_e32 v[114:115], v[58:59], v[90:91]
	v_mul_f64_e32 v[130:131], v[56:57], v[90:91]
	v_fma_f64 v[90:91], v[64:65], v[88:89], -v[94:95]
	v_fmac_f64_e32 v[92:93], v[66:67], v[88:89]
	v_fma_f64 v[94:95], v[60:61], v[88:89], -v[104:105]
	v_fmac_f64_e32 v[96:97], v[62:63], v[88:89]
	;; [unrolled: 2-line block ×4, first 2 shown]
	v_add_nc_u64_e32 v[88:89], s[20:21], v[98:99]
	ds_load_b128 v[124:127], v186 offset:528
	ds_load_b128 v[120:123], v186 offset:544
	;; [unrolled: 1-line block ×3, first 2 shown]
	ds_store_b128 v187, v[90:93]
	ds_store_b128 v187, v[94:97] offset:1072
	ds_store_b128 v187, v[104:107] offset:2144
	;; [unrolled: 1-line block ×3, first 2 shown]
	s_wait_xcnt 0x0
	v_add_nc_u64_e32 v[98:99], s[60:61], v[88:89]
	s_wait_dscnt 0x0
	s_barrier_signal -1
	s_barrier_wait -1
	ds_load_b128 v[216:219], v188
	ds_load_b128 v[220:223], v188 offset:16
	ds_load_b128 v[224:227], v188 offset:32
	ds_load_b128 v[228:231], v188 offset:48
	s_wait_dscnt 0x0
	v_add_nc_u64_e32 v[132:133], s[60:61], v[98:99]
	s_barrier_signal -1
	s_barrier_wait -1
	s_delay_alu instid0(VALU_DEP_1)
	v_add_nc_u64_e32 v[162:163], s[60:61], v[132:133]
	global_load_b128 v[104:107], v[88:89], off
	global_load_b128 v[96:99], v[98:99], off
	;; [unrolled: 1-line block ×4, first 2 shown]
	s_wait_xcnt 0x1
	ds_load_b128 v[132:135], v164
	ds_load_b128 v[128:131], v186 offset:768
	v_add_f64_e32 v[216:217], 0, v[216:217]
	v_add_f64_e32 v[218:219], 0, v[218:219]
	s_delay_alu instid0(VALU_DEP_2) | instskip(NEXT) | instid1(VALU_DEP_2)
	v_add_f64_e32 v[204:205], v[216:217], v[220:221]
	v_add_f64_e32 v[206:207], v[218:219], v[222:223]
	s_delay_alu instid0(VALU_DEP_2) | instskip(NEXT) | instid1(VALU_DEP_2)
	v_add_f64_e32 v[204:205], v[204:205], v[224:225]
	v_add_f64_e32 v[206:207], v[206:207], v[226:227]
	s_wait_loadcnt_dscnt 0x301
	v_mul_f64_e32 v[136:137], v[106:107], v[134:135]
	v_mul_f64_e32 v[234:235], v[104:105], v[134:135]
	s_wait_loadcnt 0x2
	v_mul_f64_e32 v[138:139], v[98:99], v[134:135]
	v_mul_f64_e32 v[238:239], v[96:97], v[134:135]
	s_wait_loadcnt 0x1
	;; [unrolled: 3-line block ×3, first 2 shown]
	v_mul_f64_e32 v[142:143], v[94:95], v[134:135]
	v_mul_f64_e32 v[246:247], v[92:93], v[134:135]
	v_fma_f64 v[232:233], v[104:105], v[132:133], -v[136:137]
	v_fmac_f64_e32 v[234:235], v[106:107], v[132:133]
	v_fma_f64 v[236:237], v[96:97], v[132:133], -v[138:139]
	v_fmac_f64_e32 v[238:239], v[98:99], v[132:133]
	;; [unrolled: 2-line block ×4, first 2 shown]
	ds_load_b128 v[140:143], v186 offset:784
	ds_load_b128 v[136:139], v186 offset:800
	ds_load_b128 v[132:135], v186 offset:816
	ds_store_b128 v187, v[232:235]
	ds_store_b128 v187, v[236:239] offset:1072
	ds_store_b128 v187, v[240:243] offset:2144
	;; [unrolled: 1-line block ×3, first 2 shown]
	s_wait_dscnt 0x0
	s_barrier_signal -1
	s_barrier_wait -1
	ds_load_b128 v[232:235], v188
	v_add_f64_e32 v[236:237], 0, v[196:197]
	v_add_f64_e32 v[238:239], 0, v[198:199]
	ds_load_b128 v[196:199], v188 offset:16
	s_wait_dscnt 0x1
	v_add_f64_e32 v[232:233], 0, v[232:233]
	v_add_f64_e32 v[234:235], 0, v[234:235]
	v_add_f64_e32 v[236:237], v[236:237], v[108:109]
	v_add_f64_e32 v[238:239], v[238:239], v[110:111]
	ds_load_b128 v[108:111], v188 offset:32
	s_wait_dscnt 0x1
	v_add_f64_e32 v[196:197], v[232:233], v[196:197]
	v_add_f64_e32 v[198:199], v[234:235], v[198:199]
	;; [unrolled: 1-line block ×4, first 2 shown]
	ds_load_b128 v[100:103], v188 offset:48
	s_wait_dscnt 0x0
	s_barrier_signal -1
	s_barrier_wait -1
	v_add_f64_e32 v[208:209], v[196:197], v[108:109]
	v_add_f64_e32 v[210:211], v[198:199], v[110:111]
	;; [unrolled: 1-line block ×10, first 2 shown]
	ds_store_b128 v195, v[84:87]
	ds_store_b128 v195, v[108:111] offset:256
	ds_store_b128 v195, v[196:199] offset:512
	ds_store_b128 v195, v[100:103] offset:768
	s_wait_dscnt 0x0
	s_barrier_signal -1
	s_barrier_wait -1
	s_wait_xcnt 0x0
	s_and_saveexec_b32 s68, s18
	s_cbranch_execz .LBB128_73
; %bb.77:                               ;   in Loop: Header=BB128_74 Depth=2
	ds_load_b128 v[84:87], v189
	ds_load_b128 v[100:103], v189 offset:16
	s_wait_dscnt 0x0
	v_add_f64_e32 v[108:109], v[100:101], v[84:85]
	v_add_f64_e32 v[110:111], v[102:103], v[86:87]
	ds_load_b128 v[84:87], v189 offset:32
	ds_load_b128 v[100:103], v189 offset:48
	s_wait_dscnt 0x1
	v_add_f64_e32 v[84:85], v[108:109], v[84:85]
	v_add_f64_e32 v[86:87], v[110:111], v[86:87]
	s_wait_dscnt 0x0
	s_delay_alu instid0(VALU_DEP_2) | instskip(NEXT) | instid1(VALU_DEP_2)
	v_add_f64_e32 v[108:109], v[84:85], v[100:101]
	v_add_f64_e32 v[110:111], v[86:87], v[102:103]
	ds_load_b128 v[84:87], v189 offset:64
	ds_load_b128 v[100:103], v189 offset:80
	s_wait_dscnt 0x1
	v_add_f64_e32 v[84:85], v[108:109], v[84:85]
	v_add_f64_e32 v[86:87], v[110:111], v[86:87]
	s_wait_dscnt 0x0
	s_delay_alu instid0(VALU_DEP_2) | instskip(NEXT) | instid1(VALU_DEP_2)
	;; [unrolled: 9-line block ×6, first 2 shown]
	v_add_f64_e32 v[108:109], v[84:85], v[100:101]
	v_add_f64_e32 v[110:111], v[86:87], v[102:103]
	ds_load_b128 v[84:87], v189 offset:224
	ds_load_b128 v[100:103], v190
	s_wait_dscnt 0x1
	v_add_f64_e32 v[84:85], v[108:109], v[84:85]
	v_add_f64_e32 v[86:87], v[110:111], v[86:87]
	s_wait_dscnt 0x0
	s_delay_alu instid0(VALU_DEP_2) | instskip(NEXT) | instid1(VALU_DEP_2)
	v_add_f64_e32 v[84:85], v[84:85], v[100:101]
	v_dual_add_f64 v[86:87], v[86:87], v[102:103] :: v_dual_add_nc_u32 v100, s36, v144
	global_store_b128 v100, v[84:87], s[62:63] scale_offset
	s_branch .LBB128_73
.LBB128_78:                             ;   in Loop: Header=BB128_4 Depth=1
	ds_store_b128 v191, v[0:3]
	s_wait_dscnt 0x0
	s_barrier_signal -1
	s_barrier_wait -1
	s_and_saveexec_b32 s35, s66
	s_cbranch_execz .LBB128_2
; %bb.79:                               ;   in Loop: Header=BB128_4 Depth=1
	ds_load_b128 v[0:3], v145 offset:1072
	ds_load_b128 v[4:7], v145
	s_wait_dscnt 0x0
	v_add_f64_e32 v[8:9], v[0:1], v[4:5]
	v_add_f64_e32 v[10:11], v[2:3], v[6:7]
	ds_load_b128 v[0:3], v145 offset:2144
	ds_load_b128 v[4:7], v145 offset:3216
	s_wait_dscnt 0x1
	v_add_f64_e32 v[0:1], v[8:9], v[0:1]
	v_add_f64_e32 v[2:3], v[10:11], v[2:3]
	s_wait_dscnt 0x0
	s_delay_alu instid0(VALU_DEP_2) | instskip(NEXT) | instid1(VALU_DEP_2)
	v_add_f64_e32 v[0:1], v[0:1], v[4:5]
	v_add_f64_e32 v[2:3], v[2:3], v[6:7]
	v_lshl_add_u64 v[4:5], v[148:149], 4, s[62:63]
	global_store_b128 v[4:5], v[0:3], off
	s_branch .LBB128_2
.LBB128_80:                             ;   in Loop: Header=BB128_4 Depth=1
	ds_load_b128 v[0:3], v170
	s_wait_dscnt 0x0
	ds_store_b128 v169, v[0:3]
	s_or_b32 exec_lo, exec_lo, s36
	s_and_saveexec_b32 s36, s8
	s_cbranch_execz .LBB128_27
.LBB128_81:                             ;   in Loop: Header=BB128_4 Depth=1
	ds_load_b128 v[0:3], v172
	s_wait_dscnt 0x0
	ds_store_b128 v171, v[0:3]
	s_or_b32 exec_lo, exec_lo, s36
	s_and_saveexec_b32 s36, s9
	s_cbranch_execz .LBB128_28
.LBB128_82:                             ;   in Loop: Header=BB128_4 Depth=1
	ds_load_b128 v[0:3], v174
	s_wait_dscnt 0x0
	ds_store_b128 v173, v[0:3]
	s_or_b32 exec_lo, exec_lo, s36
	s_and_saveexec_b32 s36, s10
	s_cbranch_execnz .LBB128_29
	s_branch .LBB128_30
.LBB128_83:                             ;   in Loop: Header=BB128_4 Depth=1
	ds_load_b128 v[6:9], v170
	s_wait_dscnt 0x0
	ds_store_b128 v180, v[6:9]
	s_or_b32 exec_lo, exec_lo, s36
	s_and_saveexec_b32 s36, s8
	s_cbranch_execz .LBB128_48
.LBB128_84:                             ;   in Loop: Header=BB128_4 Depth=1
	ds_load_b128 v[6:9], v172
	s_wait_dscnt 0x0
	ds_store_b128 v181, v[6:9]
	s_or_b32 exec_lo, exec_lo, s36
	s_and_saveexec_b32 s36, s9
	s_cbranch_execz .LBB128_49
.LBB128_85:                             ;   in Loop: Header=BB128_4 Depth=1
	ds_load_b128 v[6:9], v174
	s_wait_dscnt 0x0
	ds_store_b128 v182, v[6:9]
	s_or_b32 exec_lo, exec_lo, s36
	s_and_saveexec_b32 s36, s10
	s_cbranch_execnz .LBB128_50
	s_branch .LBB128_51
.LBB128_86:                             ;   in Loop: Header=BB128_4 Depth=1
	global_load_b128 v[6:9], v[0:1], off
	s_wait_loadcnt 0x0
	ds_store_2addr_b64 v165, v[6:7], v[8:9] offset1:1
	s_wait_xcnt 0x0
	s_or_b32 exec_lo, exec_lo, s36
	s_and_saveexec_b32 s36, s4
	s_delay_alu instid0(SALU_CYCLE_1)
	s_xor_b32 s36, exec_lo, s36
	s_cbranch_execz .LBB128_18
.LBB128_87:                             ;   in Loop: Header=BB128_4 Depth=1
	v_dual_mov_b32 v6, v147 :: v_dual_mov_b32 v7, v147
	v_dual_mov_b32 v8, v147 :: v_dual_mov_b32 v9, v147
	ds_store_b128 v166, v[6:9]
	s_and_not1_saveexec_b32 s36, s36
	s_cbranch_execz .LBB128_19
.LBB128_88:                             ;   in Loop: Header=BB128_4 Depth=1
	v_add_nc_u64_e32 v[2:3], s[26:27], v[0:1]
	global_load_b128 v[6:9], v[2:3], off
	s_wait_loadcnt 0x0
	ds_store_2addr_b64 v166, v[6:7], v[8:9] offset1:1
	s_wait_xcnt 0x0
	s_or_b32 exec_lo, exec_lo, s36
	s_and_saveexec_b32 s36, s5
	s_delay_alu instid0(SALU_CYCLE_1)
	s_xor_b32 s36, exec_lo, s36
	s_cbranch_execz .LBB128_20
.LBB128_89:                             ;   in Loop: Header=BB128_4 Depth=1
	v_dual_mov_b32 v6, v147 :: v_dual_mov_b32 v7, v147
	v_dual_mov_b32 v8, v147 :: v_dual_mov_b32 v9, v147
	ds_store_b128 v167, v[6:9]
	s_and_not1_saveexec_b32 s36, s36
	s_cbranch_execz .LBB128_21
.LBB128_90:                             ;   in Loop: Header=BB128_4 Depth=1
	v_add_nc_u64_e32 v[2:3], s[42:43], v[0:1]
	global_load_b128 v[6:9], v[2:3], off
	s_wait_loadcnt 0x0
	ds_store_2addr_b64 v167, v[6:7], v[8:9] offset1:1
	s_wait_xcnt 0x0
	s_or_b32 exec_lo, exec_lo, s36
	s_and_saveexec_b32 s36, s6
	s_delay_alu instid0(SALU_CYCLE_1)
	s_xor_b32 s36, exec_lo, s36
	s_cbranch_execz .LBB128_22
.LBB128_91:                             ;   in Loop: Header=BB128_4 Depth=1
	v_dual_mov_b32 v6, v147 :: v_dual_mov_b32 v7, v147
	v_dual_mov_b32 v8, v147 :: v_dual_mov_b32 v9, v147
	ds_store_b128 v168, v[6:9]
	s_and_not1_saveexec_b32 s36, s36
	s_cbranch_execnz .LBB128_23
	s_branch .LBB128_24
.LBB128_92:                             ;   in Loop: Header=BB128_4 Depth=1
	global_load_b128 v[8:11], v[6:7], off
	s_wait_loadcnt 0x0
	ds_store_2addr_b64 v165, v[8:9], v[10:11] offset1:1
	s_wait_xcnt 0x0
	s_or_b32 exec_lo, exec_lo, s36
	s_and_saveexec_b32 s36, s14
	s_delay_alu instid0(SALU_CYCLE_1)
	s_xor_b32 s36, exec_lo, s36
	s_cbranch_execz .LBB128_39
.LBB128_93:                             ;   in Loop: Header=BB128_4 Depth=1
	v_dual_mov_b32 v8, v147 :: v_dual_mov_b32 v9, v147
	v_dual_mov_b32 v10, v147 :: v_dual_mov_b32 v11, v147
	ds_store_b128 v166, v[8:11]
	s_and_not1_saveexec_b32 s36, s36
	s_cbranch_execz .LBB128_40
.LBB128_94:                             ;   in Loop: Header=BB128_4 Depth=1
	v_add_nc_u64_e32 v[8:9], s[26:27], v[6:7]
	global_load_b128 v[8:11], v[8:9], off
	s_wait_loadcnt 0x0
	ds_store_2addr_b64 v166, v[8:9], v[10:11] offset1:1
	s_wait_xcnt 0x0
	s_or_b32 exec_lo, exec_lo, s36
	s_and_saveexec_b32 s36, s15
	s_delay_alu instid0(SALU_CYCLE_1)
	s_xor_b32 s36, exec_lo, s36
	s_cbranch_execz .LBB128_41
.LBB128_95:                             ;   in Loop: Header=BB128_4 Depth=1
	v_dual_mov_b32 v8, v147 :: v_dual_mov_b32 v9, v147
	v_dual_mov_b32 v10, v147 :: v_dual_mov_b32 v11, v147
	ds_store_b128 v167, v[8:11]
	s_and_not1_saveexec_b32 s36, s36
	s_cbranch_execz .LBB128_42
.LBB128_96:                             ;   in Loop: Header=BB128_4 Depth=1
	v_add_nc_u64_e32 v[8:9], s[42:43], v[6:7]
	global_load_b128 v[8:11], v[8:9], off
	s_wait_loadcnt 0x0
	ds_store_2addr_b64 v167, v[8:9], v[10:11] offset1:1
	s_wait_xcnt 0x0
	s_or_b32 exec_lo, exec_lo, s36
	s_and_saveexec_b32 s36, s16
	s_delay_alu instid0(SALU_CYCLE_1)
	s_xor_b32 s36, exec_lo, s36
	s_cbranch_execz .LBB128_43
.LBB128_97:                             ;   in Loop: Header=BB128_4 Depth=1
	v_dual_mov_b32 v8, v147 :: v_dual_mov_b32 v9, v147
	v_dual_mov_b32 v10, v147 :: v_dual_mov_b32 v11, v147
	ds_store_b128 v168, v[8:11]
	s_and_not1_saveexec_b32 s36, s36
	s_cbranch_execnz .LBB128_44
	s_branch .LBB128_45
.LBB128_98:                             ;   in Loop: Header=BB128_4 Depth=1
	global_load_b128 v[6:9], v[4:5], off
	s_wait_loadcnt 0x0
	ds_store_2addr_b64 v165, v[6:7], v[8:9] offset1:1
	s_wait_xcnt 0x0
	s_or_b32 exec_lo, exec_lo, s36
	s_and_saveexec_b32 s36, s4
	s_delay_alu instid0(SALU_CYCLE_1)
	s_xor_b32 s36, exec_lo, s36
	s_cbranch_execz .LBB128_60
.LBB128_99:                             ;   in Loop: Header=BB128_4 Depth=1
	v_dual_mov_b32 v6, v147 :: v_dual_mov_b32 v7, v147
	v_dual_mov_b32 v8, v147 :: v_dual_mov_b32 v9, v147
	ds_store_b128 v166, v[6:9]
	s_and_not1_saveexec_b32 s36, s36
	s_cbranch_execz .LBB128_61
.LBB128_100:                            ;   in Loop: Header=BB128_4 Depth=1
	v_add_nc_u64_e32 v[6:7], s[26:27], v[4:5]
	global_load_b128 v[6:9], v[6:7], off
	s_wait_loadcnt 0x0
	ds_store_2addr_b64 v166, v[6:7], v[8:9] offset1:1
	s_wait_xcnt 0x0
	s_or_b32 exec_lo, exec_lo, s36
	s_and_saveexec_b32 s36, s5
	s_delay_alu instid0(SALU_CYCLE_1)
	s_xor_b32 s36, exec_lo, s36
	s_cbranch_execz .LBB128_62
.LBB128_101:                            ;   in Loop: Header=BB128_4 Depth=1
	v_dual_mov_b32 v6, v147 :: v_dual_mov_b32 v7, v147
	v_dual_mov_b32 v8, v147 :: v_dual_mov_b32 v9, v147
	ds_store_b128 v167, v[6:9]
	s_and_not1_saveexec_b32 s36, s36
	s_cbranch_execz .LBB128_63
.LBB128_102:                            ;   in Loop: Header=BB128_4 Depth=1
	v_add_nc_u64_e32 v[6:7], s[42:43], v[4:5]
	global_load_b128 v[6:9], v[6:7], off
	s_wait_loadcnt 0x0
	ds_store_2addr_b64 v167, v[6:7], v[8:9] offset1:1
	s_wait_xcnt 0x0
	s_or_b32 exec_lo, exec_lo, s36
	s_and_saveexec_b32 s36, s6
	s_delay_alu instid0(SALU_CYCLE_1)
	s_xor_b32 s36, exec_lo, s36
	s_cbranch_execz .LBB128_64
.LBB128_103:                            ;   in Loop: Header=BB128_4 Depth=1
	v_dual_mov_b32 v6, v147 :: v_dual_mov_b32 v7, v147
	v_dual_mov_b32 v8, v147 :: v_dual_mov_b32 v9, v147
	ds_store_b128 v168, v[6:9]
	s_and_not1_saveexec_b32 s36, s36
	s_cbranch_execnz .LBB128_65
	s_branch .LBB128_66
.LBB128_104:
	s_sendmsg sendmsg(MSG_DEALLOC_VGPRS)
	s_endpgm
	.section	.rodata,"a",@progbits
	.p2align	6, 0x0
	.amdhsa_kernel _ZL26rocblas_hemvn_kernel_lowerILb0ELi64ELi4ELi33ELi32ELi16El19rocblas_complex_numIdEPKS1_PS1_EviT6_lT7_lT5_lS6_lS7_lS5_lT8_i
		.amdhsa_group_segment_fixed_size 19200
		.amdhsa_private_segment_fixed_size 0
		.amdhsa_kernarg_size 392
		.amdhsa_user_sgpr_count 2
		.amdhsa_user_sgpr_dispatch_ptr 0
		.amdhsa_user_sgpr_queue_ptr 0
		.amdhsa_user_sgpr_kernarg_segment_ptr 1
		.amdhsa_user_sgpr_dispatch_id 0
		.amdhsa_user_sgpr_kernarg_preload_length 0
		.amdhsa_user_sgpr_kernarg_preload_offset 0
		.amdhsa_user_sgpr_private_segment_size 0
		.amdhsa_wavefront_size32 1
		.amdhsa_uses_dynamic_stack 0
		.amdhsa_enable_private_segment 0
		.amdhsa_system_sgpr_workgroup_id_x 1
		.amdhsa_system_sgpr_workgroup_id_y 0
		.amdhsa_system_sgpr_workgroup_id_z 1
		.amdhsa_system_sgpr_workgroup_info 0
		.amdhsa_system_vgpr_workitem_id 1
		.amdhsa_next_free_vgpr 248
		.amdhsa_next_free_sgpr 72
		.amdhsa_named_barrier_count 0
		.amdhsa_reserve_vcc 1
		.amdhsa_float_round_mode_32 0
		.amdhsa_float_round_mode_16_64 0
		.amdhsa_float_denorm_mode_32 3
		.amdhsa_float_denorm_mode_16_64 3
		.amdhsa_fp16_overflow 0
		.amdhsa_memory_ordered 1
		.amdhsa_forward_progress 1
		.amdhsa_inst_pref_size 63
		.amdhsa_round_robin_scheduling 0
		.amdhsa_exception_fp_ieee_invalid_op 0
		.amdhsa_exception_fp_denorm_src 0
		.amdhsa_exception_fp_ieee_div_zero 0
		.amdhsa_exception_fp_ieee_overflow 0
		.amdhsa_exception_fp_ieee_underflow 0
		.amdhsa_exception_fp_ieee_inexact 0
		.amdhsa_exception_int_div_zero 0
	.end_amdhsa_kernel
	.section	.text._ZL26rocblas_hemvn_kernel_lowerILb0ELi64ELi4ELi33ELi32ELi16El19rocblas_complex_numIdEPKS1_PS1_EviT6_lT7_lT5_lS6_lS7_lS5_lT8_i,"axG",@progbits,_ZL26rocblas_hemvn_kernel_lowerILb0ELi64ELi4ELi33ELi32ELi16El19rocblas_complex_numIdEPKS1_PS1_EviT6_lT7_lT5_lS6_lS7_lS5_lT8_i,comdat
.Lfunc_end128:
	.size	_ZL26rocblas_hemvn_kernel_lowerILb0ELi64ELi4ELi33ELi32ELi16El19rocblas_complex_numIdEPKS1_PS1_EviT6_lT7_lT5_lS6_lS7_lS5_lT8_i, .Lfunc_end128-_ZL26rocblas_hemvn_kernel_lowerILb0ELi64ELi4ELi33ELi32ELi16El19rocblas_complex_numIdEPKS1_PS1_EviT6_lT7_lT5_lS6_lS7_lS5_lT8_i
                                        ; -- End function
	.set _ZL26rocblas_hemvn_kernel_lowerILb0ELi64ELi4ELi33ELi32ELi16El19rocblas_complex_numIdEPKS1_PS1_EviT6_lT7_lT5_lS6_lS7_lS5_lT8_i.num_vgpr, 248
	.set _ZL26rocblas_hemvn_kernel_lowerILb0ELi64ELi4ELi33ELi32ELi16El19rocblas_complex_numIdEPKS1_PS1_EviT6_lT7_lT5_lS6_lS7_lS5_lT8_i.num_agpr, 0
	.set _ZL26rocblas_hemvn_kernel_lowerILb0ELi64ELi4ELi33ELi32ELi16El19rocblas_complex_numIdEPKS1_PS1_EviT6_lT7_lT5_lS6_lS7_lS5_lT8_i.numbered_sgpr, 72
	.set _ZL26rocblas_hemvn_kernel_lowerILb0ELi64ELi4ELi33ELi32ELi16El19rocblas_complex_numIdEPKS1_PS1_EviT6_lT7_lT5_lS6_lS7_lS5_lT8_i.num_named_barrier, 0
	.set _ZL26rocblas_hemvn_kernel_lowerILb0ELi64ELi4ELi33ELi32ELi16El19rocblas_complex_numIdEPKS1_PS1_EviT6_lT7_lT5_lS6_lS7_lS5_lT8_i.private_seg_size, 0
	.set _ZL26rocblas_hemvn_kernel_lowerILb0ELi64ELi4ELi33ELi32ELi16El19rocblas_complex_numIdEPKS1_PS1_EviT6_lT7_lT5_lS6_lS7_lS5_lT8_i.uses_vcc, 1
	.set _ZL26rocblas_hemvn_kernel_lowerILb0ELi64ELi4ELi33ELi32ELi16El19rocblas_complex_numIdEPKS1_PS1_EviT6_lT7_lT5_lS6_lS7_lS5_lT8_i.uses_flat_scratch, 0
	.set _ZL26rocblas_hemvn_kernel_lowerILb0ELi64ELi4ELi33ELi32ELi16El19rocblas_complex_numIdEPKS1_PS1_EviT6_lT7_lT5_lS6_lS7_lS5_lT8_i.has_dyn_sized_stack, 0
	.set _ZL26rocblas_hemvn_kernel_lowerILb0ELi64ELi4ELi33ELi32ELi16El19rocblas_complex_numIdEPKS1_PS1_EviT6_lT7_lT5_lS6_lS7_lS5_lT8_i.has_recursion, 0
	.set _ZL26rocblas_hemvn_kernel_lowerILb0ELi64ELi4ELi33ELi32ELi16El19rocblas_complex_numIdEPKS1_PS1_EviT6_lT7_lT5_lS6_lS7_lS5_lT8_i.has_indirect_call, 0
	.section	.AMDGPU.csdata,"",@progbits
; Kernel info:
; codeLenInByte = 7952
; TotalNumSgprs: 74
; NumVgprs: 248
; ScratchSize: 0
; MemoryBound: 0
; FloatMode: 240
; IeeeMode: 1
; LDSByteSize: 19200 bytes/workgroup (compile time only)
; SGPRBlocks: 0
; VGPRBlocks: 15
; NumSGPRsForWavesPerEU: 74
; NumVGPRsForWavesPerEU: 248
; NamedBarCnt: 0
; Occupancy: 4
; WaveLimiterHint : 1
; COMPUTE_PGM_RSRC2:SCRATCH_EN: 0
; COMPUTE_PGM_RSRC2:USER_SGPR: 2
; COMPUTE_PGM_RSRC2:TRAP_HANDLER: 0
; COMPUTE_PGM_RSRC2:TGID_X_EN: 1
; COMPUTE_PGM_RSRC2:TGID_Y_EN: 0
; COMPUTE_PGM_RSRC2:TGID_Z_EN: 1
; COMPUTE_PGM_RSRC2:TIDIG_COMP_CNT: 1
	.section	.text._ZL26rocblas_hemvn_kernel_lowerILb0ELi64ELi4ELi33ELi32ELi16Ei19rocblas_complex_numIdEPKS1_PS1_EviT6_lT7_lT5_lS6_lS7_lS5_lT8_i,"axG",@progbits,_ZL26rocblas_hemvn_kernel_lowerILb0ELi64ELi4ELi33ELi32ELi16Ei19rocblas_complex_numIdEPKS1_PS1_EviT6_lT7_lT5_lS6_lS7_lS5_lT8_i,comdat
	.globl	_ZL26rocblas_hemvn_kernel_lowerILb0ELi64ELi4ELi33ELi32ELi16Ei19rocblas_complex_numIdEPKS1_PS1_EviT6_lT7_lT5_lS6_lS7_lS5_lT8_i ; -- Begin function _ZL26rocblas_hemvn_kernel_lowerILb0ELi64ELi4ELi33ELi32ELi16Ei19rocblas_complex_numIdEPKS1_PS1_EviT6_lT7_lT5_lS6_lS7_lS5_lT8_i
	.p2align	8
	.type	_ZL26rocblas_hemvn_kernel_lowerILb0ELi64ELi4ELi33ELi32ELi16Ei19rocblas_complex_numIdEPKS1_PS1_EviT6_lT7_lT5_lS6_lS7_lS5_lT8_i,@function
_ZL26rocblas_hemvn_kernel_lowerILb0ELi64ELi4ELi33ELi32ELi16Ei19rocblas_complex_numIdEPKS1_PS1_EviT6_lT7_lT5_lS6_lS7_lS5_lT8_i: ; @_ZL26rocblas_hemvn_kernel_lowerILb0ELi64ELi4ELi33ELi32ELi16Ei19rocblas_complex_numIdEPKS1_PS1_EviT6_lT7_lT5_lS6_lS7_lS5_lT8_i
; %bb.0:
	s_clause 0x1
	s_load_b64 s[2:3], s[0:1], 0x94
	s_load_b32 s19, s[0:1], 0x80
	s_bfe_u32 s4, ttmp6, 0x40014
	s_lshr_b32 s5, ttmp7, 16
	s_add_co_i32 s4, s4, 1
	s_bfe_u32 s6, ttmp6, 0x40008
	s_mul_i32 s4, s5, s4
	s_getreg_b32 s28, hwreg(HW_REG_IB_STS2, 6, 4)
	s_add_co_i32 s6, s6, s4
	s_mov_b32 s25, 0
	s_wait_kmcnt 0x0
	s_lshr_b32 s4, s2, 16
	s_and_b32 s2, s2, 0xffff
	s_and_b32 s3, s3, 0xffff
	s_mul_i32 s2, s4, s2
	s_cmp_eq_u32 s28, 0
	s_mul_i32 s2, s2, s3
	s_cselect_b32 s24, s5, s6
	s_cmp_lg_u32 s2, 0x100
	s_cselect_b32 s2, -1, 0
	s_cmp_ge_u32 s24, s19
	s_cselect_b32 s3, -1, 0
	s_delay_alu instid0(SALU_CYCLE_1) | instskip(NEXT) | instid1(SALU_CYCLE_1)
	s_or_b32 s2, s2, s3
	s_and_b32 vcc_lo, exec_lo, s2
	s_cbranch_vccnz .LBB129_104
; %bb.1:
	s_clause 0x1
	s_load_b128 s[12:15], s[0:1], 0x8
	s_load_b32 s2, s[0:1], 0x0
	s_add_nc_u64 s[34:35], s[0:1], 0x88
	s_clause 0x6
	s_load_b128 s[4:7], s[0:1], 0x20
	s_load_b32 s58, s[0:1], 0x30
	s_load_b128 s[20:23], s[0:1], 0x38
	s_load_b96 s[16:18], s[0:1], 0x48
	s_load_b64 s[30:31], s[0:1], 0x78
	s_load_b64 s[26:27], s[0:1], 0x58
	s_load_b128 s[8:11], s[0:1], 0x60
	v_bfe_u32 v1, v0, 10, 10
	v_and_b32_e32 v144, 0x3ff, v0
	s_load_b32 s36, s[34:35], 0x0
	v_and_b32_e32 v146, 31, v0
	s_bfe_u32 s29, ttmp6, 0x4000c
	v_lshlrev_b32_e32 v6, 6, v1
	s_add_co_i32 s29, s29, 1
	v_lshlrev_b32_e32 v166, 4, v144
	s_and_b32 s3, ttmp6, 15
	s_mov_b32 s37, s25
	v_dual_add_nc_u32 v7, v6, v144 :: v_dual_lshlrev_b32 v8, 4, v146
	s_wait_xcnt 0x0
	v_cmp_eq_u32_e64 s0, 0, v1
	v_add_nc_u32_e32 v167, 0x4700, v166
	v_add_nc_u32_e32 v188, 0x4300, v6
	s_wait_kmcnt 0x0
	v_cmp_neq_f64_e64 s1, s[12:13], 0
	v_cmp_neq_f64_e64 s12, s[14:15], 0
	v_lshrrev_b32_e32 v9, 5, v7
	s_mul_i32 s13, ttmp9, s29
	s_ashr_i32 s59, s58, 31
	s_add_co_i32 s13, s3, s13
	s_ashr_i32 s3, s2, 31
	s_cmp_eq_u32 s28, 0
	v_mad_u32 v2, s58, v9, v146
	s_cselect_b32 s33, ttmp9, s13
	s_mul_u64 s[28:29], s[36:37], s[2:3]
	s_lshl_b32 s44, s33, 6
	s_lshr_b32 s3, s3, 26
	v_add_nc_u32_e32 v148, s44, v144
	s_add_co_i32 s3, s2, s3
	v_cmp_neq_f64_e64 s50, s[10:11], 0
	s_and_not1_b32 s3, s3, 63
	s_add_co_i32 s10, s36, -1
	v_cmp_neq_f64_e64 s48, s[8:9], 1.0
	v_ashrrev_i32_e32 v3, 31, v2
	v_mul_lo_u32 v4, s18, v148
	s_lshl_b64 s[8:9], s[16:17], 4
	s_lshl_b64 s[6:7], s[6:7], 4
	s_sub_co_i32 s3, s2, s3
	s_add_nc_u64 s[8:9], s[22:23], s[8:9]
	s_add_nc_u64 s[4:5], s[4:5], s[6:7]
	v_dual_add_nc_u32 v10, 24, v9 :: v_dual_lshlrev_b32 v11, 2, v9
	v_lshl_or_b32 v12, v146, 9, v8
	v_dual_lshlrev_b32 v13, 6, v9 :: v_dual_mov_b32 v147, 0
	s_delay_alu instid0(VALU_DEP_4)
	v_ashrrev_i32_e32 v5, 31, v4
	s_mul_i32 s46, s58, s44
	s_or_b32 s49, s1, s12
	s_cmp_eq_u32 s33, s10
	v_or_b32_e32 v14, 1, v11
	s_cselect_b32 s22, s3, 0
	v_lshl_add_u64 v[150:151], v[4:5], 4, s[8:9]
	s_cmp_eq_u32 s22, 0
	v_dual_add_nc_u32 v172, v12, v13 :: v_dual_bitop2_b32 v12, 2, v11 bitop3:0x54
	s_cselect_b32 s64, -1, 0
	s_cmp_lg_u32 s22, 0
	v_mad_u32_u24 v168, 0x210, v9, v8
	s_cselect_b32 s1, -1, 0
	s_ashr_i32 s45, s44, 31
	s_ashr_i32 s47, s46, 31
	s_lshl_b64 s[6:7], s[44:45], 4
	v_mad_u32_u24 v173, 0x840, v9, v8
	s_add_nc_u64 s[4:5], s[4:5], s[6:7]
	v_cmp_lt_u32_e64 s7, v11, v146
	v_lshl_add_u64 v[4:5], v[2:3], 4, s[4:5]
	v_add_nc_u32_e32 v174, 16, v172
	v_mad_u32_u24 v175, 0x210, v14, v8
	v_or_b32_e32 v8, 3, v11
	v_mul_u32_u24_e32 v11, 33, v146
	v_lshl_add_u64 v[152:153], s[46:47], 4, v[4:5]
	v_dual_add_nc_u32 v4, 8, v9 :: v_dual_add_nc_u32 v5, 16, v9
	s_sub_co_i32 s16, s22, 32
	v_add_nc_u32_e32 v176, 32, v172
	v_cmp_lt_u32_e64 s10, v8, v146
	s_delay_alu instid0(VALU_DEP_3)
	v_cmp_le_i32_e64 s4, s22, v4
	v_cmp_le_i32_e64 s14, s16, v4
	v_mul_lo_u32 v4, v1, s58
	v_dual_lshlrev_b32 v8, 4, v9 :: v_dual_lshlrev_b32 v178, 4, v11
	v_add_nc_u32_e32 v179, 48, v172
	s_mul_i32 s2, s2, s33
	v_or_b32_e32 v11, 32, v146
	s_ashr_i32 s3, s2, 31
	v_add_nc_u32_e32 v182, v178, v8
	s_lshl_b64 s[2:3], s[2:3], 4
	v_cmp_le_i32_e64 s5, s22, v5
	s_add_nc_u64 s[30:31], s[30:31], s[2:3]
	v_cmp_le_i32_e64 s3, s22, v9
	v_add_nc_u32_e32 v183, v178, v13
	v_cmp_le_i32_e64 s13, s16, v9
	v_cmp_le_i32_e64 s15, s16, v5
	v_cmp_eq_u32_e64 s17, 1, v9
	v_mul_i32_i24_e32 v5, 0xffffffd0, v9
	v_mad_u32_u24 v187, v9, 48, v182
	v_lshrrev_b32_e32 v9, 4, v7
	v_lshl_add_u32 v156, v4, 2, v144
	v_cmp_le_i32_e32 vcc_lo, s22, v144
	v_add_nc_u32_e32 v181, 0x4700, v13
	v_dual_add_nc_u32 v186, 48, v183 :: v_dual_bitop2_b32 v4, 15, v0 bitop3:0x40
	v_sub_nc_u64_e32 v[158:159], 0, v[2:3]
	v_dual_ashrrev_i32 v157, 31, v156 :: v_dual_lshlrev_b32 v2, 6, v9
	s_delay_alu instid0(VALU_DEP_4)
	v_dual_add_nc_u32 v196, v181, v5 :: v_dual_bitop2_b32 v0, 48, v0 bitop3:0x40
	v_dual_mov_b32 v145, v147 :: v_dual_add_nc_u32 v170, 0x2100, v168
	s_and_b32 s1, s1, vcc_lo
	s_lshl_b32 s34, s58, 3
	s_lshl_b32 s36, s58, 4
	s_mul_i32 s38, s58, 24
	s_lshl_b32 s40, s58, 5
	s_mul_i32 s44, s18, s44
	v_or_b32_e32 v3, 0xf0, v166
	v_mad_u32_u24 v190, 0x430, v4, v2
	v_mul_i32_i24_e32 v2, 0xffffffd0, v9
	v_lshlrev_b32_e32 v0, 4, v0
	s_ashr_i32 s35, s34, 31
	s_ashr_i32 s37, s36, 31
	;; [unrolled: 1-line block ×5, first 2 shown]
	s_xor_b32 s51, s1, -1
	s_ashr_i32 s45, s44, 31
	v_sub_nc_u64_e32 v[154:155], 0, v[146:147]
	s_cmp_gt_i32 s33, 0
	v_sub_nc_u64_e32 v[160:161], 0, v[144:145]
	v_add_nc_u32_e32 v169, 0x1080, v168
	v_add_nc_u32_e32 v171, 0x3180, v168
	v_cmp_gt_i32_e64 s2, s22, v146
	v_cmp_le_i32_e64 s6, s22, v10
	v_cmp_lt_u32_e64 s8, v14, v146
	v_cmp_lt_u32_e64 s9, v12, v146
	v_add_nc_u32_e32 v177, 0x210, v175
	v_add_nc_u32_e32 v180, 0x420, v175
	v_cmp_gt_u32_e64 s11, 32, v7
	v_cmp_gt_i32_e64 s12, s22, v11
	v_cmp_le_i32_e64 s16, s16, v10
	v_dual_add_nc_u32 v184, 16, v183 :: v_dual_add_nc_u32 v185, 32, v183
	s_cselect_b32 s65, -1, 0
	s_lshl_b32 s66, s18, 6
	v_add_nc_u32_e32 v145, 0x4300, v166
	v_mad_u32_u24 v189, 0x10c0, v1, v166
	v_cmp_gt_u32_e64 s18, 64, v7
	v_mad_u32_u24 v192, 0x430, v4, v3
	v_mad_u32_u24 v193, 0x430, v1, v166
	v_dual_ashrrev_i32 v149, 31, v148 :: v_dual_lshlrev_b32 v146, 4, v146
	v_cndmask_b32_e64 v194, 0, 1, s49
	v_add_nc_u32_e32 v195, 0x4700, v8
	v_add_nc_u32_e32 v197, v190, v2
	v_mad_u32_u24 v191, 0x430, v4, v0
	s_and_b32 s67, s0, s51
	s_or_b32 s51, s49, s48
	s_sub_nc_u64 s[42:43], 0, s[40:41]
	s_sub_nc_u64 s[44:45], 0, s[44:45]
	;; [unrolled: 1-line block ×3, first 2 shown]
	s_lshl_b64 s[48:49], s[58:59], 7
	s_or_b32 s68, s51, s50
	s_mov_b64 s[50:51], 0xfffffffffffffdf0
	s_mov_b64 s[52:53], 0xfffffffffffffe00
	s_sub_nc_u64 s[54:55], 0, s[22:23]
	s_lshl_b64 s[56:57], s[58:59], 4
	s_mul_u64 s[58:59], s[58:59], 0xd0
	s_branch .LBB129_4
.LBB129_2:                              ;   in Loop: Header=BB129_4 Depth=1
	s_wait_xcnt 0x0
	s_or_b32 exec_lo, exec_lo, s62
.LBB129_3:                              ;   in Loop: Header=BB129_4 Depth=1
	s_add_co_i32 s24, s24, 0x10000
	s_delay_alu instid0(SALU_CYCLE_1)
	s_cmp_lt_u32 s24, s19
	s_cbranch_scc0 .LBB129_104
.LBB129_4:                              ; =>This Loop Header: Depth=1
                                        ;     Child Loop BB129_74 Depth 2
	s_and_not1_b32 vcc_lo, exec_lo, s68
	s_cbranch_vccnz .LBB129_3
; %bb.5:                                ;   in Loop: Header=BB129_4 Depth=1
	v_cmp_ne_u32_e32 vcc_lo, 1, v194
	s_cbranch_vccnz .LBB129_3
; %bb.6:                                ;   in Loop: Header=BB129_4 Depth=1
	s_mul_u64 s[60:61], s[26:27], s[24:25]
	s_delay_alu instid0(SALU_CYCLE_1)
	v_lshl_add_u64 v[36:37], s[60:61], 4, v[150:151]
	s_and_saveexec_b32 s60, s0
	s_cbranch_execz .LBB129_11
; %bb.7:                                ;   in Loop: Header=BB129_4 Depth=1
	s_and_saveexec_b32 s61, s1
	s_delay_alu instid0(SALU_CYCLE_1)
	s_xor_b32 s61, exec_lo, s61
; %bb.8:                                ;   in Loop: Header=BB129_4 Depth=1
	v_dual_mov_b32 v0, v147 :: v_dual_mov_b32 v1, v147
	v_dual_mov_b32 v2, v147 :: v_dual_mov_b32 v3, v147
	ds_store_b128 v167, v[0:3]
; %bb.9:                                ;   in Loop: Header=BB129_4 Depth=1
	s_and_not1_saveexec_b32 s61, s61
	s_cbranch_execz .LBB129_11
; %bb.10:                               ;   in Loop: Header=BB129_4 Depth=1
	global_load_b128 v[0:3], v[36:37], off
	s_wait_loadcnt 0x0
	ds_store_2addr_b64 v167, v[0:1], v[2:3] offset1:1
.LBB129_11:                             ;   in Loop: Header=BB129_4 Depth=1
	s_wait_xcnt 0x0
	s_or_b32 exec_lo, exec_lo, s60
	s_mul_u64 s[60:61], s[20:21], s[24:25]
	s_and_not1_b32 vcc_lo, exec_lo, s64
	v_lshl_add_u64 v[4:5], s[60:61], 4, v[152:153]
	s_mov_b32 s60, -1
	s_cbranch_vccnz .LBB129_13
; %bb.12:                               ;   in Loop: Header=BB129_4 Depth=1
	s_delay_alu instid0(VALU_DEP_1) | instskip(SKIP_1) | instid1(VALU_DEP_1)
	v_lshl_add_u64 v[6:7], s[34:35], 4, v[4:5]
	s_mov_b32 s60, 0
	v_add_nc_u64_e32 v[10:11], s[48:49], v[6:7]
	s_delay_alu instid0(VALU_DEP_1)
	v_add_nc_u64_e32 v[14:15], s[48:49], v[10:11]
	s_clause 0x3
	global_load_b128 v[0:3], v[4:5], off
	global_load_b128 v[6:9], v[6:7], off
	;; [unrolled: 1-line block ×4, first 2 shown]
	s_wait_loadcnt 0x3
	ds_store_2addr_b64 v168, v[0:1], v[2:3] offset1:1
	s_wait_loadcnt 0x2
	ds_store_2addr_b64 v169, v[6:7], v[8:9] offset1:1
	;; [unrolled: 2-line block ×4, first 2 shown]
.LBB129_13:                             ;   in Loop: Header=BB129_4 Depth=1
	s_and_not1_b32 vcc_lo, exec_lo, s60
	s_cbranch_vccnz .LBB129_25
; %bb.14:                               ;   in Loop: Header=BB129_4 Depth=1
	s_wait_xcnt 0x0
	s_and_saveexec_b32 s60, s3
	s_delay_alu instid0(SALU_CYCLE_1)
	s_xor_b32 s60, exec_lo, s60
; %bb.15:                               ;   in Loop: Header=BB129_4 Depth=1
	v_dual_mov_b32 v0, v147 :: v_dual_mov_b32 v1, v147
	v_dual_mov_b32 v2, v147 :: v_dual_mov_b32 v3, v147
	ds_store_b128 v168, v[0:3]
; %bb.16:                               ;   in Loop: Header=BB129_4 Depth=1
	s_or_saveexec_b32 s60, s60
	v_lshl_add_u64 v[0:1], v[154:155], 4, v[4:5]
	s_delay_alu instid0(VALU_DEP_1) | instskip(NEXT) | instid1(VALU_DEP_1)
	v_lshl_add_u64 v[0:1], s[22:23], 4, v[0:1]
	v_add_nc_u64_e32 v[0:1], -16, v[0:1]
	s_delay_alu instid0(VALU_DEP_1)
	v_dual_cndmask_b32 v1, v1, v5, s2 :: v_dual_cndmask_b32 v0, v0, v4, s2
	s_xor_b32 exec_lo, exec_lo, s60
	s_cbranch_execnz .LBB129_86
; %bb.17:                               ;   in Loop: Header=BB129_4 Depth=1
	s_or_b32 exec_lo, exec_lo, s60
	s_and_saveexec_b32 s60, s4
	s_delay_alu instid0(SALU_CYCLE_1)
	s_xor_b32 s60, exec_lo, s60
	s_cbranch_execnz .LBB129_87
.LBB129_18:                             ;   in Loop: Header=BB129_4 Depth=1
	s_and_not1_saveexec_b32 s60, s60
	s_cbranch_execnz .LBB129_88
.LBB129_19:                             ;   in Loop: Header=BB129_4 Depth=1
	s_or_b32 exec_lo, exec_lo, s60
	s_and_saveexec_b32 s60, s5
	s_delay_alu instid0(SALU_CYCLE_1)
	s_xor_b32 s60, exec_lo, s60
	s_cbranch_execnz .LBB129_89
.LBB129_20:                             ;   in Loop: Header=BB129_4 Depth=1
	s_and_not1_saveexec_b32 s60, s60
	s_cbranch_execnz .LBB129_90
.LBB129_21:                             ;   in Loop: Header=BB129_4 Depth=1
	s_or_b32 exec_lo, exec_lo, s60
	s_and_saveexec_b32 s60, s6
	s_delay_alu instid0(SALU_CYCLE_1)
	s_xor_b32 s60, exec_lo, s60
	s_cbranch_execnz .LBB129_91
.LBB129_22:                             ;   in Loop: Header=BB129_4 Depth=1
	s_and_not1_saveexec_b32 s60, s60
	s_cbranch_execz .LBB129_24
.LBB129_23:                             ;   in Loop: Header=BB129_4 Depth=1
	v_lshl_add_u64 v[2:3], s[38:39], 4, v[0:1]
	global_load_b128 v[6:9], v[2:3], off
	s_wait_loadcnt 0x0
	ds_store_2addr_b64 v171, v[6:7], v[8:9] offset1:1
.LBB129_24:                             ;   in Loop: Header=BB129_4 Depth=1
	s_wait_xcnt 0x0
	s_or_b32 exec_lo, exec_lo, s60
	v_add_nc_u64_e32 v[0:1], v[0:1], v[146:147]
	s_delay_alu instid0(VALU_DEP_1) | instskip(NEXT) | instid1(VALU_DEP_1)
	v_lshl_add_u64 v[0:1], s[54:55], 4, v[0:1]
	v_add_nc_u64_e32 v[0:1], 16, v[0:1]
	s_delay_alu instid0(VALU_DEP_1)
	v_dual_cndmask_b32 v5, v1, v5, s2 :: v_dual_cndmask_b32 v4, v0, v4, s2
.LBB129_25:                             ;   in Loop: Header=BB129_4 Depth=1
	s_wait_dscnt 0x0
	s_barrier_signal -1
	s_barrier_wait -1
	s_wait_xcnt 0x0
	s_and_saveexec_b32 s60, s7
	s_cbranch_execnz .LBB129_80
; %bb.26:                               ;   in Loop: Header=BB129_4 Depth=1
	s_or_b32 exec_lo, exec_lo, s60
	s_and_saveexec_b32 s60, s8
	s_cbranch_execnz .LBB129_81
.LBB129_27:                             ;   in Loop: Header=BB129_4 Depth=1
	s_or_b32 exec_lo, exec_lo, s60
	s_and_saveexec_b32 s60, s9
	s_cbranch_execnz .LBB129_82
.LBB129_28:                             ;   in Loop: Header=BB129_4 Depth=1
	s_or_b32 exec_lo, exec_lo, s60
	s_and_saveexec_b32 s60, s10
	s_cbranch_execz .LBB129_30
.LBB129_29:                             ;   in Loop: Header=BB129_4 Depth=1
	ds_load_b128 v[0:3], v180
	s_wait_dscnt 0x0
	ds_store_b128 v179, v[0:3]
.LBB129_30:                             ;   in Loop: Header=BB129_4 Depth=1
	s_or_b32 exec_lo, exec_lo, s60
	s_wait_dscnt 0x0
	s_barrier_signal -1
	s_barrier_wait -1
	ds_load_b128 v[0:3], v173
	ds_load_b128 v[6:9], v181
	ds_load_b128 v[10:13], v181 offset:16
	ds_load_b128 v[14:17], v175
	s_wait_dscnt 0x2
	v_mul_f64_e32 v[18:19], v[8:9], v[2:3]
	v_mul_f64_e32 v[24:25], v[6:7], v[2:3]
	s_wait_dscnt 0x0
	v_mul_f64_e32 v[26:27], v[12:13], v[16:17]
	v_mul_f64_e32 v[28:29], v[10:11], v[16:17]
	s_delay_alu instid0(VALU_DEP_4) | instskip(NEXT) | instid1(VALU_DEP_4)
	v_fma_f64 v[30:31], v[6:7], v[0:1], -v[18:19]
	v_fmac_f64_e32 v[24:25], v[8:9], v[0:1]
	ds_load_b128 v[0:3], v177
	ds_load_b128 v[6:9], v181 offset:32
	ds_load_b128 v[16:19], v181 offset:48
	ds_load_b128 v[20:23], v180
	v_fma_f64 v[10:11], v[10:11], v[14:15], -v[26:27]
	v_fmac_f64_e32 v[28:29], v[12:13], v[14:15]
	s_wait_dscnt 0x0
	s_barrier_signal -1
	s_barrier_wait -1
	v_mul_f64_e32 v[32:33], v[8:9], v[2:3]
	v_mul_f64_e32 v[2:3], v[6:7], v[2:3]
	v_add_f64_e32 v[12:13], 0, v[30:31]
	v_add_f64_e32 v[14:15], 0, v[24:25]
	v_mul_f64_e32 v[24:25], v[18:19], v[22:23]
	v_mul_f64_e32 v[22:23], v[16:17], v[22:23]
	v_fma_f64 v[6:7], v[6:7], v[0:1], -v[32:33]
	v_fmac_f64_e32 v[2:3], v[8:9], v[0:1]
	v_add_f64_e32 v[0:1], v[12:13], v[10:11]
	v_add_f64_e32 v[8:9], v[14:15], v[28:29]
	v_fma_f64 v[10:11], v[16:17], v[20:21], -v[24:25]
	v_fmac_f64_e32 v[22:23], v[18:19], v[20:21]
	s_delay_alu instid0(VALU_DEP_4) | instskip(NEXT) | instid1(VALU_DEP_4)
	v_add_f64_e32 v[0:1], v[0:1], v[6:7]
	v_add_f64_e32 v[2:3], v[8:9], v[2:3]
	s_delay_alu instid0(VALU_DEP_2) | instskip(NEXT) | instid1(VALU_DEP_2)
	v_add_f64_e32 v[6:7], v[0:1], v[10:11]
	v_add_f64_e32 v[8:9], v[2:3], v[22:23]
	v_mov_b64_e32 v[0:1], 0
	v_mov_b64_e32 v[2:3], 0
	ds_store_b128 v182, v[6:9]
	s_wait_dscnt 0x0
	s_barrier_signal -1
	s_barrier_wait -1
	s_and_saveexec_b32 s60, s11
	s_cbranch_execz .LBB129_32
; %bb.31:                               ;   in Loop: Header=BB129_4 Depth=1
	ds_load_b128 v[0:3], v178
	ds_load_b128 v[6:9], v178 offset:16
	s_wait_dscnt 0x0
	v_add_f64_e32 v[10:11], v[6:7], v[0:1]
	v_add_f64_e32 v[12:13], v[8:9], v[2:3]
	ds_load_b128 v[0:3], v178 offset:32
	ds_load_b128 v[6:9], v178 offset:48
	s_wait_dscnt 0x1
	v_add_f64_e32 v[0:1], v[10:11], v[0:1]
	v_add_f64_e32 v[2:3], v[12:13], v[2:3]
	s_wait_dscnt 0x0
	s_delay_alu instid0(VALU_DEP_2) | instskip(NEXT) | instid1(VALU_DEP_2)
	v_add_f64_e32 v[10:11], v[0:1], v[6:7]
	v_add_f64_e32 v[12:13], v[2:3], v[8:9]
	ds_load_b128 v[0:3], v178 offset:64
	ds_load_b128 v[6:9], v178 offset:80
	s_wait_dscnt 0x1
	v_add_f64_e32 v[0:1], v[10:11], v[0:1]
	v_add_f64_e32 v[2:3], v[12:13], v[2:3]
	s_wait_dscnt 0x0
	s_delay_alu instid0(VALU_DEP_2) | instskip(NEXT) | instid1(VALU_DEP_2)
	;; [unrolled: 9-line block ×3, first 2 shown]
	v_add_f64_e32 v[0:1], v[0:1], v[6:7]
	v_add_f64_e32 v[2:3], v[2:3], v[8:9]
.LBB129_32:                             ;   in Loop: Header=BB129_4 Depth=1
	s_or_b32 exec_lo, exec_lo, s60
	v_lshl_add_u64 v[6:7], s[40:41], 4, v[4:5]
	s_and_not1_b32 vcc_lo, exec_lo, s64
	s_mov_b32 s60, -1
	s_barrier_signal -1
	s_delay_alu instid0(VALU_DEP_1)
	v_add_nc_u64_e32 v[4:5], 0x200, v[6:7]
	s_barrier_wait -1
	s_cbranch_vccnz .LBB129_34
; %bb.33:                               ;   in Loop: Header=BB129_4 Depth=1
	v_lshl_add_u64 v[12:13], s[34:35], 4, v[6:7]
	s_mov_b32 s60, 0
	s_delay_alu instid0(VALU_DEP_1) | instskip(NEXT) | instid1(VALU_DEP_1)
	v_add_nc_u64_e32 v[16:17], s[48:49], v[12:13]
	v_add_nc_u64_e32 v[20:21], s[48:49], v[16:17]
	s_clause 0x3
	global_load_b128 v[8:11], v[4:5], off
	global_load_b128 v[12:15], v[12:13], off offset:512
	global_load_b128 v[16:19], v[16:17], off offset:512
	;; [unrolled: 1-line block ×3, first 2 shown]
	s_wait_loadcnt 0x3
	ds_store_2addr_b64 v168, v[8:9], v[10:11] offset1:1
	s_wait_loadcnt 0x2
	ds_store_2addr_b64 v169, v[12:13], v[14:15] offset1:1
	;; [unrolled: 2-line block ×4, first 2 shown]
.LBB129_34:                             ;   in Loop: Header=BB129_4 Depth=1
	s_and_not1_b32 vcc_lo, exec_lo, s60
	s_cbranch_vccnz .LBB129_46
; %bb.35:                               ;   in Loop: Header=BB129_4 Depth=1
	s_wait_xcnt 0x0
	s_and_saveexec_b32 s60, s13
	s_delay_alu instid0(SALU_CYCLE_1)
	s_xor_b32 s60, exec_lo, s60
; %bb.36:                               ;   in Loop: Header=BB129_4 Depth=1
	v_dual_mov_b32 v8, v147 :: v_dual_mov_b32 v9, v147
	v_dual_mov_b32 v10, v147 :: v_dual_mov_b32 v11, v147
	ds_store_b128 v168, v[8:11]
; %bb.37:                               ;   in Loop: Header=BB129_4 Depth=1
	s_or_saveexec_b32 s60, s60
	v_lshl_add_u64 v[6:7], v[154:155], 4, v[6:7]
	s_delay_alu instid0(VALU_DEP_1) | instskip(NEXT) | instid1(VALU_DEP_1)
	v_lshl_add_u64 v[6:7], s[22:23], 4, v[6:7]
	v_add_nc_u64_e32 v[6:7], -16, v[6:7]
	s_delay_alu instid0(VALU_DEP_1)
	v_dual_cndmask_b32 v7, v7, v5, s12 :: v_dual_cndmask_b32 v6, v6, v4, s12
	s_xor_b32 exec_lo, exec_lo, s60
	s_cbranch_execnz .LBB129_92
; %bb.38:                               ;   in Loop: Header=BB129_4 Depth=1
	s_or_b32 exec_lo, exec_lo, s60
	s_and_saveexec_b32 s60, s14
	s_delay_alu instid0(SALU_CYCLE_1)
	s_xor_b32 s60, exec_lo, s60
	s_cbranch_execnz .LBB129_93
.LBB129_39:                             ;   in Loop: Header=BB129_4 Depth=1
	s_and_not1_saveexec_b32 s60, s60
	s_cbranch_execnz .LBB129_94
.LBB129_40:                             ;   in Loop: Header=BB129_4 Depth=1
	s_or_b32 exec_lo, exec_lo, s60
	s_and_saveexec_b32 s60, s15
	s_delay_alu instid0(SALU_CYCLE_1)
	s_xor_b32 s60, exec_lo, s60
	s_cbranch_execnz .LBB129_95
.LBB129_41:                             ;   in Loop: Header=BB129_4 Depth=1
	s_and_not1_saveexec_b32 s60, s60
	s_cbranch_execnz .LBB129_96
.LBB129_42:                             ;   in Loop: Header=BB129_4 Depth=1
	s_or_b32 exec_lo, exec_lo, s60
	s_and_saveexec_b32 s60, s16
	s_delay_alu instid0(SALU_CYCLE_1)
	s_xor_b32 s60, exec_lo, s60
	s_cbranch_execnz .LBB129_97
.LBB129_43:                             ;   in Loop: Header=BB129_4 Depth=1
	s_and_not1_saveexec_b32 s60, s60
	s_cbranch_execz .LBB129_45
.LBB129_44:                             ;   in Loop: Header=BB129_4 Depth=1
	v_lshl_add_u64 v[8:9], s[38:39], 4, v[6:7]
	global_load_b128 v[8:11], v[8:9], off
	s_wait_loadcnt 0x0
	ds_store_2addr_b64 v171, v[8:9], v[10:11] offset1:1
.LBB129_45:                             ;   in Loop: Header=BB129_4 Depth=1
	s_wait_xcnt 0x0
	s_or_b32 exec_lo, exec_lo, s60
	v_add_nc_u64_e32 v[6:7], v[6:7], v[146:147]
	s_delay_alu instid0(VALU_DEP_1) | instskip(NEXT) | instid1(VALU_DEP_1)
	v_lshl_add_u64 v[6:7], s[54:55], 4, v[6:7]
	v_add_nc_u64_e32 v[6:7], 0x210, v[6:7]
	s_delay_alu instid0(VALU_DEP_1)
	v_dual_cndmask_b32 v5, v7, v5, s12 :: v_dual_cndmask_b32 v4, v6, v4, s12
.LBB129_46:                             ;   in Loop: Header=BB129_4 Depth=1
	s_wait_dscnt 0x0
	s_barrier_signal -1
	s_barrier_wait -1
	s_wait_xcnt 0x0
	s_and_saveexec_b32 s60, s7
	s_cbranch_execnz .LBB129_83
; %bb.47:                               ;   in Loop: Header=BB129_4 Depth=1
	s_or_b32 exec_lo, exec_lo, s60
	s_and_saveexec_b32 s60, s8
	s_cbranch_execnz .LBB129_84
.LBB129_48:                             ;   in Loop: Header=BB129_4 Depth=1
	s_or_b32 exec_lo, exec_lo, s60
	s_and_saveexec_b32 s60, s9
	s_cbranch_execnz .LBB129_85
.LBB129_49:                             ;   in Loop: Header=BB129_4 Depth=1
	s_or_b32 exec_lo, exec_lo, s60
	s_and_saveexec_b32 s60, s10
	s_cbranch_execz .LBB129_51
.LBB129_50:                             ;   in Loop: Header=BB129_4 Depth=1
	ds_load_b128 v[6:9], v180
	s_wait_dscnt 0x0
	ds_store_b128 v186, v[6:9]
.LBB129_51:                             ;   in Loop: Header=BB129_4 Depth=1
	s_or_b32 exec_lo, exec_lo, s60
	s_wait_dscnt 0x0
	s_barrier_signal -1
	s_barrier_wait -1
	ds_load_b128 v[6:9], v173
	ds_load_b128 v[10:13], v181 offset:512
	ds_load_b128 v[14:17], v181 offset:528
	ds_load_b128 v[18:21], v175
	s_wait_dscnt 0x2
	v_mul_f64_e32 v[22:23], v[12:13], v[8:9]
	v_mul_f64_e32 v[28:29], v[10:11], v[8:9]
	s_wait_dscnt 0x0
	v_mul_f64_e32 v[30:31], v[16:17], v[20:21]
	v_mul_f64_e32 v[32:33], v[14:15], v[20:21]
	s_delay_alu instid0(VALU_DEP_4) | instskip(NEXT) | instid1(VALU_DEP_4)
	v_fma_f64 v[34:35], v[10:11], v[6:7], -v[22:23]
	v_fmac_f64_e32 v[28:29], v[12:13], v[6:7]
	ds_load_b128 v[6:9], v177
	ds_load_b128 v[10:13], v181 offset:544
	ds_load_b128 v[20:23], v181 offset:560
	ds_load_b128 v[24:27], v180
	v_fma_f64 v[14:15], v[14:15], v[18:19], -v[30:31]
	v_fmac_f64_e32 v[32:33], v[16:17], v[18:19]
	s_wait_dscnt 0x0
	s_barrier_signal -1
	s_barrier_wait -1
	v_mul_f64_e32 v[38:39], v[12:13], v[8:9]
	v_mul_f64_e32 v[8:9], v[10:11], v[8:9]
	v_add_f64_e32 v[16:17], 0, v[34:35]
	v_add_f64_e32 v[18:19], 0, v[28:29]
	v_mul_f64_e32 v[28:29], v[22:23], v[26:27]
	v_mul_f64_e32 v[26:27], v[20:21], v[26:27]
	v_fma_f64 v[10:11], v[10:11], v[6:7], -v[38:39]
	v_fmac_f64_e32 v[8:9], v[12:13], v[6:7]
	v_add_f64_e32 v[6:7], v[16:17], v[14:15]
	v_add_f64_e32 v[12:13], v[18:19], v[32:33]
	v_fma_f64 v[14:15], v[20:21], v[24:25], -v[28:29]
	v_fmac_f64_e32 v[26:27], v[22:23], v[24:25]
	s_delay_alu instid0(VALU_DEP_4) | instskip(NEXT) | instid1(VALU_DEP_4)
	v_add_f64_e32 v[6:7], v[6:7], v[10:11]
	v_add_f64_e32 v[8:9], v[12:13], v[8:9]
	s_delay_alu instid0(VALU_DEP_2) | instskip(NEXT) | instid1(VALU_DEP_2)
	v_add_f64_e32 v[6:7], v[6:7], v[14:15]
	v_add_f64_e32 v[8:9], v[8:9], v[26:27]
	ds_store_b128 v182, v[6:9]
	s_wait_dscnt 0x0
	s_barrier_signal -1
	s_barrier_wait -1
	s_and_saveexec_b32 s60, s17
	s_cbranch_execz .LBB129_53
; %bb.52:                               ;   in Loop: Header=BB129_4 Depth=1
	ds_load_b128 v[0:3], v178
	ds_load_b128 v[6:9], v178 offset:16
	s_wait_dscnt 0x0
	v_add_f64_e32 v[10:11], v[6:7], v[0:1]
	v_add_f64_e32 v[12:13], v[8:9], v[2:3]
	ds_load_b128 v[0:3], v178 offset:32
	ds_load_b128 v[6:9], v178 offset:48
	s_wait_dscnt 0x1
	v_add_f64_e32 v[0:1], v[10:11], v[0:1]
	v_add_f64_e32 v[2:3], v[12:13], v[2:3]
	s_wait_dscnt 0x0
	s_delay_alu instid0(VALU_DEP_2) | instskip(NEXT) | instid1(VALU_DEP_2)
	v_add_f64_e32 v[10:11], v[0:1], v[6:7]
	v_add_f64_e32 v[12:13], v[2:3], v[8:9]
	ds_load_b128 v[0:3], v178 offset:64
	ds_load_b128 v[6:9], v178 offset:80
	s_wait_dscnt 0x1
	v_add_f64_e32 v[0:1], v[10:11], v[0:1]
	v_add_f64_e32 v[2:3], v[12:13], v[2:3]
	s_wait_dscnt 0x0
	s_delay_alu instid0(VALU_DEP_2) | instskip(NEXT) | instid1(VALU_DEP_2)
	;; [unrolled: 9-line block ×3, first 2 shown]
	v_add_f64_e32 v[0:1], v[0:1], v[6:7]
	v_add_f64_e32 v[2:3], v[2:3], v[8:9]
.LBB129_53:                             ;   in Loop: Header=BB129_4 Depth=1
	s_or_b32 exec_lo, exec_lo, s60
	v_lshl_add_u64 v[38:39], s[42:43], 4, v[4:5]
	s_and_not1_b32 vcc_lo, exec_lo, s64
	s_mov_b32 s60, -1
	s_barrier_signal -1
	s_barrier_wait -1
	s_cbranch_vccnz .LBB129_55
; %bb.54:                               ;   in Loop: Header=BB129_4 Depth=1
	v_lshl_add_u64 v[8:9], s[34:35], 4, v[38:39]
	s_mov_b32 s60, 0
	s_delay_alu instid0(VALU_DEP_1) | instskip(NEXT) | instid1(VALU_DEP_1)
	v_add_nc_u64_e32 v[12:13], s[48:49], v[8:9]
	v_add_nc_u64_e32 v[16:17], s[48:49], v[12:13]
	s_clause 0x3
	global_load_b128 v[4:7], v[38:39], off
	global_load_b128 v[8:11], v[8:9], off
	;; [unrolled: 1-line block ×4, first 2 shown]
	s_wait_loadcnt 0x3
	ds_store_2addr_b64 v168, v[4:5], v[6:7] offset1:1
	s_wait_loadcnt 0x2
	ds_store_2addr_b64 v169, v[8:9], v[10:11] offset1:1
	;; [unrolled: 2-line block ×4, first 2 shown]
.LBB129_55:                             ;   in Loop: Header=BB129_4 Depth=1
	s_and_not1_b32 vcc_lo, exec_lo, s60
	s_cbranch_vccnz .LBB129_67
; %bb.56:                               ;   in Loop: Header=BB129_4 Depth=1
	s_wait_xcnt 0x0
	s_and_saveexec_b32 s60, s3
	s_delay_alu instid0(SALU_CYCLE_1)
	s_xor_b32 s60, exec_lo, s60
; %bb.57:                               ;   in Loop: Header=BB129_4 Depth=1
	v_dual_mov_b32 v4, v147 :: v_dual_mov_b32 v5, v147
	v_dual_mov_b32 v6, v147 :: v_dual_mov_b32 v7, v147
	ds_store_b128 v168, v[4:7]
; %bb.58:                               ;   in Loop: Header=BB129_4 Depth=1
	s_or_saveexec_b32 s60, s60
	v_lshl_add_u64 v[4:5], v[154:155], 4, v[38:39]
	s_delay_alu instid0(VALU_DEP_1) | instskip(NEXT) | instid1(VALU_DEP_1)
	v_lshl_add_u64 v[4:5], s[22:23], 4, v[4:5]
	v_add_nc_u64_e32 v[4:5], s[50:51], v[4:5]
	s_delay_alu instid0(VALU_DEP_1)
	v_dual_cndmask_b32 v5, v5, v39, s12 :: v_dual_cndmask_b32 v4, v4, v38, s12
	s_xor_b32 exec_lo, exec_lo, s60
	s_cbranch_execnz .LBB129_98
; %bb.59:                               ;   in Loop: Header=BB129_4 Depth=1
	s_or_b32 exec_lo, exec_lo, s60
	s_and_saveexec_b32 s60, s4
	s_delay_alu instid0(SALU_CYCLE_1)
	s_xor_b32 s60, exec_lo, s60
	s_cbranch_execnz .LBB129_99
.LBB129_60:                             ;   in Loop: Header=BB129_4 Depth=1
	s_and_not1_saveexec_b32 s60, s60
	s_cbranch_execnz .LBB129_100
.LBB129_61:                             ;   in Loop: Header=BB129_4 Depth=1
	s_or_b32 exec_lo, exec_lo, s60
	s_and_saveexec_b32 s60, s5
	s_delay_alu instid0(SALU_CYCLE_1)
	s_xor_b32 s60, exec_lo, s60
	s_cbranch_execnz .LBB129_101
.LBB129_62:                             ;   in Loop: Header=BB129_4 Depth=1
	s_and_not1_saveexec_b32 s60, s60
	s_cbranch_execnz .LBB129_102
.LBB129_63:                             ;   in Loop: Header=BB129_4 Depth=1
	s_or_b32 exec_lo, exec_lo, s60
	s_and_saveexec_b32 s60, s6
	s_delay_alu instid0(SALU_CYCLE_1)
	s_xor_b32 s60, exec_lo, s60
	s_cbranch_execnz .LBB129_103
.LBB129_64:                             ;   in Loop: Header=BB129_4 Depth=1
	s_and_not1_saveexec_b32 s60, s60
	s_cbranch_execz .LBB129_66
.LBB129_65:                             ;   in Loop: Header=BB129_4 Depth=1
	v_lshl_add_u64 v[6:7], s[38:39], 4, v[4:5]
	global_load_b128 v[6:9], v[6:7], off
	s_wait_loadcnt 0x0
	ds_store_2addr_b64 v171, v[6:7], v[8:9] offset1:1
.LBB129_66:                             ;   in Loop: Header=BB129_4 Depth=1
	s_wait_xcnt 0x0
	s_or_b32 exec_lo, exec_lo, s60
	v_add_nc_u64_e32 v[4:5], v[4:5], v[146:147]
	s_delay_alu instid0(VALU_DEP_1) | instskip(NEXT) | instid1(VALU_DEP_1)
	v_lshl_add_u64 v[4:5], s[54:55], 4, v[4:5]
	v_add_nc_u64_e32 v[4:5], 0x210, v[4:5]
	s_delay_alu instid0(VALU_DEP_1)
	v_dual_cndmask_b32 v39, v5, v39, s12 :: v_dual_cndmask_b32 v38, v4, v38, s12
.LBB129_67:                             ;   in Loop: Header=BB129_4 Depth=1
	s_wait_dscnt 0x0
	s_barrier_signal -1
	s_barrier_wait -1
	ds_load_b128 v[4:7], v196
	s_wait_xcnt 0x2
	ds_load_b128 v[8:11], v168
	s_wait_xcnt 0x1
	;; [unrolled: 2-line block ×3, first 2 shown]
	ds_load_b128 v[16:19], v195 offset:384
	ds_load_b128 v[20:23], v195 offset:128
	;; [unrolled: 1-line block ×3, first 2 shown]
	s_wait_dscnt 0x4
	v_mul_f64_e32 v[28:29], v[6:7], v[10:11]
	v_mul_f64_e32 v[30:31], v[4:5], v[10:11]
	s_wait_dscnt 0x1
	v_mul_f64_e32 v[32:33], v[22:23], v[14:15]
	v_mul_f64_e32 v[14:15], v[20:21], v[14:15]
	s_delay_alu instid0(VALU_DEP_4) | instskip(NEXT) | instid1(VALU_DEP_4)
	v_fma_f64 v[28:29], v[4:5], v[8:9], -v[28:29]
	v_fmac_f64_e32 v[30:31], v[6:7], v[8:9]
	ds_load_b128 v[4:7], v170
	ds_load_b128 v[8:11], v171
	v_fma_f64 v[20:21], v[20:21], v[12:13], -v[32:33]
	v_fmac_f64_e32 v[14:15], v[22:23], v[12:13]
	s_wait_dscnt 0x1
	v_mul_f64_e32 v[34:35], v[26:27], v[6:7]
	v_mul_f64_e32 v[6:7], v[24:25], v[6:7]
	v_add_f64_e32 v[12:13], 0, v[28:29]
	v_add_f64_e32 v[22:23], 0, v[30:31]
	s_wait_dscnt 0x0
	v_mul_f64_e32 v[28:29], v[18:19], v[10:11]
	v_mul_f64_e32 v[10:11], v[16:17], v[10:11]
	v_fma_f64 v[24:25], v[24:25], v[4:5], -v[34:35]
	v_fmac_f64_e32 v[6:7], v[26:27], v[4:5]
	v_add_f64_e32 v[4:5], v[12:13], v[20:21]
	v_add_f64_e32 v[12:13], v[22:23], v[14:15]
	v_fma_f64 v[14:15], v[16:17], v[8:9], -v[28:29]
	v_fmac_f64_e32 v[10:11], v[18:19], v[8:9]
	s_delay_alu instid0(VALU_DEP_4) | instskip(NEXT) | instid1(VALU_DEP_4)
	v_add_f64_e32 v[4:5], v[4:5], v[24:25]
	v_add_f64_e32 v[6:7], v[12:13], v[6:7]
	s_delay_alu instid0(VALU_DEP_2) | instskip(NEXT) | instid1(VALU_DEP_2)
	v_add_f64_e32 v[40:41], v[4:5], v[14:15]
	v_add_f64_e32 v[42:43], v[6:7], v[10:11]
	ds_load_b128 v[28:31], v187
	ds_load_b128 v[20:23], v187 offset:16
	ds_load_b128 v[8:11], v187 offset:32
	;; [unrolled: 1-line block ×7, first 2 shown]
	s_wait_dscnt 0x0
	s_barrier_signal -1
	s_barrier_wait -1
	ds_store_b128 v182, v[40:43]
	s_wait_dscnt 0x0
	s_barrier_signal -1
	s_barrier_wait -1
	s_and_saveexec_b32 s60, s17
	s_cbranch_execz .LBB129_69
; %bb.68:                               ;   in Loop: Header=BB129_4 Depth=1
	ds_load_b128 v[40:43], v178
	ds_load_b128 v[44:47], v178 offset:16
	s_wait_dscnt 0x1
	v_add_f64_e32 v[0:1], v[0:1], v[40:41]
	v_add_f64_e32 v[2:3], v[2:3], v[42:43]
	s_wait_dscnt 0x0
	s_delay_alu instid0(VALU_DEP_2) | instskip(NEXT) | instid1(VALU_DEP_2)
	v_add_f64_e32 v[44:45], v[0:1], v[44:45]
	v_add_f64_e32 v[46:47], v[2:3], v[46:47]
	ds_load_b128 v[0:3], v178 offset:32
	ds_load_b128 v[40:43], v178 offset:48
	s_wait_dscnt 0x1
	v_add_f64_e32 v[0:1], v[44:45], v[0:1]
	v_add_f64_e32 v[2:3], v[46:47], v[2:3]
	s_wait_dscnt 0x0
	s_delay_alu instid0(VALU_DEP_2) | instskip(NEXT) | instid1(VALU_DEP_2)
	v_add_f64_e32 v[44:45], v[0:1], v[40:41]
	v_add_f64_e32 v[46:47], v[2:3], v[42:43]
	ds_load_b128 v[0:3], v178 offset:64
	;; [unrolled: 9-line block ×3, first 2 shown]
	ds_load_b128 v[40:43], v178 offset:112
	s_wait_dscnt 0x1
	v_add_f64_e32 v[0:1], v[44:45], v[0:1]
	v_add_f64_e32 v[2:3], v[46:47], v[2:3]
	s_wait_dscnt 0x0
	s_delay_alu instid0(VALU_DEP_2) | instskip(NEXT) | instid1(VALU_DEP_2)
	v_add_f64_e32 v[0:1], v[0:1], v[40:41]
	v_add_f64_e32 v[2:3], v[2:3], v[42:43]
.LBB129_69:                             ;   in Loop: Header=BB129_4 Depth=1
	s_or_b32 exec_lo, exec_lo, s60
	v_mul_f64_e32 v[40:41], v[30:31], v[34:35]
	v_mul_f64_e32 v[34:35], v[28:29], v[34:35]
	;; [unrolled: 1-line block ×4, first 2 shown]
	s_barrier_signal -1
	s_barrier_wait -1
	s_delay_alu instid0(VALU_DEP_4) | instskip(NEXT) | instid1(VALU_DEP_4)
	v_fma_f64 v[28:29], v[28:29], v[32:33], -v[40:41]
	v_fmac_f64_e32 v[34:35], v[30:31], v[32:33]
	v_mul_f64_e32 v[30:31], v[10:11], v[18:19]
	v_mul_f64_e32 v[18:19], v[8:9], v[18:19]
	v_fma_f64 v[20:21], v[20:21], v[24:25], -v[42:43]
	v_fmac_f64_e32 v[26:27], v[22:23], v[24:25]
	v_add_f64_e32 v[22:23], 0, v[28:29]
	v_add_f64_e32 v[24:25], 0, v[34:35]
	v_mul_f64_e32 v[28:29], v[6:7], v[14:15]
	v_mul_f64_e32 v[14:15], v[4:5], v[14:15]
	v_fma_f64 v[8:9], v[8:9], v[16:17], -v[30:31]
	v_fmac_f64_e32 v[18:19], v[10:11], v[16:17]
	v_add_f64_e32 v[10:11], v[22:23], v[20:21]
	v_add_f64_e32 v[16:17], v[24:25], v[26:27]
	v_fma_f64 v[4:5], v[4:5], v[12:13], -v[28:29]
	v_fmac_f64_e32 v[14:15], v[6:7], v[12:13]
	s_delay_alu instid0(VALU_DEP_4) | instskip(NEXT) | instid1(VALU_DEP_4)
	v_add_f64_e32 v[6:7], v[10:11], v[8:9]
	v_add_f64_e32 v[8:9], v[16:17], v[18:19]
	s_delay_alu instid0(VALU_DEP_2) | instskip(NEXT) | instid1(VALU_DEP_2)
	v_add_f64_e32 v[4:5], v[6:7], v[4:5]
	v_add_f64_e32 v[6:7], v[8:9], v[14:15]
	ds_store_b128 v182, v[4:7]
	s_wait_dscnt 0x0
	s_barrier_signal -1
	s_barrier_wait -1
	s_and_saveexec_b32 s60, s11
	s_cbranch_execz .LBB129_71
; %bb.70:                               ;   in Loop: Header=BB129_4 Depth=1
	ds_load_b128 v[4:7], v178
	ds_load_b128 v[8:11], v178 offset:16
	s_wait_dscnt 0x1
	v_add_f64_e32 v[0:1], v[0:1], v[4:5]
	v_add_f64_e32 v[2:3], v[2:3], v[6:7]
	s_wait_dscnt 0x0
	s_delay_alu instid0(VALU_DEP_2) | instskip(NEXT) | instid1(VALU_DEP_2)
	v_add_f64_e32 v[8:9], v[0:1], v[8:9]
	v_add_f64_e32 v[10:11], v[2:3], v[10:11]
	ds_load_b128 v[0:3], v178 offset:32
	ds_load_b128 v[4:7], v178 offset:48
	s_wait_dscnt 0x1
	v_add_f64_e32 v[0:1], v[8:9], v[0:1]
	v_add_f64_e32 v[2:3], v[10:11], v[2:3]
	s_wait_dscnt 0x0
	s_delay_alu instid0(VALU_DEP_2) | instskip(NEXT) | instid1(VALU_DEP_2)
	v_add_f64_e32 v[8:9], v[0:1], v[4:5]
	v_add_f64_e32 v[10:11], v[2:3], v[6:7]
	ds_load_b128 v[0:3], v178 offset:64
	;; [unrolled: 9-line block ×3, first 2 shown]
	ds_load_b128 v[4:7], v178 offset:112
	s_wait_dscnt 0x1
	v_add_f64_e32 v[0:1], v[8:9], v[0:1]
	v_add_f64_e32 v[2:3], v[10:11], v[2:3]
	s_wait_dscnt 0x0
	s_delay_alu instid0(VALU_DEP_2) | instskip(NEXT) | instid1(VALU_DEP_2)
	v_add_f64_e32 v[0:1], v[0:1], v[4:5]
	v_add_f64_e32 v[2:3], v[2:3], v[6:7]
.LBB129_71:                             ;   in Loop: Header=BB129_4 Depth=1
	s_or_b32 exec_lo, exec_lo, s60
	s_mul_u64 s[60:61], s[28:29], s[24:25]
	s_and_not1_b32 vcc_lo, exec_lo, s65
	s_lshl_b64 s[60:61], s[60:61], 4
	s_delay_alu instid0(SALU_CYCLE_1)
	s_add_nc_u64 s[60:61], s[30:31], s[60:61]
	s_barrier_signal -1
	s_barrier_wait -1
	s_cbranch_vccnz .LBB129_78
; %bb.72:                               ;   in Loop: Header=BB129_4 Depth=1
	v_lshl_add_u64 v[4:5], s[46:47], 4, v[38:39]
	v_lshl_add_u64 v[162:163], s[44:45], 4, v[36:37]
	v_mov_b32_e32 v198, v144
	s_mov_b32 s62, 0
	s_mov_b32 s69, s33
	v_lshl_add_u64 v[4:5], v[158:159], 4, v[4:5]
	s_delay_alu instid0(VALU_DEP_1) | instskip(NEXT) | instid1(VALU_DEP_1)
	v_lshl_add_u64 v[4:5], v[156:157], 4, v[4:5]
	v_lshl_add_u64 v[6:7], v[160:161], 4, v[4:5]
	v_add_nc_u64_e32 v[4:5], s[52:53], v[4:5]
	s_delay_alu instid0(VALU_DEP_2) | instskip(NEXT) | instid1(VALU_DEP_1)
	v_lshl_add_u64 v[6:7], s[22:23], 4, v[6:7]
	v_add_nc_u64_e32 v[6:7], s[50:51], v[6:7]
	s_delay_alu instid0(VALU_DEP_1)
	v_dual_cndmask_b32 v5, v5, v7, s1 :: v_dual_cndmask_b32 v4, v4, v6, s1
	s_branch .LBB129_74
.LBB129_73:                             ;   in Loop: Header=BB129_74 Depth=2
	s_wait_xcnt 0x0
	s_or_b32 exec_lo, exec_lo, s63
	v_mul_f64_e32 v[84:85], v[18:19], v[42:43]
	v_mul_f64_e32 v[42:43], v[16:17], v[42:43]
	;; [unrolled: 1-line block ×4, first 2 shown]
	s_add_co_i32 s69, s69, -1
	s_add_co_i32 s62, s62, s66
	s_cmp_eq_u32 s69, 0
	s_wait_storecnt 0x0
	s_barrier_signal -1
	s_barrier_wait -1
	s_delay_alu instid0(VALU_DEP_4) | instskip(NEXT) | instid1(VALU_DEP_4)
	v_dual_fma_f64 v[16:17], v[16:17], v[40:41], -v[84:85] :: v_dual_add_nc_u32 v198, 64, v198
	v_fmac_f64_e32 v[42:43], v[18:19], v[40:41]
	v_mul_f64_e32 v[18:19], v[10:11], v[46:47]
	v_mul_f64_e32 v[40:41], v[8:9], v[46:47]
	v_fma_f64 v[12:13], v[12:13], v[48:49], -v[86:87]
	v_fmac_f64_e32 v[50:51], v[14:15], v[48:49]
	v_mul_f64_e32 v[14:15], v[6:7], v[38:39]
	v_add_f64_e32 v[0:1], v[0:1], v[16:17]
	v_add_f64_e32 v[2:3], v[2:3], v[42:43]
	v_mul_f64_e32 v[16:17], v[4:5], v[38:39]
	v_fma_f64 v[8:9], v[8:9], v[44:45], -v[18:19]
	v_fmac_f64_e32 v[40:41], v[10:11], v[44:45]
	v_mul_f64_e32 v[10:11], v[34:35], v[74:75]
	v_fma_f64 v[4:5], v[4:5], v[36:37], -v[14:15]
	v_mul_f64_e32 v[14:15], v[24:25], v[78:79]
	v_add_f64_e32 v[0:1], v[0:1], v[12:13]
	v_add_f64_e32 v[2:3], v[2:3], v[50:51]
	v_mul_f64_e32 v[12:13], v[32:33], v[74:75]
	v_fmac_f64_e32 v[16:17], v[6:7], v[36:37]
	v_mul_f64_e32 v[6:7], v[30:31], v[82:83]
	v_fma_f64 v[10:11], v[32:33], v[72:73], -v[10:11]
	v_fmac_f64_e32 v[14:15], v[26:27], v[76:77]
	v_add_f64_e32 v[0:1], v[0:1], v[8:9]
	v_add_f64_e32 v[2:3], v[2:3], v[40:41]
	v_mul_f64_e32 v[8:9], v[28:29], v[82:83]
	v_fmac_f64_e32 v[12:13], v[34:35], v[72:73]
	v_fma_f64 v[6:7], v[28:29], v[80:81], -v[6:7]
	v_add_f64_e32 v[0:1], v[0:1], v[4:5]
	v_add_f64_e32 v[2:3], v[2:3], v[16:17]
	v_mul_f64_e32 v[4:5], v[26:27], v[78:79]
	v_fmac_f64_e32 v[8:9], v[30:31], v[80:81]
	s_delay_alu instid0(VALU_DEP_4) | instskip(NEXT) | instid1(VALU_DEP_4)
	v_add_f64_e32 v[0:1], v[0:1], v[10:11]
	v_add_f64_e32 v[2:3], v[2:3], v[12:13]
	v_mul_f64_e32 v[10:11], v[22:23], v[70:71]
	v_mul_f64_e32 v[12:13], v[20:21], v[70:71]
	v_fma_f64 v[4:5], v[24:25], v[76:77], -v[4:5]
	v_add_f64_e32 v[0:1], v[0:1], v[6:7]
	v_add_f64_e32 v[2:3], v[2:3], v[8:9]
	v_mul_f64_e32 v[6:7], v[66:67], v[118:119]
	v_mul_f64_e32 v[8:9], v[64:65], v[118:119]
	v_fma_f64 v[10:11], v[20:21], v[68:69], -v[10:11]
	v_fmac_f64_e32 v[12:13], v[22:23], v[68:69]
	v_add_f64_e32 v[0:1], v[0:1], v[4:5]
	v_add_f64_e32 v[2:3], v[2:3], v[14:15]
	v_mul_f64_e32 v[4:5], v[62:63], v[126:127]
	v_mul_f64_e32 v[14:15], v[60:61], v[126:127]
	v_fma_f64 v[6:7], v[64:65], v[116:117], -v[6:7]
	v_fmac_f64_e32 v[8:9], v[66:67], v[116:117]
	;; [unrolled: 6-line block ×8, first 2 shown]
	v_add_f64_e32 v[0:1], v[0:1], v[10:11]
	v_add_f64_e32 v[2:3], v[2:3], v[12:13]
	v_fma_f64 v[4:5], v[92:93], v[132:133], -v[4:5]
	v_fmac_f64_e32 v[14:15], v[94:95], v[132:133]
	s_delay_alu instid0(VALU_DEP_4) | instskip(NEXT) | instid1(VALU_DEP_4)
	v_add_f64_e32 v[0:1], v[0:1], v[6:7]
	v_add_f64_e32 v[2:3], v[2:3], v[8:9]
	s_delay_alu instid0(VALU_DEP_2) | instskip(NEXT) | instid1(VALU_DEP_2)
	v_add_f64_e32 v[0:1], v[0:1], v[4:5]
	v_add_f64_e32 v[2:3], v[2:3], v[14:15]
	v_add_nc_u64_e32 v[4:5], s[58:59], v[164:165]
	s_cbranch_scc1 .LBB129_78
.LBB129_74:                             ;   Parent Loop BB129_4 Depth=1
                                        ; =>  This Inner Loop Header: Depth=2
	s_and_saveexec_b32 s70, s0
	s_cbranch_execz .LBB129_76
; %bb.75:                               ;   in Loop: Header=BB129_74 Depth=2
	s_ashr_i32 s63, s62, 31
	s_delay_alu instid0(SALU_CYCLE_1)
	v_lshl_add_u64 v[6:7], s[62:63], 4, v[162:163]
	global_load_b128 v[6:9], v[6:7], off
	s_wait_loadcnt 0x0
	ds_store_2addr_b64 v145, v[6:7], v[8:9] offset1:1
.LBB129_76:                             ;   in Loop: Header=BB129_74 Depth=2
	s_wait_xcnt 0x0
	s_or_b32 exec_lo, exec_lo, s70
	s_delay_alu instid0(VALU_DEP_1) | instskip(SKIP_3) | instid1(VALU_DEP_1)
	v_add_nc_u64_e32 v[6:7], s[56:57], v[4:5]
	s_wait_dscnt 0x0
	s_barrier_signal -1
	s_barrier_wait -1
	v_add_nc_u64_e32 v[8:9], s[56:57], v[6:7]
	s_delay_alu instid0(VALU_DEP_1)
	v_add_nc_u64_e32 v[34:35], s[56:57], v[8:9]
	s_clause 0x3
	global_load_b128 v[16:19], v[4:5], off
	global_load_b128 v[12:15], v[6:7], off
	;; [unrolled: 1-line block ×4, first 2 shown]
	ds_load_b128 v[20:23], v167
	ds_load_b128 v[40:43], v188
	s_wait_loadcnt_dscnt 0x301
	v_mul_f64_e32 v[26:27], v[18:19], v[22:23]
	v_mul_f64_e32 v[24:25], v[16:17], v[22:23]
	s_wait_loadcnt 0x2
	v_mul_f64_e32 v[30:31], v[14:15], v[22:23]
	v_mul_f64_e32 v[28:29], v[12:13], v[22:23]
	s_wait_loadcnt 0x1
	;; [unrolled: 3-line block ×3, first 2 shown]
	v_mul_f64_e32 v[38:39], v[6:7], v[22:23]
	v_mul_f64_e32 v[54:55], v[4:5], v[22:23]
	v_fma_f64 v[22:23], v[16:17], v[20:21], -v[26:27]
	v_fmac_f64_e32 v[24:25], v[18:19], v[20:21]
	v_fma_f64 v[26:27], v[12:13], v[20:21], -v[30:31]
	v_fmac_f64_e32 v[28:29], v[14:15], v[20:21]
	;; [unrolled: 2-line block ×4, first 2 shown]
	v_add_nc_u64_e32 v[20:21], s[58:59], v[34:35]
	ds_load_b128 v[48:51], v188 offset:16
	ds_load_b128 v[44:47], v188 offset:32
	;; [unrolled: 1-line block ×3, first 2 shown]
	ds_store_b128 v189, v[22:25]
	ds_store_b128 v189, v[26:29] offset:1072
	ds_store_b128 v189, v[30:33] offset:2144
	;; [unrolled: 1-line block ×3, first 2 shown]
	v_add_nc_u64_e32 v[56:57], s[56:57], v[20:21]
	s_wait_dscnt 0x0
	s_barrier_signal -1
	s_barrier_wait -1
	ds_load_b128 v[200:203], v190
	ds_load_b128 v[108:111], v190 offset:16
	ds_load_b128 v[100:103], v190 offset:32
	;; [unrolled: 1-line block ×3, first 2 shown]
	s_wait_dscnt 0x0
	v_add_nc_u64_e32 v[58:59], s[56:57], v[56:57]
	s_barrier_signal -1
	s_barrier_wait -1
	s_delay_alu instid0(VALU_DEP_1)
	v_add_nc_u64_e32 v[66:67], s[56:57], v[58:59]
	s_clause 0x3
	global_load_b128 v[32:35], v[20:21], off
	global_load_b128 v[28:31], v[56:57], off
	;; [unrolled: 1-line block ×4, first 2 shown]
	ds_load_b128 v[52:55], v167
	ds_load_b128 v[72:75], v188 offset:256
	s_wait_loadcnt_dscnt 0x301
	s_wait_xcnt 0x1
	v_mul_f64_e32 v[58:59], v[34:35], v[54:55]
	v_mul_f64_e32 v[56:57], v[32:33], v[54:55]
	s_wait_loadcnt 0x2
	v_mul_f64_e32 v[62:63], v[30:31], v[54:55]
	v_mul_f64_e32 v[60:61], v[28:29], v[54:55]
	s_wait_loadcnt 0x1
	;; [unrolled: 3-line block ×3, first 2 shown]
	v_mul_f64_e32 v[70:71], v[22:23], v[54:55]
	v_mul_f64_e32 v[90:91], v[20:21], v[54:55]
	v_fma_f64 v[54:55], v[32:33], v[52:53], -v[58:59]
	v_fmac_f64_e32 v[56:57], v[34:35], v[52:53]
	v_fma_f64 v[58:59], v[28:29], v[52:53], -v[62:63]
	v_fmac_f64_e32 v[60:61], v[30:31], v[52:53]
	;; [unrolled: 2-line block ×4, first 2 shown]
	v_add_nc_u64_e32 v[52:53], s[58:59], v[66:67]
	ds_load_b128 v[80:83], v188 offset:272
	ds_load_b128 v[76:79], v188 offset:288
	;; [unrolled: 1-line block ×3, first 2 shown]
	ds_store_b128 v189, v[54:57]
	ds_store_b128 v189, v[58:61] offset:1072
	ds_store_b128 v189, v[62:65] offset:2144
	;; [unrolled: 1-line block ×3, first 2 shown]
	v_add_nc_u64_e32 v[92:93], s[56:57], v[52:53]
	s_wait_dscnt 0x0
	s_barrier_signal -1
	s_barrier_wait -1
	ds_load_b128 v[204:207], v190
	ds_load_b128 v[208:211], v190 offset:16
	ds_load_b128 v[212:215], v190 offset:32
	;; [unrolled: 1-line block ×3, first 2 shown]
	s_wait_dscnt 0x0
	v_add_nc_u64_e32 v[94:95], s[56:57], v[92:93]
	s_barrier_signal -1
	s_barrier_wait -1
	s_delay_alu instid0(VALU_DEP_1)
	v_add_nc_u64_e32 v[98:99], s[56:57], v[94:95]
	s_clause 0x2
	global_load_b128 v[64:67], v[52:53], off
	global_load_b128 v[60:63], v[92:93], off
	;; [unrolled: 1-line block ×4, first 2 shown]
	ds_load_b128 v[88:91], v167
	ds_load_b128 v[116:119], v188 offset:512
	v_add_f64_e32 v[204:205], 0, v[204:205]
	v_add_f64_e32 v[206:207], 0, v[206:207]
	s_delay_alu instid0(VALU_DEP_2) | instskip(NEXT) | instid1(VALU_DEP_2)
	v_add_f64_e32 v[204:205], v[204:205], v[208:209]
	v_add_f64_e32 v[206:207], v[206:207], v[210:211]
	s_delay_alu instid0(VALU_DEP_2) | instskip(NEXT) | instid1(VALU_DEP_2)
	v_add_f64_e32 v[204:205], v[204:205], v[212:213]
	v_add_f64_e32 v[206:207], v[206:207], v[214:215]
	s_wait_loadcnt_dscnt 0x301
	s_wait_xcnt 0x1
	v_mul_f64_e32 v[94:95], v[66:67], v[90:91]
	v_mul_f64_e32 v[92:93], v[64:65], v[90:91]
	s_wait_loadcnt 0x2
	v_mul_f64_e32 v[104:105], v[62:63], v[90:91]
	v_mul_f64_e32 v[96:97], v[60:61], v[90:91]
	s_wait_loadcnt 0x1
	;; [unrolled: 3-line block ×3, first 2 shown]
	v_mul_f64_e32 v[114:115], v[58:59], v[90:91]
	v_mul_f64_e32 v[130:131], v[56:57], v[90:91]
	v_fma_f64 v[90:91], v[64:65], v[88:89], -v[94:95]
	v_fmac_f64_e32 v[92:93], v[66:67], v[88:89]
	v_fma_f64 v[94:95], v[60:61], v[88:89], -v[104:105]
	v_fmac_f64_e32 v[96:97], v[62:63], v[88:89]
	;; [unrolled: 2-line block ×4, first 2 shown]
	v_add_nc_u64_e32 v[88:89], s[58:59], v[98:99]
	ds_load_b128 v[124:127], v188 offset:528
	ds_load_b128 v[120:123], v188 offset:544
	;; [unrolled: 1-line block ×3, first 2 shown]
	ds_store_b128 v189, v[90:93]
	ds_store_b128 v189, v[94:97] offset:1072
	ds_store_b128 v189, v[104:107] offset:2144
	;; [unrolled: 1-line block ×3, first 2 shown]
	s_wait_xcnt 0x0
	v_add_nc_u64_e32 v[98:99], s[56:57], v[88:89]
	s_wait_dscnt 0x0
	s_barrier_signal -1
	s_barrier_wait -1
	ds_load_b128 v[220:223], v190
	ds_load_b128 v[224:227], v190 offset:16
	ds_load_b128 v[228:231], v190 offset:32
	;; [unrolled: 1-line block ×3, first 2 shown]
	s_wait_dscnt 0x0
	v_add_nc_u64_e32 v[132:133], s[56:57], v[98:99]
	s_barrier_signal -1
	s_barrier_wait -1
	s_delay_alu instid0(VALU_DEP_1)
	v_add_nc_u64_e32 v[164:165], s[56:57], v[132:133]
	global_load_b128 v[104:107], v[88:89], off
	global_load_b128 v[96:99], v[98:99], off
	;; [unrolled: 1-line block ×4, first 2 shown]
	s_wait_xcnt 0x1
	ds_load_b128 v[132:135], v167
	ds_load_b128 v[128:131], v188 offset:768
	v_add_f64_e32 v[220:221], 0, v[220:221]
	v_add_f64_e32 v[222:223], 0, v[222:223]
	s_delay_alu instid0(VALU_DEP_2) | instskip(NEXT) | instid1(VALU_DEP_2)
	v_add_f64_e32 v[208:209], v[220:221], v[224:225]
	v_add_f64_e32 v[210:211], v[222:223], v[226:227]
	s_delay_alu instid0(VALU_DEP_2) | instskip(NEXT) | instid1(VALU_DEP_2)
	v_add_f64_e32 v[208:209], v[208:209], v[228:229]
	v_add_f64_e32 v[210:211], v[210:211], v[230:231]
	s_wait_loadcnt_dscnt 0x301
	v_mul_f64_e32 v[136:137], v[106:107], v[134:135]
	v_mul_f64_e32 v[238:239], v[104:105], v[134:135]
	s_wait_loadcnt 0x2
	v_mul_f64_e32 v[138:139], v[98:99], v[134:135]
	v_mul_f64_e32 v[242:243], v[96:97], v[134:135]
	s_wait_loadcnt 0x1
	;; [unrolled: 3-line block ×3, first 2 shown]
	v_mul_f64_e32 v[142:143], v[94:95], v[134:135]
	v_mul_f64_e32 v[250:251], v[92:93], v[134:135]
	v_fma_f64 v[236:237], v[104:105], v[132:133], -v[136:137]
	v_fmac_f64_e32 v[238:239], v[106:107], v[132:133]
	v_fma_f64 v[240:241], v[96:97], v[132:133], -v[138:139]
	v_fmac_f64_e32 v[242:243], v[98:99], v[132:133]
	;; [unrolled: 2-line block ×4, first 2 shown]
	ds_load_b128 v[140:143], v188 offset:784
	ds_load_b128 v[136:139], v188 offset:800
	;; [unrolled: 1-line block ×3, first 2 shown]
	ds_store_b128 v189, v[236:239]
	ds_store_b128 v189, v[240:243] offset:1072
	ds_store_b128 v189, v[244:247] offset:2144
	ds_store_b128 v189, v[248:251] offset:3216
	s_wait_dscnt 0x0
	s_barrier_signal -1
	s_barrier_wait -1
	ds_load_b128 v[236:239], v190
	v_add_f64_e32 v[240:241], 0, v[200:201]
	v_add_f64_e32 v[242:243], 0, v[202:203]
	ds_load_b128 v[200:203], v190 offset:16
	s_wait_dscnt 0x1
	v_add_f64_e32 v[236:237], 0, v[236:237]
	v_add_f64_e32 v[238:239], 0, v[238:239]
	;; [unrolled: 1-line block ×4, first 2 shown]
	ds_load_b128 v[108:111], v190 offset:32
	s_wait_dscnt 0x1
	v_add_f64_e32 v[200:201], v[236:237], v[200:201]
	v_add_f64_e32 v[202:203], v[238:239], v[202:203]
	v_add_f64_e32 v[220:221], v[240:241], v[100:101]
	v_add_f64_e32 v[222:223], v[242:243], v[102:103]
	ds_load_b128 v[100:103], v190 offset:48
	s_wait_dscnt 0x0
	s_barrier_signal -1
	s_barrier_wait -1
	v_add_f64_e32 v[212:213], v[200:201], v[108:109]
	v_add_f64_e32 v[214:215], v[202:203], v[110:111]
	v_add_f64_e32 v[108:109], v[204:205], v[216:217]
	v_add_f64_e32 v[110:111], v[206:207], v[218:219]
	v_add_f64_e32 v[200:201], v[208:209], v[232:233]
	v_add_f64_e32 v[202:203], v[210:211], v[234:235]
	v_add_f64_e32 v[84:85], v[220:221], v[84:85]
	v_add_f64_e32 v[86:87], v[222:223], v[86:87]
	v_add_f64_e32 v[100:101], v[212:213], v[100:101]
	v_add_f64_e32 v[102:103], v[214:215], v[102:103]
	ds_store_b128 v197, v[84:87]
	ds_store_b128 v197, v[108:111] offset:256
	ds_store_b128 v197, v[200:203] offset:512
	;; [unrolled: 1-line block ×3, first 2 shown]
	s_wait_dscnt 0x0
	s_barrier_signal -1
	s_barrier_wait -1
	s_wait_xcnt 0x0
	s_and_saveexec_b32 s63, s18
	s_cbranch_execz .LBB129_73
; %bb.77:                               ;   in Loop: Header=BB129_74 Depth=2
	ds_load_b128 v[84:87], v191
	ds_load_b128 v[100:103], v191 offset:16
	s_wait_dscnt 0x0
	v_add_f64_e32 v[108:109], v[100:101], v[84:85]
	v_add_f64_e32 v[110:111], v[102:103], v[86:87]
	ds_load_b128 v[84:87], v191 offset:32
	ds_load_b128 v[100:103], v191 offset:48
	s_wait_dscnt 0x1
	v_add_f64_e32 v[84:85], v[108:109], v[84:85]
	v_add_f64_e32 v[86:87], v[110:111], v[86:87]
	s_wait_dscnt 0x0
	s_delay_alu instid0(VALU_DEP_2) | instskip(NEXT) | instid1(VALU_DEP_2)
	v_add_f64_e32 v[108:109], v[84:85], v[100:101]
	v_add_f64_e32 v[110:111], v[86:87], v[102:103]
	ds_load_b128 v[84:87], v191 offset:64
	ds_load_b128 v[100:103], v191 offset:80
	s_wait_dscnt 0x1
	v_add_f64_e32 v[84:85], v[108:109], v[84:85]
	v_add_f64_e32 v[86:87], v[110:111], v[86:87]
	s_wait_dscnt 0x0
	s_delay_alu instid0(VALU_DEP_2) | instskip(NEXT) | instid1(VALU_DEP_2)
	;; [unrolled: 9-line block ×6, first 2 shown]
	v_add_f64_e32 v[108:109], v[84:85], v[100:101]
	v_add_f64_e32 v[110:111], v[86:87], v[102:103]
	ds_load_b128 v[84:87], v191 offset:224
	ds_load_b128 v[100:103], v192
	s_wait_dscnt 0x1
	v_add_f64_e32 v[84:85], v[108:109], v[84:85]
	v_add_f64_e32 v[86:87], v[110:111], v[86:87]
	s_wait_dscnt 0x0
	s_delay_alu instid0(VALU_DEP_2) | instskip(NEXT) | instid1(VALU_DEP_2)
	v_add_f64_e32 v[84:85], v[84:85], v[100:101]
	v_add_f64_e32 v[86:87], v[86:87], v[102:103]
	global_store_b128 v198, v[84:87], s[60:61] scale_offset
	s_branch .LBB129_73
.LBB129_78:                             ;   in Loop: Header=BB129_4 Depth=1
	ds_store_b128 v193, v[0:3]
	s_wait_dscnt 0x0
	s_barrier_signal -1
	s_barrier_wait -1
	s_and_saveexec_b32 s62, s67
	s_cbranch_execz .LBB129_2
; %bb.79:                               ;   in Loop: Header=BB129_4 Depth=1
	ds_load_b128 v[0:3], v166 offset:1072
	ds_load_b128 v[4:7], v166
	s_wait_dscnt 0x0
	v_add_f64_e32 v[8:9], v[0:1], v[4:5]
	v_add_f64_e32 v[10:11], v[2:3], v[6:7]
	ds_load_b128 v[0:3], v166 offset:2144
	ds_load_b128 v[4:7], v166 offset:3216
	s_wait_dscnt 0x1
	v_add_f64_e32 v[0:1], v[8:9], v[0:1]
	v_add_f64_e32 v[2:3], v[10:11], v[2:3]
	s_wait_dscnt 0x0
	s_delay_alu instid0(VALU_DEP_2) | instskip(NEXT) | instid1(VALU_DEP_2)
	v_add_f64_e32 v[0:1], v[0:1], v[4:5]
	v_add_f64_e32 v[2:3], v[2:3], v[6:7]
	v_lshl_add_u64 v[4:5], v[148:149], 4, s[60:61]
	global_store_b128 v[4:5], v[0:3], off
	s_branch .LBB129_2
.LBB129_80:                             ;   in Loop: Header=BB129_4 Depth=1
	ds_load_b128 v[0:3], v173
	s_wait_dscnt 0x0
	ds_store_b128 v172, v[0:3]
	s_or_b32 exec_lo, exec_lo, s60
	s_and_saveexec_b32 s60, s8
	s_cbranch_execz .LBB129_27
.LBB129_81:                             ;   in Loop: Header=BB129_4 Depth=1
	ds_load_b128 v[0:3], v175
	s_wait_dscnt 0x0
	ds_store_b128 v174, v[0:3]
	s_or_b32 exec_lo, exec_lo, s60
	s_and_saveexec_b32 s60, s9
	s_cbranch_execz .LBB129_28
.LBB129_82:                             ;   in Loop: Header=BB129_4 Depth=1
	ds_load_b128 v[0:3], v177
	s_wait_dscnt 0x0
	ds_store_b128 v176, v[0:3]
	s_or_b32 exec_lo, exec_lo, s60
	s_and_saveexec_b32 s60, s10
	s_cbranch_execnz .LBB129_29
	s_branch .LBB129_30
.LBB129_83:                             ;   in Loop: Header=BB129_4 Depth=1
	ds_load_b128 v[6:9], v173
	s_wait_dscnt 0x0
	ds_store_b128 v183, v[6:9]
	s_or_b32 exec_lo, exec_lo, s60
	s_and_saveexec_b32 s60, s8
	s_cbranch_execz .LBB129_48
.LBB129_84:                             ;   in Loop: Header=BB129_4 Depth=1
	ds_load_b128 v[6:9], v175
	s_wait_dscnt 0x0
	ds_store_b128 v184, v[6:9]
	s_or_b32 exec_lo, exec_lo, s60
	s_and_saveexec_b32 s60, s9
	s_cbranch_execz .LBB129_49
.LBB129_85:                             ;   in Loop: Header=BB129_4 Depth=1
	ds_load_b128 v[6:9], v177
	s_wait_dscnt 0x0
	ds_store_b128 v185, v[6:9]
	s_or_b32 exec_lo, exec_lo, s60
	s_and_saveexec_b32 s60, s10
	s_cbranch_execnz .LBB129_50
	s_branch .LBB129_51
.LBB129_86:                             ;   in Loop: Header=BB129_4 Depth=1
	global_load_b128 v[6:9], v[0:1], off
	s_wait_loadcnt 0x0
	ds_store_2addr_b64 v168, v[6:7], v[8:9] offset1:1
	s_wait_xcnt 0x0
	s_or_b32 exec_lo, exec_lo, s60
	s_and_saveexec_b32 s60, s4
	s_delay_alu instid0(SALU_CYCLE_1)
	s_xor_b32 s60, exec_lo, s60
	s_cbranch_execz .LBB129_18
.LBB129_87:                             ;   in Loop: Header=BB129_4 Depth=1
	v_dual_mov_b32 v6, v147 :: v_dual_mov_b32 v7, v147
	v_dual_mov_b32 v8, v147 :: v_dual_mov_b32 v9, v147
	ds_store_b128 v169, v[6:9]
	s_and_not1_saveexec_b32 s60, s60
	s_cbranch_execz .LBB129_19
.LBB129_88:                             ;   in Loop: Header=BB129_4 Depth=1
	v_lshl_add_u64 v[2:3], s[34:35], 4, v[0:1]
	global_load_b128 v[6:9], v[2:3], off
	s_wait_loadcnt 0x0
	ds_store_2addr_b64 v169, v[6:7], v[8:9] offset1:1
	s_wait_xcnt 0x0
	s_or_b32 exec_lo, exec_lo, s60
	s_and_saveexec_b32 s60, s5
	s_delay_alu instid0(SALU_CYCLE_1)
	s_xor_b32 s60, exec_lo, s60
	s_cbranch_execz .LBB129_20
.LBB129_89:                             ;   in Loop: Header=BB129_4 Depth=1
	v_dual_mov_b32 v6, v147 :: v_dual_mov_b32 v7, v147
	v_dual_mov_b32 v8, v147 :: v_dual_mov_b32 v9, v147
	ds_store_b128 v170, v[6:9]
	s_and_not1_saveexec_b32 s60, s60
	s_cbranch_execz .LBB129_21
.LBB129_90:                             ;   in Loop: Header=BB129_4 Depth=1
	v_lshl_add_u64 v[2:3], s[36:37], 4, v[0:1]
	global_load_b128 v[6:9], v[2:3], off
	s_wait_loadcnt 0x0
	ds_store_2addr_b64 v170, v[6:7], v[8:9] offset1:1
	s_wait_xcnt 0x0
	s_or_b32 exec_lo, exec_lo, s60
	s_and_saveexec_b32 s60, s6
	s_delay_alu instid0(SALU_CYCLE_1)
	s_xor_b32 s60, exec_lo, s60
	s_cbranch_execz .LBB129_22
.LBB129_91:                             ;   in Loop: Header=BB129_4 Depth=1
	v_dual_mov_b32 v6, v147 :: v_dual_mov_b32 v7, v147
	v_dual_mov_b32 v8, v147 :: v_dual_mov_b32 v9, v147
	ds_store_b128 v171, v[6:9]
	s_and_not1_saveexec_b32 s60, s60
	s_cbranch_execnz .LBB129_23
	s_branch .LBB129_24
.LBB129_92:                             ;   in Loop: Header=BB129_4 Depth=1
	global_load_b128 v[8:11], v[6:7], off
	s_wait_loadcnt 0x0
	ds_store_2addr_b64 v168, v[8:9], v[10:11] offset1:1
	s_wait_xcnt 0x0
	s_or_b32 exec_lo, exec_lo, s60
	s_and_saveexec_b32 s60, s14
	s_delay_alu instid0(SALU_CYCLE_1)
	s_xor_b32 s60, exec_lo, s60
	s_cbranch_execz .LBB129_39
.LBB129_93:                             ;   in Loop: Header=BB129_4 Depth=1
	v_dual_mov_b32 v8, v147 :: v_dual_mov_b32 v9, v147
	v_dual_mov_b32 v10, v147 :: v_dual_mov_b32 v11, v147
	ds_store_b128 v169, v[8:11]
	s_and_not1_saveexec_b32 s60, s60
	s_cbranch_execz .LBB129_40
.LBB129_94:                             ;   in Loop: Header=BB129_4 Depth=1
	v_lshl_add_u64 v[8:9], s[34:35], 4, v[6:7]
	global_load_b128 v[8:11], v[8:9], off
	s_wait_loadcnt 0x0
	ds_store_2addr_b64 v169, v[8:9], v[10:11] offset1:1
	s_wait_xcnt 0x0
	s_or_b32 exec_lo, exec_lo, s60
	s_and_saveexec_b32 s60, s15
	s_delay_alu instid0(SALU_CYCLE_1)
	s_xor_b32 s60, exec_lo, s60
	s_cbranch_execz .LBB129_41
.LBB129_95:                             ;   in Loop: Header=BB129_4 Depth=1
	v_dual_mov_b32 v8, v147 :: v_dual_mov_b32 v9, v147
	v_dual_mov_b32 v10, v147 :: v_dual_mov_b32 v11, v147
	ds_store_b128 v170, v[8:11]
	s_and_not1_saveexec_b32 s60, s60
	s_cbranch_execz .LBB129_42
.LBB129_96:                             ;   in Loop: Header=BB129_4 Depth=1
	v_lshl_add_u64 v[8:9], s[36:37], 4, v[6:7]
	global_load_b128 v[8:11], v[8:9], off
	s_wait_loadcnt 0x0
	ds_store_2addr_b64 v170, v[8:9], v[10:11] offset1:1
	s_wait_xcnt 0x0
	s_or_b32 exec_lo, exec_lo, s60
	s_and_saveexec_b32 s60, s16
	s_delay_alu instid0(SALU_CYCLE_1)
	s_xor_b32 s60, exec_lo, s60
	s_cbranch_execz .LBB129_43
.LBB129_97:                             ;   in Loop: Header=BB129_4 Depth=1
	v_dual_mov_b32 v8, v147 :: v_dual_mov_b32 v9, v147
	v_dual_mov_b32 v10, v147 :: v_dual_mov_b32 v11, v147
	ds_store_b128 v171, v[8:11]
	s_and_not1_saveexec_b32 s60, s60
	s_cbranch_execnz .LBB129_44
	s_branch .LBB129_45
.LBB129_98:                             ;   in Loop: Header=BB129_4 Depth=1
	global_load_b128 v[6:9], v[4:5], off
	s_wait_loadcnt 0x0
	ds_store_2addr_b64 v168, v[6:7], v[8:9] offset1:1
	s_wait_xcnt 0x0
	s_or_b32 exec_lo, exec_lo, s60
	s_and_saveexec_b32 s60, s4
	s_delay_alu instid0(SALU_CYCLE_1)
	s_xor_b32 s60, exec_lo, s60
	s_cbranch_execz .LBB129_60
.LBB129_99:                             ;   in Loop: Header=BB129_4 Depth=1
	v_dual_mov_b32 v6, v147 :: v_dual_mov_b32 v7, v147
	v_dual_mov_b32 v8, v147 :: v_dual_mov_b32 v9, v147
	ds_store_b128 v169, v[6:9]
	s_and_not1_saveexec_b32 s60, s60
	s_cbranch_execz .LBB129_61
.LBB129_100:                            ;   in Loop: Header=BB129_4 Depth=1
	v_lshl_add_u64 v[6:7], s[34:35], 4, v[4:5]
	global_load_b128 v[6:9], v[6:7], off
	s_wait_loadcnt 0x0
	ds_store_2addr_b64 v169, v[6:7], v[8:9] offset1:1
	s_wait_xcnt 0x0
	s_or_b32 exec_lo, exec_lo, s60
	s_and_saveexec_b32 s60, s5
	s_delay_alu instid0(SALU_CYCLE_1)
	s_xor_b32 s60, exec_lo, s60
	s_cbranch_execz .LBB129_62
.LBB129_101:                            ;   in Loop: Header=BB129_4 Depth=1
	v_dual_mov_b32 v6, v147 :: v_dual_mov_b32 v7, v147
	v_dual_mov_b32 v8, v147 :: v_dual_mov_b32 v9, v147
	ds_store_b128 v170, v[6:9]
	s_and_not1_saveexec_b32 s60, s60
	s_cbranch_execz .LBB129_63
.LBB129_102:                            ;   in Loop: Header=BB129_4 Depth=1
	v_lshl_add_u64 v[6:7], s[36:37], 4, v[4:5]
	global_load_b128 v[6:9], v[6:7], off
	s_wait_loadcnt 0x0
	ds_store_2addr_b64 v170, v[6:7], v[8:9] offset1:1
	s_wait_xcnt 0x0
	s_or_b32 exec_lo, exec_lo, s60
	s_and_saveexec_b32 s60, s6
	s_delay_alu instid0(SALU_CYCLE_1)
	s_xor_b32 s60, exec_lo, s60
	s_cbranch_execz .LBB129_64
.LBB129_103:                            ;   in Loop: Header=BB129_4 Depth=1
	v_dual_mov_b32 v6, v147 :: v_dual_mov_b32 v7, v147
	v_dual_mov_b32 v8, v147 :: v_dual_mov_b32 v9, v147
	ds_store_b128 v171, v[6:9]
	s_and_not1_saveexec_b32 s60, s60
	s_cbranch_execnz .LBB129_65
	s_branch .LBB129_66
.LBB129_104:
	s_sendmsg sendmsg(MSG_DEALLOC_VGPRS)
	s_endpgm
	.section	.rodata,"a",@progbits
	.p2align	6, 0x0
	.amdhsa_kernel _ZL26rocblas_hemvn_kernel_lowerILb0ELi64ELi4ELi33ELi32ELi16Ei19rocblas_complex_numIdEPKS1_PS1_EviT6_lT7_lT5_lS6_lS7_lS5_lT8_i
		.amdhsa_group_segment_fixed_size 19200
		.amdhsa_private_segment_fixed_size 0
		.amdhsa_kernarg_size 392
		.amdhsa_user_sgpr_count 2
		.amdhsa_user_sgpr_dispatch_ptr 0
		.amdhsa_user_sgpr_queue_ptr 0
		.amdhsa_user_sgpr_kernarg_segment_ptr 1
		.amdhsa_user_sgpr_dispatch_id 0
		.amdhsa_user_sgpr_kernarg_preload_length 0
		.amdhsa_user_sgpr_kernarg_preload_offset 0
		.amdhsa_user_sgpr_private_segment_size 0
		.amdhsa_wavefront_size32 1
		.amdhsa_uses_dynamic_stack 0
		.amdhsa_enable_private_segment 0
		.amdhsa_system_sgpr_workgroup_id_x 1
		.amdhsa_system_sgpr_workgroup_id_y 0
		.amdhsa_system_sgpr_workgroup_id_z 1
		.amdhsa_system_sgpr_workgroup_info 0
		.amdhsa_system_vgpr_workitem_id 1
		.amdhsa_next_free_vgpr 252
		.amdhsa_next_free_sgpr 71
		.amdhsa_named_barrier_count 0
		.amdhsa_reserve_vcc 1
		.amdhsa_float_round_mode_32 0
		.amdhsa_float_round_mode_16_64 0
		.amdhsa_float_denorm_mode_32 3
		.amdhsa_float_denorm_mode_16_64 3
		.amdhsa_fp16_overflow 0
		.amdhsa_memory_ordered 1
		.amdhsa_forward_progress 1
		.amdhsa_inst_pref_size 63
		.amdhsa_round_robin_scheduling 0
		.amdhsa_exception_fp_ieee_invalid_op 0
		.amdhsa_exception_fp_denorm_src 0
		.amdhsa_exception_fp_ieee_div_zero 0
		.amdhsa_exception_fp_ieee_overflow 0
		.amdhsa_exception_fp_ieee_underflow 0
		.amdhsa_exception_fp_ieee_inexact 0
		.amdhsa_exception_int_div_zero 0
	.end_amdhsa_kernel
	.section	.text._ZL26rocblas_hemvn_kernel_lowerILb0ELi64ELi4ELi33ELi32ELi16Ei19rocblas_complex_numIdEPKS1_PS1_EviT6_lT7_lT5_lS6_lS7_lS5_lT8_i,"axG",@progbits,_ZL26rocblas_hemvn_kernel_lowerILb0ELi64ELi4ELi33ELi32ELi16Ei19rocblas_complex_numIdEPKS1_PS1_EviT6_lT7_lT5_lS6_lS7_lS5_lT8_i,comdat
.Lfunc_end129:
	.size	_ZL26rocblas_hemvn_kernel_lowerILb0ELi64ELi4ELi33ELi32ELi16Ei19rocblas_complex_numIdEPKS1_PS1_EviT6_lT7_lT5_lS6_lS7_lS5_lT8_i, .Lfunc_end129-_ZL26rocblas_hemvn_kernel_lowerILb0ELi64ELi4ELi33ELi32ELi16Ei19rocblas_complex_numIdEPKS1_PS1_EviT6_lT7_lT5_lS6_lS7_lS5_lT8_i
                                        ; -- End function
	.set _ZL26rocblas_hemvn_kernel_lowerILb0ELi64ELi4ELi33ELi32ELi16Ei19rocblas_complex_numIdEPKS1_PS1_EviT6_lT7_lT5_lS6_lS7_lS5_lT8_i.num_vgpr, 252
	.set _ZL26rocblas_hemvn_kernel_lowerILb0ELi64ELi4ELi33ELi32ELi16Ei19rocblas_complex_numIdEPKS1_PS1_EviT6_lT7_lT5_lS6_lS7_lS5_lT8_i.num_agpr, 0
	.set _ZL26rocblas_hemvn_kernel_lowerILb0ELi64ELi4ELi33ELi32ELi16Ei19rocblas_complex_numIdEPKS1_PS1_EviT6_lT7_lT5_lS6_lS7_lS5_lT8_i.numbered_sgpr, 71
	.set _ZL26rocblas_hemvn_kernel_lowerILb0ELi64ELi4ELi33ELi32ELi16Ei19rocblas_complex_numIdEPKS1_PS1_EviT6_lT7_lT5_lS6_lS7_lS5_lT8_i.num_named_barrier, 0
	.set _ZL26rocblas_hemvn_kernel_lowerILb0ELi64ELi4ELi33ELi32ELi16Ei19rocblas_complex_numIdEPKS1_PS1_EviT6_lT7_lT5_lS6_lS7_lS5_lT8_i.private_seg_size, 0
	.set _ZL26rocblas_hemvn_kernel_lowerILb0ELi64ELi4ELi33ELi32ELi16Ei19rocblas_complex_numIdEPKS1_PS1_EviT6_lT7_lT5_lS6_lS7_lS5_lT8_i.uses_vcc, 1
	.set _ZL26rocblas_hemvn_kernel_lowerILb0ELi64ELi4ELi33ELi32ELi16Ei19rocblas_complex_numIdEPKS1_PS1_EviT6_lT7_lT5_lS6_lS7_lS5_lT8_i.uses_flat_scratch, 0
	.set _ZL26rocblas_hemvn_kernel_lowerILb0ELi64ELi4ELi33ELi32ELi16Ei19rocblas_complex_numIdEPKS1_PS1_EviT6_lT7_lT5_lS6_lS7_lS5_lT8_i.has_dyn_sized_stack, 0
	.set _ZL26rocblas_hemvn_kernel_lowerILb0ELi64ELi4ELi33ELi32ELi16Ei19rocblas_complex_numIdEPKS1_PS1_EviT6_lT7_lT5_lS6_lS7_lS5_lT8_i.has_recursion, 0
	.set _ZL26rocblas_hemvn_kernel_lowerILb0ELi64ELi4ELi33ELi32ELi16Ei19rocblas_complex_numIdEPKS1_PS1_EviT6_lT7_lT5_lS6_lS7_lS5_lT8_i.has_indirect_call, 0
	.section	.AMDGPU.csdata,"",@progbits
; Kernel info:
; codeLenInByte = 8060
; TotalNumSgprs: 73
; NumVgprs: 252
; ScratchSize: 0
; MemoryBound: 0
; FloatMode: 240
; IeeeMode: 1
; LDSByteSize: 19200 bytes/workgroup (compile time only)
; SGPRBlocks: 0
; VGPRBlocks: 15
; NumSGPRsForWavesPerEU: 73
; NumVGPRsForWavesPerEU: 252
; NamedBarCnt: 0
; Occupancy: 4
; WaveLimiterHint : 1
; COMPUTE_PGM_RSRC2:SCRATCH_EN: 0
; COMPUTE_PGM_RSRC2:USER_SGPR: 2
; COMPUTE_PGM_RSRC2:TRAP_HANDLER: 0
; COMPUTE_PGM_RSRC2:TGID_X_EN: 1
; COMPUTE_PGM_RSRC2:TGID_Y_EN: 0
; COMPUTE_PGM_RSRC2:TGID_Z_EN: 1
; COMPUTE_PGM_RSRC2:TIDIG_COMP_CNT: 1
	.section	.text._ZL50rocblas_symv_kernel_upper_double_buffered_diagonalILi32ELi4E24rocblas_internal_val_ptrIfEPKPKfPKPfEvbiT1_lT2_lllSA_lllS9_lT3_llli,"axG",@progbits,_ZL50rocblas_symv_kernel_upper_double_buffered_diagonalILi32ELi4E24rocblas_internal_val_ptrIfEPKPKfPKPfEvbiT1_lT2_lllSA_lllS9_lT3_llli,comdat
	.globl	_ZL50rocblas_symv_kernel_upper_double_buffered_diagonalILi32ELi4E24rocblas_internal_val_ptrIfEPKPKfPKPfEvbiT1_lT2_lllSA_lllS9_lT3_llli ; -- Begin function _ZL50rocblas_symv_kernel_upper_double_buffered_diagonalILi32ELi4E24rocblas_internal_val_ptrIfEPKPKfPKPfEvbiT1_lT2_lllSA_lllS9_lT3_llli
	.p2align	8
	.type	_ZL50rocblas_symv_kernel_upper_double_buffered_diagonalILi32ELi4E24rocblas_internal_val_ptrIfEPKPKfPKPfEvbiT1_lT2_lllSA_lllS9_lT3_llli,@function
_ZL50rocblas_symv_kernel_upper_double_buffered_diagonalILi32ELi4E24rocblas_internal_val_ptrIfEPKPKfPKPfEvbiT1_lT2_lllSA_lllS9_lT3_llli: ; @_ZL50rocblas_symv_kernel_upper_double_buffered_diagonalILi32ELi4E24rocblas_internal_val_ptrIfEPKPKfPKPfEvbiT1_lT2_lllSA_lllS9_lT3_llli
; %bb.0:
	s_load_b64 s[4:5], s[0:1], 0x4
	s_clause 0x1
	s_load_b256 s[8:15], s[2:3], 0x8
	s_load_b128 s[16:19], s[2:3], 0x58
	v_bfe_u32 v8, v0, 10, 10
	s_load_b32 s33, s[2:3], 0x88
	v_and_b32_e32 v2, 0x3ff, v0
	v_bfe_u32 v0, v0, 20, 10
	s_wait_xcnt 0x0
	s_bfe_u32 s1, ttmp6, 0x40014
	s_lshr_b32 s0, ttmp7, 16
	s_add_co_i32 s1, s1, 1
	s_delay_alu instid0(SALU_CYCLE_1)
	s_mul_i32 s1, s0, s1
	s_wait_kmcnt 0x0
	v_mul_u32_u24_e32 v1, s5, v8
	s_lshr_b32 s4, s4, 16
	v_dual_mov_b32 v4, s8 :: v_dual_mov_b32 v5, s9
	s_mul_i32 s4, s4, s5
	s_bfe_u32 s5, ttmp6, 0x40008
	v_mad_u32_u24 v1, s4, v2, v1
	s_getreg_b32 s4, hwreg(HW_REG_IB_STS2, 6, 4)
	s_add_co_i32 s5, s5, s1
	s_cmp_eq_u32 s4, 0
	v_dual_mov_b32 v6, s16 :: v_dual_mov_b32 v7, s17
	v_add_lshl_u32 v0, v1, v0, 3
	s_cselect_b32 s16, s0, s5
	s_mov_b32 s17, 0
	s_cmp_ge_u32 s16, s33
	s_delay_alu instid0(VALU_DEP_1)
	v_add_nc_u32_e32 v1, 0x80, v0
	ds_store_2addr_stride64_b64 v1, v[6:7], v[4:5] offset0:10 offset1:12
	s_cbranch_scc1 .LBB130_48
; %bb.1:
	s_clause 0x5
	s_load_b32 s5, s[2:3], 0x0
	s_load_b64 s[40:41], s[2:3], 0x28
	s_load_b128 s[20:23], s[2:3], 0x38
	s_load_b64 s[6:7], s[2:3], 0x48
	s_load_b64 s[28:29], s[2:3], 0x68
	s_load_b128 s[24:27], s[2:3], 0x70
	v_dual_mov_b32 v3, 0 :: v_dual_add_nc_u32 v14, 0x1880, v0
	v_dual_lshlrev_b32 v11, 2, v2 :: v_dual_lshlrev_b32 v12, 7, v8
	v_add_nc_u32_e32 v15, 0x1480, v0
	v_sub_co_u32 v13, s9, v2, v8
	s_delay_alu instid0(VALU_DEP_3) | instskip(SKIP_1) | instid1(VALU_DEP_3)
	v_dual_mov_b32 v9, v3 :: v_dual_add_nc_u32 v16, 0x1400, v11
	v_lshl_add_u32 v10, v8, 5, v2
	v_sub_nc_u32_e32 v17, 0, v13
	v_cmp_eq_u32_e64 s0, 0, v8
	v_add_nc_u32_e32 v23, 0xa00, v12
	v_add_nc_u32_e32 v24, 0xc00, v12
	;; [unrolled: 1-line block ×5, first 2 shown]
	s_wait_kmcnt 0x0
	v_mul_u64_e32 v[6:7], s[6:7], v[2:3]
	v_mul_u64_e32 v[4:5], s[40:41], v[8:9]
	;; [unrolled: 1-line block ×3, first 2 shown]
	s_bitcmp1_b32 s5, 0
	v_add_nc_u32_e32 v9, 0x800, v12
	s_cselect_b32 s2, -1, 0
	s_bfe_u32 s3, ttmp6, 0x4000c
	s_and_b32 s5, ttmp6, 15
	s_add_co_i32 s3, s3, 1
	s_xor_b32 s42, s2, -1
	s_mul_i32 s3, ttmp9, s3
	v_lshlrev_b32_e32 v8, 2, v8
	s_add_co_i32 s5, s5, s3
	s_cmp_eq_u32 s4, 0
	v_dual_add_nc_u32 v18, v11, v12 :: v_dual_max_i32 v13, v13, v17
	s_cselect_b32 s4, ttmp9, s5
	v_mul_u32_u24_e32 v17, 0x7c, v2
	v_add_nc_u32_e32 v12, 0x600, v12
	s_lshl_b32 s4, s4, 5
	s_add_nc_u64 s[2:3], s[40:41], 1
	s_ashr_i32 s5, s4, 31
	v_cmp_gt_u32_e64 s1, 16, v2
	s_mul_u64 s[26:27], s[26:27], s[4:5]
	s_mul_u64 s[30:31], s[2:3], s[4:5]
	;; [unrolled: 1-line block ×3, first 2 shown]
	v_cmp_lt_u32_e64 s2, 16, v13
	v_add3_u32 v17, v11, v17, v8
	v_cmp_lt_u32_e64 s3, 20, v13
	v_cmp_lt_u32_e64 s4, 24, v13
	;; [unrolled: 1-line block ×6, first 2 shown]
	v_add_nc_u32_e32 v19, 0x1400, v8
	v_lshl_add_u32 v20, v10, 2, 0x1000
	v_or_b32_e32 v21, 0x1000, v11
	v_dual_lshlrev_b32 v2, 2, v2 :: v_dual_add_nc_u32 v22, v11, v9
	v_dual_add_nc_u32 v23, v11, v23 :: v_dual_add_nc_u32 v24, v11, v24
	v_dual_add_nc_u32 v25, v11, v25 :: v_dual_add_nc_u32 v26, v11, v26
	;; [unrolled: 1-line block ×3, first 2 shown]
	s_lshl_b64 s[36:37], s[40:41], 2
	s_lshl_b64 s[38:39], s[40:41], 6
	s_xor_b32 s43, s9, -1
	s_lshl_b64 s[40:41], s[40:41], 4
	s_lshl_b64 s[14:15], s[14:15], 2
	s_branch .LBB130_4
.LBB130_2:                              ;   in Loop: Header=BB130_4 Depth=1
	s_wait_xcnt 0x0
	s_or_b32 exec_lo, exec_lo, s9
.LBB130_3:                              ;   in Loop: Header=BB130_4 Depth=1
	s_delay_alu instid0(SALU_CYCLE_1) | instskip(SKIP_1) | instid1(SALU_CYCLE_1)
	s_or_b32 exec_lo, exec_lo, s44
	s_add_co_i32 s16, s16, 0x10000
	s_cmp_lt_u32 s16, s33
	s_cbranch_scc0 .LBB130_48
.LBB130_4:                              ; =>This Inner Loop Header: Depth=1
	s_and_b32 vcc_lo, exec_lo, s42
	s_mov_b32 s9, -1
                                        ; implicit-def: $vgpr29
	s_cbranch_vccnz .LBB130_38
; %bb.5:                                ;   in Loop: Header=BB130_4 Depth=1
	s_and_not1_b32 vcc_lo, exec_lo, s9
	s_cbranch_vccz .LBB130_39
.LBB130_6:                              ;   in Loop: Header=BB130_4 Depth=1
	s_and_b32 vcc_lo, exec_lo, s42
	s_mov_b32 s9, -1
                                        ; implicit-def: $vgpr30
	s_cbranch_vccnz .LBB130_40
.LBB130_7:                              ;   in Loop: Header=BB130_4 Depth=1
	s_and_not1_b32 vcc_lo, exec_lo, s9
	s_cbranch_vccnz .LBB130_9
.LBB130_8:                              ;   in Loop: Header=BB130_4 Depth=1
	s_wait_loadcnt_dscnt 0x0
	ds_load_b32 v30, v15
.LBB130_9:                              ;   in Loop: Header=BB130_4 Depth=1
	s_wait_loadcnt_dscnt 0x0
	v_cmp_neq_f32_e32 vcc_lo, 0, v29
	v_cmp_neq_f32_e64 s9, 1.0, v30
	s_or_b32 s9, vcc_lo, s9
	s_wait_xcnt 0x0
	s_and_saveexec_b32 s44, s9
	s_cbranch_execz .LBB130_3
; %bb.10:                               ;   in Loop: Header=BB130_4 Depth=1
	v_mov_b64_e32 v[8:9], s[16:17]
	v_cmp_neq_f32_e64 s9, 0, v29
	v_cmp_eq_f32_e32 vcc_lo, 0, v29
	s_and_saveexec_b32 s45, vcc_lo
	s_delay_alu instid0(SALU_CYCLE_1)
	s_xor_b32 s45, exec_lo, s45
; %bb.11:                               ;   in Loop: Header=BB130_4 Depth=1
	v_mov_b64_e32 v[8:9], s[16:17]
; %bb.12:                               ;   in Loop: Header=BB130_4 Depth=1
	s_or_saveexec_b32 s45, s45
	v_mov_b64_e32 v[12:13], 0
	v_mov_b64_e32 v[10:11], 0
	s_xor_b32 exec_lo, exec_lo, s45
	s_cbranch_execz .LBB130_14
; %bb.13:                               ;   in Loop: Header=BB130_4 Depth=1
	s_lshl_b64 s[46:47], s[16:17], 3
	s_delay_alu instid0(SALU_CYCLE_1)
	s_add_nc_u64 s[46:47], s[12:13], s[46:47]
	global_load_b64 v[10:11], v3, s[46:47]
	s_wait_loadcnt 0x0
	v_add_nc_u64_e32 v[10:11], s[14:15], v[10:11]
.LBB130_14:                             ;   in Loop: Header=BB130_4 Depth=1
	s_wait_xcnt 0x0
	s_or_b32 exec_lo, exec_lo, s45
	s_and_saveexec_b32 s45, s9
	s_cbranch_execz .LBB130_16
; %bb.15:                               ;   in Loop: Header=BB130_4 Depth=1
	v_lshl_add_u64 v[12:13], v[8:9], 3, s[20:21]
	global_load_b64 v[12:13], v[12:13], off
	s_wait_loadcnt 0x0
	s_wait_xcnt 0x0
	v_lshl_add_u64 v[12:13], s[22:23], 2, v[12:13]
.LBB130_16:                             ;   in Loop: Header=BB130_4 Depth=1
	s_or_b32 exec_lo, exec_lo, s45
	v_lshl_add_u64 v[8:9], v[8:9], 3, s[28:29]
	global_load_b64 v[8:9], v[8:9], off
	s_wait_loadcnt 0x0
	s_wait_xcnt 0x0
	v_lshl_add_u64 v[8:9], s[24:25], 2, v[8:9]
	s_delay_alu instid0(VALU_DEP_1) | instskip(SKIP_1) | instid1(SALU_CYCLE_1)
	v_lshl_add_u64 v[8:9], s[26:27], 2, v[8:9]
	s_and_saveexec_b32 s9, vcc_lo
	s_xor_b32 s9, exec_lo, s9
	s_cbranch_execz .LBB130_20
; %bb.17:                               ;   in Loop: Header=BB130_4 Depth=1
	s_and_saveexec_b32 s45, s0
	s_cbranch_execz .LBB130_19
; %bb.18:                               ;   in Loop: Header=BB130_4 Depth=1
	v_lshl_add_u64 v[8:9], v[0:1], 2, v[8:9]
	flat_load_b32 v10, v[8:9]
	s_wait_loadcnt_dscnt 0x0
	v_mul_f32_e32 v10, v30, v10
	flat_store_b32 v[8:9], v10
.LBB130_19:                             ;   in Loop: Header=BB130_4 Depth=1
	s_wait_xcnt 0x0
	s_or_b32 exec_lo, exec_lo, s45
                                        ; implicit-def: $vgpr29
                                        ; implicit-def: $vgpr30
                                        ; implicit-def: $vgpr8_vgpr9
                                        ; implicit-def: $vgpr10_vgpr11
                                        ; implicit-def: $vgpr12_vgpr13
.LBB130_20:                             ;   in Loop: Header=BB130_4 Depth=1
	s_and_not1_saveexec_b32 s9, s9
	s_cbranch_execz .LBB130_3
; %bb.21:                               ;   in Loop: Header=BB130_4 Depth=1
	v_mov_b32_e32 v31, 0
	s_and_saveexec_b32 s9, s0
	s_cbranch_execz .LBB130_25
; %bb.22:                               ;   in Loop: Header=BB130_4 Depth=1
	v_mov_b32_e32 v31, 0
	s_mov_b32 s45, exec_lo
	v_cmpx_neq_f32_e32 0, v30
	s_cbranch_execz .LBB130_24
; %bb.23:                               ;   in Loop: Header=BB130_4 Depth=1
	v_lshl_add_u64 v[32:33], v[0:1], 2, v[8:9]
	flat_load_b32 v31, v[32:33]
	s_wait_loadcnt_dscnt 0x0
	v_mul_f32_e32 v31, v30, v31
.LBB130_24:                             ;   in Loop: Header=BB130_4 Depth=1
	s_wait_xcnt 0x0
	s_or_b32 exec_lo, exec_lo, s45
	v_lshl_add_u64 v[12:13], s[34:35], 2, v[12:13]
	s_delay_alu instid0(VALU_DEP_1)
	v_lshl_add_u64 v[12:13], v[6:7], 2, v[12:13]
	flat_load_b32 v12, v[12:13]
	s_wait_loadcnt_dscnt 0x0
	ds_store_b32 v16, v12
.LBB130_25:                             ;   in Loop: Header=BB130_4 Depth=1
	s_wait_xcnt 0x0
	s_or_b32 exec_lo, exec_lo, s9
	v_lshl_add_u64 v[10:11], s[30:31], 2, v[10:11]
	s_delay_alu instid0(VALU_DEP_1) | instskip(NEXT) | instid1(VALU_DEP_1)
	v_lshl_add_u64 v[10:11], v[4:5], 2, v[10:11]
	v_add_nc_u64_e32 v[10:11], v[10:11], v[2:3]
	s_and_saveexec_b32 s9, s1
	s_cbranch_execz .LBB130_27
; %bb.26:                               ;   in Loop: Header=BB130_4 Depth=1
	s_delay_alu instid0(VALU_DEP_1) | instskip(NEXT) | instid1(VALU_DEP_1)
	v_lshl_add_u64 v[12:13], s[36:37], 2, v[10:11]
	v_add_nc_u64_e32 v[32:33], s[40:41], v[12:13]
	s_delay_alu instid0(VALU_DEP_1)
	v_add_nc_u64_e32 v[34:35], s[40:41], v[32:33]
	s_clause 0x3
	flat_load_b32 v36, v[10:11]
	flat_load_b32 v37, v[12:13]
	;; [unrolled: 1-line block ×4, first 2 shown]
	s_wait_loadcnt_dscnt 0x202
	ds_store_2addr_stride64_b32 v18, v36, v37 offset1:2
	s_wait_loadcnt_dscnt 0x1
	ds_store_2addr_stride64_b32 v18, v38, v39 offset0:4 offset1:6
.LBB130_27:                             ;   in Loop: Header=BB130_4 Depth=1
	s_wait_xcnt 0x0
	s_or_b32 exec_lo, exec_lo, s9
	s_delay_alu instid0(VALU_DEP_1) | instskip(NEXT) | instid1(VALU_DEP_1)
	v_add_nc_u64_e32 v[10:11], s[38:39], v[10:11]
	v_lshl_add_u64 v[12:13], s[36:37], 2, v[10:11]
	s_delay_alu instid0(VALU_DEP_1) | instskip(NEXT) | instid1(VALU_DEP_1)
	v_add_nc_u64_e32 v[32:33], s[40:41], v[12:13]
	v_add_nc_u64_e32 v[34:35], s[40:41], v[32:33]
	s_clause 0x3
	flat_load_b32 v36, v[10:11]
	flat_load_b32 v37, v[12:13]
	flat_load_b32 v38, v[32:33]
	flat_load_b32 v39, v[34:35]
	s_wait_loadcnt_dscnt 0x303
	ds_store_b32 v22, v36
	s_wait_loadcnt_dscnt 0x203
	ds_store_b32 v23, v37
	s_wait_loadcnt_dscnt 0x103
	ds_store_b32 v24, v38
	s_wait_loadcnt_dscnt 0x3
	ds_store_b32 v25, v39
	s_wait_storecnt_dscnt 0x0
	s_barrier_signal -1
	s_barrier_wait -1
	s_wait_xcnt 0x0
	s_and_saveexec_b32 s9, s2
	s_cbranch_execnz .LBB130_41
; %bb.28:                               ;   in Loop: Header=BB130_4 Depth=1
	s_or_b32 exec_lo, exec_lo, s9
	s_and_saveexec_b32 s9, s3
	s_cbranch_execnz .LBB130_42
.LBB130_29:                             ;   in Loop: Header=BB130_4 Depth=1
	s_or_b32 exec_lo, exec_lo, s9
	s_and_saveexec_b32 s9, s4
	s_cbranch_execnz .LBB130_43
.LBB130_30:                             ;   in Loop: Header=BB130_4 Depth=1
	s_or_b32 exec_lo, exec_lo, s9
	s_and_saveexec_b32 s9, s5
	s_cbranch_execnz .LBB130_44
.LBB130_31:                             ;   in Loop: Header=BB130_4 Depth=1
	s_or_b32 exec_lo, exec_lo, s9
	s_and_saveexec_b32 s9, s43
	s_cbranch_execnz .LBB130_45
.LBB130_32:                             ;   in Loop: Header=BB130_4 Depth=1
	s_or_b32 exec_lo, exec_lo, s9
	s_and_saveexec_b32 s9, s6
	s_cbranch_execnz .LBB130_46
.LBB130_33:                             ;   in Loop: Header=BB130_4 Depth=1
	s_or_b32 exec_lo, exec_lo, s9
	s_and_saveexec_b32 s9, s7
	s_cbranch_execnz .LBB130_47
.LBB130_34:                             ;   in Loop: Header=BB130_4 Depth=1
	s_or_b32 exec_lo, exec_lo, s9
	s_and_saveexec_b32 s9, s8
	s_cbranch_execz .LBB130_36
.LBB130_35:                             ;   in Loop: Header=BB130_4 Depth=1
	ds_load_b32 v10, v17 offset:48
	s_wait_dscnt 0x0
	ds_store_b32 v28, v10
.LBB130_36:                             ;   in Loop: Header=BB130_4 Depth=1
	s_or_b32 exec_lo, exec_lo, s9
	s_wait_dscnt 0x0
	s_barrier_signal -1
	s_barrier_wait -1
	ds_load_b32 v10, v18
	ds_load_b32 v11, v26
	ds_load_2addr_b32 v[12:13], v19 offset1:4
	ds_load_2addr_b32 v[32:33], v19 offset0:8 offset1:12
	ds_load_b32 v34, v27
	ds_load_b32 v35, v28
	ds_load_2addr_b32 v[36:37], v19 offset0:16 offset1:20
	ds_load_b32 v38, v22
	ds_load_b32 v39, v23
	;; [unrolled: 1-line block ×4, first 2 shown]
	s_wait_dscnt 0x8
	v_pk_mul_f32 v[10:11], v[10:11], v[12:13]
	ds_load_2addr_b32 v[12:13], v19 offset0:24 offset1:28
	s_wait_dscnt 0x6
	v_pk_mul_f32 v[32:33], v[34:35], v[32:33]
	v_add_f32_e32 v10, 0, v10
	s_delay_alu instid0(VALU_DEP_1) | instskip(NEXT) | instid1(VALU_DEP_1)
	v_add_f32_e32 v10, v10, v11
	v_add_f32_e32 v32, v10, v32
	s_wait_dscnt 0x3
	v_pk_mul_f32 v[10:11], v[38:39], v[36:37]
	s_delay_alu instid0(VALU_DEP_2) | instskip(SKIP_2) | instid1(VALU_DEP_2)
	v_add_f32_e32 v32, v32, v33
	s_wait_dscnt 0x0
	v_pk_mul_f32 v[12:13], v[40:41], v[12:13]
	v_add_f32_e32 v10, v32, v10
	s_delay_alu instid0(VALU_DEP_1) | instskip(NEXT) | instid1(VALU_DEP_1)
	v_add_f32_e32 v10, v10, v11
	v_add_f32_e32 v10, v10, v12
	s_delay_alu instid0(VALU_DEP_1)
	v_add_f32_e32 v10, v10, v13
	ds_store_b32 v20, v10
	s_wait_dscnt 0x0
	s_barrier_signal -1
	s_barrier_wait -1
	s_and_saveexec_b32 s9, s0
	s_cbranch_execz .LBB130_2
; %bb.37:                               ;   in Loop: Header=BB130_4 Depth=1
	ds_load_2addr_b32 v[10:11], v21 offset1:32
	ds_load_2addr_b32 v[12:13], v21 offset0:64 offset1:96
	v_cmp_neq_f32_e32 vcc_lo, 0, v30
	v_lshl_add_u64 v[8:9], v[0:1], 2, v[8:9]
	s_wait_dscnt 0x1
	v_add_f32_e32 v10, 0, v10
	s_delay_alu instid0(VALU_DEP_1) | instskip(SKIP_1) | instid1(VALU_DEP_1)
	v_add_f32_e32 v10, v10, v11
	s_wait_dscnt 0x0
	v_add_f32_e32 v10, v10, v12
	s_delay_alu instid0(VALU_DEP_1) | instskip(NEXT) | instid1(VALU_DEP_1)
	v_add_f32_e32 v10, v10, v13
	v_dual_mul_f32 v11, v29, v10 :: v_dual_fmac_f32 v31, v29, v10
	s_delay_alu instid0(VALU_DEP_1)
	v_cndmask_b32_e32 v10, v11, v31, vcc_lo
	flat_store_b32 v[8:9], v10
	s_branch .LBB130_2
.LBB130_38:                             ;   in Loop: Header=BB130_4 Depth=1
	ds_load_b64 v[8:9], v14
	s_mul_u64 s[44:45], s[10:11], s[16:17]
	s_wait_dscnt 0x0
	v_lshl_add_u64 v[8:9], s[44:45], 2, v[8:9]
	flat_load_b32 v29, v[8:9]
	s_cbranch_execnz .LBB130_6
.LBB130_39:                             ;   in Loop: Header=BB130_4 Depth=1
	s_wait_loadcnt_dscnt 0x0
	ds_load_b32 v29, v14
	s_and_b32 vcc_lo, exec_lo, s42
	s_mov_b32 s9, -1
                                        ; implicit-def: $vgpr30
	s_cbranch_vccz .LBB130_7
.LBB130_40:                             ;   in Loop: Header=BB130_4 Depth=1
	s_wait_xcnt 0x0
	ds_load_b64 v[8:9], v15
	s_mul_u64 s[44:45], s[18:19], s[16:17]
	s_wait_dscnt 0x0
	v_lshl_add_u64 v[8:9], s[44:45], 2, v[8:9]
	flat_load_b32 v30, v[8:9]
	s_cbranch_execz .LBB130_8
	s_branch .LBB130_9
.LBB130_41:                             ;   in Loop: Header=BB130_4 Depth=1
	ds_load_b32 v10, v17 offset:64
	s_wait_dscnt 0x0
	ds_store_b32 v22, v10
	s_or_b32 exec_lo, exec_lo, s9
	s_and_saveexec_b32 s9, s3
	s_cbranch_execz .LBB130_29
.LBB130_42:                             ;   in Loop: Header=BB130_4 Depth=1
	ds_load_b32 v10, v17 offset:80
	s_wait_dscnt 0x0
	ds_store_b32 v23, v10
	s_or_b32 exec_lo, exec_lo, s9
	s_and_saveexec_b32 s9, s4
	s_cbranch_execz .LBB130_30
.LBB130_43:                             ;   in Loop: Header=BB130_4 Depth=1
	ds_load_b32 v10, v17 offset:96
	s_wait_dscnt 0x0
	ds_store_b32 v24, v10
	s_or_b32 exec_lo, exec_lo, s9
	s_and_saveexec_b32 s9, s5
	s_cbranch_execz .LBB130_31
.LBB130_44:                             ;   in Loop: Header=BB130_4 Depth=1
	ds_load_b32 v10, v17 offset:112
	s_wait_dscnt 0x0
	ds_store_b32 v25, v10
	s_or_b32 exec_lo, exec_lo, s9
	s_and_saveexec_b32 s9, s43
	s_cbranch_execz .LBB130_32
.LBB130_45:                             ;   in Loop: Header=BB130_4 Depth=1
	ds_load_b32 v10, v17
	s_wait_dscnt 0x0
	ds_store_b32 v18, v10
	s_or_b32 exec_lo, exec_lo, s9
	s_and_saveexec_b32 s9, s6
	s_cbranch_execz .LBB130_33
.LBB130_46:                             ;   in Loop: Header=BB130_4 Depth=1
	ds_load_b32 v10, v17 offset:16
	s_wait_dscnt 0x0
	ds_store_b32 v26, v10
	s_or_b32 exec_lo, exec_lo, s9
	s_and_saveexec_b32 s9, s7
	s_cbranch_execz .LBB130_34
.LBB130_47:                             ;   in Loop: Header=BB130_4 Depth=1
	ds_load_b32 v10, v17 offset:32
	s_wait_dscnt 0x0
	ds_store_b32 v27, v10
	s_or_b32 exec_lo, exec_lo, s9
	s_and_saveexec_b32 s9, s8
	s_cbranch_execnz .LBB130_35
	s_branch .LBB130_36
.LBB130_48:
	s_endpgm
	.section	.rodata,"a",@progbits
	.p2align	6, 0x0
	.amdhsa_kernel _ZL50rocblas_symv_kernel_upper_double_buffered_diagonalILi32ELi4E24rocblas_internal_val_ptrIfEPKPKfPKPfEvbiT1_lT2_lllSA_lllS9_lT3_llli
		.amdhsa_group_segment_fixed_size 7296
		.amdhsa_private_segment_fixed_size 0
		.amdhsa_kernarg_size 140
		.amdhsa_user_sgpr_count 4
		.amdhsa_user_sgpr_dispatch_ptr 1
		.amdhsa_user_sgpr_queue_ptr 0
		.amdhsa_user_sgpr_kernarg_segment_ptr 1
		.amdhsa_user_sgpr_dispatch_id 0
		.amdhsa_user_sgpr_kernarg_preload_length 0
		.amdhsa_user_sgpr_kernarg_preload_offset 0
		.amdhsa_user_sgpr_private_segment_size 0
		.amdhsa_wavefront_size32 1
		.amdhsa_uses_dynamic_stack 0
		.amdhsa_enable_private_segment 0
		.amdhsa_system_sgpr_workgroup_id_x 1
		.amdhsa_system_sgpr_workgroup_id_y 0
		.amdhsa_system_sgpr_workgroup_id_z 1
		.amdhsa_system_sgpr_workgroup_info 0
		.amdhsa_system_vgpr_workitem_id 2
		.amdhsa_next_free_vgpr 42
		.amdhsa_next_free_sgpr 48
		.amdhsa_named_barrier_count 0
		.amdhsa_reserve_vcc 1
		.amdhsa_float_round_mode_32 0
		.amdhsa_float_round_mode_16_64 0
		.amdhsa_float_denorm_mode_32 3
		.amdhsa_float_denorm_mode_16_64 3
		.amdhsa_fp16_overflow 0
		.amdhsa_memory_ordered 1
		.amdhsa_forward_progress 1
		.amdhsa_inst_pref_size 18
		.amdhsa_round_robin_scheduling 0
		.amdhsa_exception_fp_ieee_invalid_op 0
		.amdhsa_exception_fp_denorm_src 0
		.amdhsa_exception_fp_ieee_div_zero 0
		.amdhsa_exception_fp_ieee_overflow 0
		.amdhsa_exception_fp_ieee_underflow 0
		.amdhsa_exception_fp_ieee_inexact 0
		.amdhsa_exception_int_div_zero 0
	.end_amdhsa_kernel
	.section	.text._ZL50rocblas_symv_kernel_upper_double_buffered_diagonalILi32ELi4E24rocblas_internal_val_ptrIfEPKPKfPKPfEvbiT1_lT2_lllSA_lllS9_lT3_llli,"axG",@progbits,_ZL50rocblas_symv_kernel_upper_double_buffered_diagonalILi32ELi4E24rocblas_internal_val_ptrIfEPKPKfPKPfEvbiT1_lT2_lllSA_lllS9_lT3_llli,comdat
.Lfunc_end130:
	.size	_ZL50rocblas_symv_kernel_upper_double_buffered_diagonalILi32ELi4E24rocblas_internal_val_ptrIfEPKPKfPKPfEvbiT1_lT2_lllSA_lllS9_lT3_llli, .Lfunc_end130-_ZL50rocblas_symv_kernel_upper_double_buffered_diagonalILi32ELi4E24rocblas_internal_val_ptrIfEPKPKfPKPfEvbiT1_lT2_lllSA_lllS9_lT3_llli
                                        ; -- End function
	.set _ZL50rocblas_symv_kernel_upper_double_buffered_diagonalILi32ELi4E24rocblas_internal_val_ptrIfEPKPKfPKPfEvbiT1_lT2_lllSA_lllS9_lT3_llli.num_vgpr, 42
	.set _ZL50rocblas_symv_kernel_upper_double_buffered_diagonalILi32ELi4E24rocblas_internal_val_ptrIfEPKPKfPKPfEvbiT1_lT2_lllSA_lllS9_lT3_llli.num_agpr, 0
	.set _ZL50rocblas_symv_kernel_upper_double_buffered_diagonalILi32ELi4E24rocblas_internal_val_ptrIfEPKPKfPKPfEvbiT1_lT2_lllSA_lllS9_lT3_llli.numbered_sgpr, 48
	.set _ZL50rocblas_symv_kernel_upper_double_buffered_diagonalILi32ELi4E24rocblas_internal_val_ptrIfEPKPKfPKPfEvbiT1_lT2_lllSA_lllS9_lT3_llli.num_named_barrier, 0
	.set _ZL50rocblas_symv_kernel_upper_double_buffered_diagonalILi32ELi4E24rocblas_internal_val_ptrIfEPKPKfPKPfEvbiT1_lT2_lllSA_lllS9_lT3_llli.private_seg_size, 0
	.set _ZL50rocblas_symv_kernel_upper_double_buffered_diagonalILi32ELi4E24rocblas_internal_val_ptrIfEPKPKfPKPfEvbiT1_lT2_lllSA_lllS9_lT3_llli.uses_vcc, 1
	.set _ZL50rocblas_symv_kernel_upper_double_buffered_diagonalILi32ELi4E24rocblas_internal_val_ptrIfEPKPKfPKPfEvbiT1_lT2_lllSA_lllS9_lT3_llli.uses_flat_scratch, 1
	.set _ZL50rocblas_symv_kernel_upper_double_buffered_diagonalILi32ELi4E24rocblas_internal_val_ptrIfEPKPKfPKPfEvbiT1_lT2_lllSA_lllS9_lT3_llli.has_dyn_sized_stack, 0
	.set _ZL50rocblas_symv_kernel_upper_double_buffered_diagonalILi32ELi4E24rocblas_internal_val_ptrIfEPKPKfPKPfEvbiT1_lT2_lllSA_lllS9_lT3_llli.has_recursion, 0
	.set _ZL50rocblas_symv_kernel_upper_double_buffered_diagonalILi32ELi4E24rocblas_internal_val_ptrIfEPKPKfPKPfEvbiT1_lT2_lllSA_lllS9_lT3_llli.has_indirect_call, 0
	.section	.AMDGPU.csdata,"",@progbits
; Kernel info:
; codeLenInByte = 2224
; TotalNumSgprs: 50
; NumVgprs: 42
; ScratchSize: 0
; MemoryBound: 0
; FloatMode: 240
; IeeeMode: 1
; LDSByteSize: 7296 bytes/workgroup (compile time only)
; SGPRBlocks: 0
; VGPRBlocks: 2
; NumSGPRsForWavesPerEU: 50
; NumVGPRsForWavesPerEU: 42
; NamedBarCnt: 0
; Occupancy: 16
; WaveLimiterHint : 1
; COMPUTE_PGM_RSRC2:SCRATCH_EN: 0
; COMPUTE_PGM_RSRC2:USER_SGPR: 4
; COMPUTE_PGM_RSRC2:TRAP_HANDLER: 0
; COMPUTE_PGM_RSRC2:TGID_X_EN: 1
; COMPUTE_PGM_RSRC2:TGID_Y_EN: 0
; COMPUTE_PGM_RSRC2:TGID_Z_EN: 1
; COMPUTE_PGM_RSRC2:TIDIG_COMP_CNT: 2
	.section	.text._ZL54rocblas_symv_kernel_upper_double_buffered_non_diagonalILi32ELi4ELi4E24rocblas_internal_val_ptrIfEPKPKfPKPfEvbiT2_lT3_lllSA_lllT4_llli,"axG",@progbits,_ZL54rocblas_symv_kernel_upper_double_buffered_non_diagonalILi32ELi4ELi4E24rocblas_internal_val_ptrIfEPKPKfPKPfEvbiT2_lT3_lllSA_lllT4_llli,comdat
	.globl	_ZL54rocblas_symv_kernel_upper_double_buffered_non_diagonalILi32ELi4ELi4E24rocblas_internal_val_ptrIfEPKPKfPKPfEvbiT2_lT3_lllSA_lllT4_llli ; -- Begin function _ZL54rocblas_symv_kernel_upper_double_buffered_non_diagonalILi32ELi4ELi4E24rocblas_internal_val_ptrIfEPKPKfPKPfEvbiT2_lT3_lllSA_lllT4_llli
	.p2align	8
	.type	_ZL54rocblas_symv_kernel_upper_double_buffered_non_diagonalILi32ELi4ELi4E24rocblas_internal_val_ptrIfEPKPKfPKPfEvbiT2_lT3_lllSA_lllT4_llli,@function
_ZL54rocblas_symv_kernel_upper_double_buffered_non_diagonalILi32ELi4ELi4E24rocblas_internal_val_ptrIfEPKPKfPKPfEvbiT2_lT3_lllSA_lllT4_llli: ; @_ZL54rocblas_symv_kernel_upper_double_buffered_non_diagonalILi32ELi4ELi4E24rocblas_internal_val_ptrIfEPKPKfPKPfEvbiT2_lT3_lllSA_lllT4_llli
; %bb.0:
	s_load_b64 s[12:13], s[0:1], 0x4
	s_load_b256 s[4:11], s[2:3], 0x8
	v_bfe_u32 v1, v0, 10, 10
	s_wait_xcnt 0x0
	s_load_b32 s1, s[2:3], 0x78
	v_and_b32_e32 v6, 0x3ff, v0
	s_bfe_u32 s0, ttmp6, 0x40014
	s_lshr_b32 s14, ttmp7, 16
	s_add_co_i32 s0, s0, 1
	v_bfe_u32 v0, v0, 20, 10
	s_mov_b32 s21, 0
	s_wait_kmcnt 0x0
	v_mul_u32_u24_e32 v4, s13, v1
	s_lshr_b32 s12, s12, 16
	v_dual_mov_b32 v2, s4 :: v_dual_mov_b32 v3, s5
	s_mul_i32 s12, s12, s13
	s_mul_i32 s4, s14, s0
	v_mad_u32_u24 v4, s12, v6, v4
	s_bfe_u32 s5, ttmp6, 0x40008
	s_getreg_b32 s0, hwreg(HW_REG_IB_STS2, 6, 4)
	s_add_co_i32 s5, s5, s4
	s_cmp_eq_u32 s0, 0
	v_add_lshl_u32 v0, v4, v0, 3
	s_cselect_b32 s4, s14, s5
	s_delay_alu instid0(SALU_CYCLE_1)
	s_cmp_ge_u32 s4, s1
	ds_store_b64 v0, v[2:3] offset:3200
	s_cbranch_scc1 .LBB131_29
; %bb.1:
	s_clause 0x1
	s_load_b32 s5, s[2:3], 0x0
	s_load_b64 s[22:23], s[2:3], 0x28
	v_lshl_add_u32 v12, v1, 5, v6
	v_dual_mov_b32 v7, 0 :: v_dual_add_nc_u32 v56, 0xc80, v0
	v_and_b32_e32 v2, 15, v6
	s_clause 0x1
	s_load_b128 s[12:15], s[2:3], 0x38
	s_load_b64 s[24:25], s[2:3], 0x48
	v_dual_lshrrev_b32 v19, 4, v12 :: v_dual_lshlrev_b32 v16, 2, v6
	v_dual_mov_b32 v3, v7 :: v_dual_lshlrev_b32 v20, 6, v6
	s_delay_alu instid0(VALU_DEP_2) | instskip(SKIP_3) | instid1(VALU_DEP_4)
	v_dual_lshlrev_b32 v0, 2, v2 :: v_dual_lshlrev_b32 v13, 2, v19
	v_dual_lshlrev_b32 v60, 7, v19 :: v_dual_bitop2_b32 v4, 16, v2 bitop3:0x54
	v_mov_b32_e32 v5, v7
	v_and_b32_e32 v18, 0xfff0, v12
	v_dual_lshlrev_b32 v28, 8, v19 :: v_dual_bitop2_b32 v62, v20, v0 bitop3:0x54
	s_clause 0x1
	s_load_b64 s[26:27], s[2:3], 0x58
	s_load_b128 s[16:19], s[2:3], 0x60
	s_wait_kmcnt 0x0
	s_bitcmp1_b32 s5, 0
	v_mad_nc_u64_u32 v[8:9], s22, v13, v[2:3]
	s_cselect_b32 s5, -1, 0
	s_bfe_u32 s28, ttmp6, 0x4000c
	s_bfe_u32 s30, ttmp6, 0x40010
	s_and_b32 s29, ttmp7, 0xffff
	s_add_co_i32 s28, s28, 1
	s_add_co_i32 s30, s30, 1
	s_and_b32 s20, ttmp6, 15
	s_bfe_u32 s31, ttmp6, 0x40004
	s_xor_b32 s33, s5, -1
	s_mul_i32 s5, ttmp9, s28
	s_mul_i32 s28, s29, s30
	s_add_co_i32 s20, s20, s5
	s_add_co_i32 s31, s31, s28
	s_cmp_eq_u32 s0, 0
	v_cmp_eq_u32_e64 s0, 0, v1
	v_add_nc_u32_e32 v1, 1, v6
	v_mad_u32 v9, s23, v13, v9
	v_mul_u64_e32 v[12:13], s[24:25], v[2:3]
	v_dual_add_nc_u32 v2, 2, v6 :: v_dual_add_nc_u32 v3, 3, v6
	s_delay_alu instid0(VALU_DEP_4) | instskip(SKIP_2) | instid1(VALU_DEP_4)
	v_and_b32_e32 v1, 15, v1
	v_mul_u64_e32 v[14:15], s[24:25], v[4:5]
	v_dual_add_nc_u32 v4, 4, v6 :: v_dual_add_nc_u32 v5, 6, v6
	v_and_b32_e32 v3, 15, v3
	s_delay_alu instid0(VALU_DEP_4) | instskip(SKIP_1) | instid1(VALU_DEP_4)
	v_lshl_or_b32 v63, v1, 2, v20
	v_dual_mov_b32 v19, v7 :: v_dual_bitop2_b32 v1, 15, v2 bitop3:0x40
	v_dual_add_nc_u32 v2, 5, v6 :: v_dual_bitop2_b32 v4, 15, v4 bitop3:0x40
	s_delay_alu instid0(VALU_DEP_4) | instskip(NEXT) | instid1(VALU_DEP_3)
	v_lshl_or_b32 v65, v3, 2, v20
	v_lshl_or_b32 v64, v1, 2, v20
	v_add_nc_u32_e32 v3, 7, v6
	s_delay_alu instid0(VALU_DEP_4)
	v_and_b32_e32 v1, 15, v2
	v_and_b32_e32 v2, 15, v5
	v_lshl_or_b32 v66, v4, 2, v20
	v_add_nc_u32_e32 v4, 10, v6
	s_cselect_b32 s28, ttmp9, s20
	v_lshl_or_b32 v67, v1, 2, v20
	v_add_nc_u32_e32 v1, 9, v6
	v_lshl_or_b32 v68, v2, 2, v20
	v_and_b32_e32 v2, 15, v3
	v_bitop3_b32 v3, v6, 8, 15 bitop3:0x6c
	v_and_b32_e32 v4, 15, v4
	s_cselect_b32 s54, s29, s31
	s_lshl_b32 s36, s28, 5
	v_lshl_or_b32 v69, v2, 2, v20
	v_add_nc_u32_e32 v2, 12, v6
	s_ashr_i32 s37, s36, 31
	v_dual_add_nc_u32 v5, 11, v6 :: v_dual_bitop2_b32 v1, 15, v1 bitop3:0x40
	v_lshl_or_b32 v70, v3, 2, v20
	s_delay_alu instid0(VALU_DEP_3)
	v_and_b32_e32 v21, 15, v2
	v_lshl_add_u64 v[2:3], s[36:37], 2, v[18:19]
	v_mul_u64_e32 v[10:11], s[24:25], v[6:7]
	v_add_nc_u32_e32 v57, 0xc00, v16
	v_add_nc_u32_e32 v61, 0x800, v16
	v_mul_u64_e32 v[16:17], s[18:19], v[6:7]
	s_lshl_b32 s55, s54, 5
	v_lshl_or_b32 v71, v1, 2, v20
	v_lshl_or_b32 v72, v4, 2, v20
	v_dual_add_nc_u32 v4, 13, v6 :: v_dual_bitop2_b32 v1, 15, v5 bitop3:0x40
	v_dual_add_nc_u32 v5, 14, v6 :: v_dual_add_nc_u32 v6, -1, v6
	v_mul_lo_u32 v26, s22, v3
	v_or_b32_e32 v3, 8, v2
	v_or_b32_e32 v22, 12, v2
	;; [unrolled: 1-line block ×3, first 2 shown]
	s_cmp_lg_u32 s28, 0
	v_add_nc_u32_e32 v59, 0xc00, v18
	s_cselect_b32 s56, -1, 0
	s_lshl_b64 s[10:11], s[10:11], 2
	v_and_b32_e32 v18, 15, v4
	v_dual_add_nc_u32 v78, v0, v28 :: v_dual_bitop2_b32 v19, 15, v5 bitop3:0x40
	v_mul_lo_u32 v27, s23, v2
	v_mad_nc_u64_u32 v[4:5], s22, v2, s[10:11]
	v_mul_lo_u32 v29, s23, v3
	v_mad_nc_u64_u32 v[2:3], s22, v3, s[10:11]
	;; [unrolled: 2-line block ×4, first 2 shown]
	v_and_b32_e32 v6, 15, v6
	v_lshl_or_b32 v73, v1, 2, v20
	v_mov_b32_e32 v1, v7
	v_lshl_or_b32 v74, v21, 2, v20
	v_add3_u32 v5, v27, v5, v26
	v_lshl_or_b32 v75, v18, 2, v20
	v_add3_u32 v3, v29, v3, v26
	v_lshl_or_b32 v76, v19, 2, v20
	v_add3_u32 v23, v30, v23, v26
	v_lshl_or_b32 v77, v6, 2, v20
	v_add3_u32 v25, v31, v25, v26
	v_add_nc_u64_e32 v[18:19], v[4:5], v[0:1]
	v_add_nc_u64_e32 v[20:21], v[2:3], v[0:1]
	;; [unrolled: 1-line block ×3, first 2 shown]
	v_or_b32_e32 v58, 0x800, v0
	v_add_nc_u64_e32 v[24:25], v[24:25], v[0:1]
	v_or_b32_e32 v6, 0x80, v0
	v_dual_mov_b32 v27, v7 :: v_dual_bitop2_b32 v26, 64, v0 bitop3:0x54
	s_mul_u64 s[42:43], s[22:23], s[36:37]
	s_mul_u64 s[40:41], s[24:25], s[36:37]
	;; [unrolled: 1-line block ×3, first 2 shown]
	s_add_nc_u64 s[2:3], s[2:3], 0x80
	s_lshl_b64 s[30:31], s[24:25], 7
	s_lshl_b64 s[34:35], s[18:19], 7
	s_mov_b32 s29, s21
	s_lshl_b64 s[36:37], s[22:23], 2
	s_lshl_b64 s[14:15], s[14:15], 2
	;; [unrolled: 1-line block ×7, first 2 shown]
	s_branch .LBB131_3
.LBB131_2:                              ;   in Loop: Header=BB131_3 Depth=1
	s_wait_xcnt 0x0
	s_or_b32 exec_lo, exec_lo, s5
	s_add_co_i32 s4, s4, 0x10000
	s_delay_alu instid0(SALU_CYCLE_1)
	s_cmp_lt_u32 s4, s1
	s_cbranch_scc0 .LBB131_29
.LBB131_3:                              ; =>This Loop Header: Depth=1
                                        ;     Child Loop BB131_17 Depth 2
	s_and_b32 vcc_lo, exec_lo, s33
	s_mov_b32 s5, -1
                                        ; implicit-def: $vgpr79
	s_cbranch_vccz .LBB131_5
; %bb.4:                                ;   in Loop: Header=BB131_3 Depth=1
	ds_load_b64 v[0:1], v56
	s_mov_b32 s5, s21
	s_wait_kmcnt 0x0
	s_mul_u64 s[46:47], s[6:7], s[4:5]
	s_mov_b32 s5, 0
	s_wait_dscnt 0x0
	v_lshl_add_u64 v[0:1], s[46:47], 2, v[0:1]
	flat_load_b32 v79, v[0:1]
.LBB131_5:                              ;   in Loop: Header=BB131_3 Depth=1
	s_and_not1_b32 vcc_lo, exec_lo, s5
	s_cbranch_vccnz .LBB131_7
; %bb.6:                                ;   in Loop: Header=BB131_3 Depth=1
	s_wait_loadcnt_dscnt 0x0
	ds_load_b32 v79, v56
.LBB131_7:                              ;   in Loop: Header=BB131_3 Depth=1
	s_mov_b32 s5, exec_lo
	s_wait_loadcnt_dscnt 0x0
	s_wait_xcnt 0x0
	v_cmpx_neq_f32_e32 0, v79
	s_cbranch_execz .LBB131_2
; %bb.8:                                ;   in Loop: Header=BB131_3 Depth=1
	s_and_not1_b32 vcc_lo, exec_lo, s56
	s_cbranch_vccnz .LBB131_2
; %bb.9:                                ;   in Loop: Header=BB131_3 Depth=1
	v_mov_b32_e32 v0, s4
	s_clause 0x1
	global_load_b64 v[2:3], v0, s[12:13] scale_offset
	global_load_b64 v[4:5], v0, s[8:9] scale_offset
	s_wait_loadcnt 0x1
	s_wait_xcnt 0x0
	v_add_nc_u64_e32 v[0:1], s[14:15], v[2:3]
	s_and_saveexec_b32 s20, s0
	s_cbranch_execz .LBB131_11
; %bb.10:                               ;   in Loop: Header=BB131_3 Depth=1
	s_delay_alu instid0(VALU_DEP_1) | instskip(NEXT) | instid1(VALU_DEP_1)
	v_add_nc_u64_e32 v[28:29], s[40:41], v[0:1]
	v_lshl_add_u64 v[28:29], v[10:11], 2, v[28:29]
	flat_load_b32 v28, v[28:29]
	s_wait_loadcnt_dscnt 0x0
	ds_store_b32 v57, v28
.LBB131_11:                             ;   in Loop: Header=BB131_3 Depth=1
	s_wait_xcnt 0x0
	s_or_b32 exec_lo, exec_lo, s20
	s_load_b32 s49, s[2:3], 0x4
	s_wait_kmcnt 0x0
	s_cvt_f32_u32 s20, s49
	s_sub_co_i32 s46, 0, s49
	s_delay_alu instid0(SALU_CYCLE_2) | instskip(SKIP_1) | instid1(TRANS32_DEP_1)
	v_rcp_iflag_f32_e32 v28, s20
	v_nop
	v_readfirstlane_b32 s20, v28
	s_mul_f32 s20, s20, 0x4f7ffffe
	s_delay_alu instid0(SALU_CYCLE_3) | instskip(NEXT) | instid1(SALU_CYCLE_3)
	s_cvt_u32_f32 s20, s20
	s_mul_i32 s46, s46, s20
	s_delay_alu instid0(SALU_CYCLE_1) | instskip(NEXT) | instid1(SALU_CYCLE_1)
	s_mul_hi_u32 s46, s20, s46
	s_add_co_i32 s20, s20, s46
	s_load_b64 s[46:47], s[26:27], s4 offset:0x0 scale_offset
	s_mul_u64 s[50:51], s[28:29], s[20:21]
	s_delay_alu instid0(SALU_CYCLE_1) | instskip(SKIP_2) | instid1(SALU_CYCLE_1)
	s_mul_i32 s20, s51, s49
	s_add_co_i32 s48, s51, 1
	s_sub_co_i32 s20, s28, s20
	s_sub_co_i32 s50, s20, s49
	s_cmp_ge_u32 s20, s49
	s_cselect_b32 s48, s48, s51
	s_cselect_b32 s20, s50, s20
	s_add_co_i32 s50, s48, 1
	s_cmp_ge_u32 s20, s49
	s_cselect_b32 s48, s50, s48
	s_add_co_i32 s20, s49, -1
	s_delay_alu instid0(SALU_CYCLE_1)
	s_cmp_lg_u32 s54, s20
	s_mov_b32 s20, s48
	s_cbranch_scc1 .LBB131_13
; %bb.12:                               ;   in Loop: Header=BB131_3 Depth=1
	s_mul_i32 s20, s48, s49
	s_delay_alu instid0(SALU_CYCLE_1) | instskip(NEXT) | instid1(SALU_CYCLE_1)
	s_sub_co_i32 s20, s28, s20
	s_add_co_i32 s20, s20, s48
.LBB131_13:                             ;   in Loop: Header=BB131_3 Depth=1
	s_delay_alu instid0(SALU_CYCLE_1)
	s_cmp_eq_u32 s20, 0
	s_cbranch_scc1 .LBB131_2
; %bb.14:                               ;   in Loop: Header=BB131_3 Depth=1
	s_wait_kmcnt 0x0
	s_add_nc_u64 s[46:47], s[46:47], s[16:17]
	s_cmp_lt_i32 s20, 1
	s_wait_loadcnt_dscnt 0x0
	s_barrier_signal -1
	s_barrier_wait -1
	s_cbranch_scc1 .LBB131_21
; %bb.15:                               ;   in Loop: Header=BB131_3 Depth=1
	v_add_nc_u64_e32 v[28:29], s[10:11], v[4:5]
	s_mul_i32 s50, s55, s48
	s_delay_alu instid0(SALU_CYCLE_1) | instskip(NEXT) | instid1(SALU_CYCLE_1)
	s_ashr_i32 s51, s50, 31
	s_lshl_b64 s[48:49], s[50:51], 2
	s_mul_u64 s[52:53], s[24:25], s[50:51]
	s_delay_alu instid0(VALU_DEP_1) | instskip(SKIP_1) | instid1(SALU_CYCLE_1)
	v_add_nc_u64_e32 v[38:39], s[42:43], v[28:29]
	s_lshl_b64 s[52:53], s[52:53], 2
	v_add_nc_u64_e32 v[42:43], s[52:53], v[0:1]
	s_mul_u64 s[52:53], s[18:19], s[50:51]
	s_delay_alu instid0(SALU_CYCLE_1) | instskip(NEXT) | instid1(VALU_DEP_2)
	s_lshl_b64 s[52:53], s[52:53], 2
	v_add_nc_u64_e32 v[40:41], s[48:49], v[38:39]
	s_add_nc_u64 s[52:53], s[46:47], s[52:53]
	s_cmp_eq_u32 s20, 1
	s_delay_alu instid0(VALU_DEP_2) | instskip(NEXT) | instid1(VALU_DEP_2)
	v_lshl_add_u64 v[44:45], v[12:13], 2, v[42:43]
	v_lshl_add_u64 v[28:29], v[8:9], 2, v[40:41]
	s_delay_alu instid0(VALU_DEP_1) | instskip(NEXT) | instid1(VALU_DEP_1)
	v_lshl_add_u64 v[30:31], s[22:23], 2, v[28:29]
	v_add_nc_u64_e32 v[32:33], s[36:37], v[30:31]
	s_delay_alu instid0(VALU_DEP_1)
	v_add_nc_u64_e32 v[34:35], s[36:37], v[32:33]
	s_clause 0x3
	flat_load_b32 v0, v[28:29]
	flat_load_b32 v1, v[30:31]
	;; [unrolled: 1-line block ×5, first 2 shown]
	s_cbranch_scc1 .LBB131_22
; %bb.16:                               ;   in Loop: Header=BB131_3 Depth=1
	s_wait_xcnt 0x3
	v_add_nc_u64_e32 v[30:31], s[48:49], v[6:7]
	s_wait_xcnt 0x2
	v_add_nc_u64_e32 v[32:33], s[48:49], v[26:27]
	s_mul_u64 s[50:51], s[38:39], s[50:51]
	s_wait_xcnt 0x0
	v_add_nc_u64_e32 v[44:45], v[4:5], v[18:19]
	v_add_nc_u64_e32 v[46:47], v[4:5], v[20:21]
	;; [unrolled: 1-line block ×4, first 2 shown]
	v_mad_nc_u64_u32 v[40:41], s24, v30, v[2:3]
	v_mad_nc_u64_u32 v[42:43], s24, v32, v[2:3]
	v_add_nc_u64_e32 v[50:51], s[50:51], v[2:3]
	v_mov_b64_e32 v[34:35], s[52:53]
	s_add_co_i32 s20, s20, -1
	s_delay_alu instid0(VALU_DEP_4) | instskip(NEXT) | instid1(VALU_DEP_4)
	v_mad_u32 v29, s25, v30, v41
	v_mad_u32 v32, s25, v32, v43
	v_mov_b32_e32 v30, 0
	s_delay_alu instid0(VALU_DEP_3) | instskip(NEXT) | instid1(VALU_DEP_3)
	v_mad_u32 v41, s24, v31, v29
	v_mad_u32 v43, s24, v33, v32
	s_delay_alu instid0(VALU_DEP_3)
	v_dual_mov_b32 v31, v30 :: v_dual_mov_b32 v32, v30
	v_mov_b32_e32 v33, v30
.LBB131_17:                             ;   Parent Loop BB131_3 Depth=1
                                        ; =>  This Inner Loop Header: Depth=2
	v_add_nc_u64_e32 v[84:85], s[48:49], v[44:45]
	v_add_nc_u64_e32 v[86:87], s[48:49], v[52:53]
	;; [unrolled: 1-line block ×6, first 2 shown]
	flat_load_b32 v54, v[84:85] offset:64
	flat_load_b32 v55, v[86:87] offset:64
	;; [unrolled: 1-line block ×4, first 2 shown]
	flat_load_b32 v4, v[92:93]
	flat_load_b32 v2, v[84:85] offset:128
	flat_load_b32 v3, v[86:87] offset:128
	;; [unrolled: 1-line block ×4, first 2 shown]
	flat_load_b32 v82, v[94:95]
	s_wait_xcnt 0x3
	ds_load_b128 v[84:87], v59
	s_wait_loadcnt_dscnt 0x0
	s_barrier_signal -1
	s_barrier_wait -1
	v_fma_f32 v29, v0, v84, 0
	v_fma_f32 v84, v54, v84, 0
	s_delay_alu instid0(VALU_DEP_1) | instskip(NEXT) | instid1(VALU_DEP_1)
	v_dual_fmac_f32 v29, v1, v85 :: v_dual_fmac_f32 v84, v55, v85
	v_dual_fmac_f32 v29, v80, v86 :: v_dual_fmac_f32 v84, v83, v86
	s_delay_alu instid0(VALU_DEP_1) | instskip(NEXT) | instid1(VALU_DEP_2)
	v_dual_add_nc_u32 v85, v58, v60 :: v_dual_fmac_f32 v29, v36, v87
	v_fmac_f32_e32 v84, v37, v87
	ds_store_2addr_b32 v85, v29, v84 offset1:16
	s_wait_dscnt 0x0
	s_barrier_signal -1
	s_barrier_wait -1
	s_wait_xcnt 0x0
	s_and_saveexec_b32 s50, s0
	s_cbranch_execz .LBB131_19
; %bb.18:                               ;   in Loop: Header=BB131_17 Depth=2
	ds_load_2addr_b32 v[84:85], v61 offset1:32
	ds_load_2addr_b32 v[86:87], v61 offset0:64 offset1:96
	ds_load_2addr_b32 v[88:89], v61 offset0:128 offset1:160
	s_wait_dscnt 0x2
	v_add_f32_e32 v29, 0, v84
	s_delay_alu instid0(VALU_DEP_1) | instskip(SKIP_3) | instid1(VALU_DEP_1)
	v_add_f32_e32 v29, v29, v85
	ds_load_2addr_b32 v[84:85], v61 offset0:192 offset1:224
	s_wait_dscnt 0x2
	v_add_f32_e32 v29, v29, v86
	v_add_f32_e32 v29, v29, v87
	s_wait_dscnt 0x1
	s_delay_alu instid0(VALU_DEP_1) | instskip(NEXT) | instid1(VALU_DEP_1)
	v_add_f32_e32 v29, v29, v88
	v_add_f32_e32 v29, v29, v89
	s_wait_dscnt 0x0
	s_delay_alu instid0(VALU_DEP_1) | instskip(NEXT) | instid1(VALU_DEP_1)
	v_add_f32_e32 v29, v29, v84
	v_add_f32_e32 v29, v29, v85
	v_lshl_add_u64 v[84:85], v[16:17], 2, v[34:35]
	v_add_nc_u64_e32 v[34:35], s[34:35], v[34:35]
	s_delay_alu instid0(VALU_DEP_3)
	v_mul_f32_e32 v29, v79, v29
	flat_atomic_add_f32 v[84:85], v29 scope:SCOPE_DEV
.LBB131_19:                             ;   in Loop: Header=BB131_17 Depth=2
	s_wait_xcnt 0x0
	s_or_b32 exec_lo, exec_lo, s50
	v_dual_mov_b32 v29, v4 :: v_dual_mul_f32 v86, v4, v83
	v_add_nc_u64_e32 v[38:39], 0x80, v[38:39]
	v_add_nc_u64_e32 v[44:45], 0x80, v[44:45]
	;; [unrolled: 1-line block ×3, first 2 shown]
	s_delay_alu instid0(VALU_DEP_4)
	v_pk_mul_f32 v[36:37], v[28:29], v[36:37]
	v_mul_f32_e32 v84, v28, v80
	v_pk_fma_f32 v[0:1], v[28:29], v[0:1], v[30:31] op_sel_hi:[0,1,1]
	v_add_nc_u64_e32 v[48:49], 0x80, v[48:49]
	v_add_nc_u64_e32 v[52:53], 0x80, v[52:53]
	v_dual_mov_b32 v85, v36 :: v_dual_mov_b32 v87, v37
	v_add_nc_u64_e32 v[50:51], s[30:31], v[50:51]
	v_add_nc_u64_e32 v[40:41], s[30:31], v[40:41]
	;; [unrolled: 1-line block ×3, first 2 shown]
	s_delay_alu instid0(VALU_DEP_4) | instskip(SKIP_2) | instid1(SALU_CYCLE_1)
	v_pk_add_f32 v[28:29], v[32:33], v[84:85]
	v_pk_fma_f32 v[30:31], v[4:5], v[54:55], v[0:1] op_sel_hi:[0,1,1]
	s_add_co_i32 s20, s20, -1
	s_cmp_eq_u32 s20, 0
	s_delay_alu instid0(VALU_DEP_2)
	v_pk_add_f32 v[32:33], v[28:29], v[86:87]
	s_cbranch_scc1 .LBB131_23
; %bb.20:                               ;   in Loop: Header=BB131_17 Depth=2
	v_dual_mov_b32 v28, v82 :: v_dual_mov_b32 v0, v2
	v_dual_mov_b32 v1, v3 :: v_dual_mov_b32 v80, v81
	v_mov_b32_e32 v36, v5
	s_branch .LBB131_17
.LBB131_21:                             ;   in Loop: Header=BB131_3 Depth=1
	v_mov_b32_e32 v1, 0
	s_delay_alu instid0(VALU_DEP_1)
	v_dual_mov_b32 v0, v1 :: v_dual_mov_b32 v3, v1
	v_mov_b32_e32 v2, v1
	s_branch .LBB131_27
.LBB131_22:                             ;   in Loop: Header=BB131_3 Depth=1
	s_wait_loadcnt_dscnt 0x101
	s_wait_xcnt 0x2
	v_dual_mov_b32 v33, 0 :: v_dual_mov_b32 v3, v36
	s_wait_xcnt 0x1
	v_mov_b64_e32 v[34:35], s[52:53]
	s_delay_alu instid0(VALU_DEP_2) | instskip(NEXT) | instid1(VALU_DEP_3)
	v_dual_mov_b32 v32, v33 :: v_dual_mov_b32 v31, v33
	v_mov_b64_e32 v[4:5], v[2:3]
	v_mov_b64_e32 v[2:3], v[0:1]
	v_mov_b32_e32 v30, v33
	s_branch .LBB131_24
.LBB131_23:                             ;   in Loop: Header=BB131_3 Depth=1
	v_add_nc_u64_e32 v[42:43], s[14:15], v[50:51]
	v_add_nc_u64_e32 v[40:41], s[48:49], v[38:39]
	v_dual_mov_b32 v36, v5 :: v_dual_mov_b32 v80, v81
	v_dual_mov_b32 v1, v3 :: v_dual_mov_b32 v0, v2
	v_mov_b32_e32 v28, v82
.LBB131_24:                             ;   in Loop: Header=BB131_3 Depth=1
	s_delay_alu instid0(VALU_DEP_4) | instskip(SKIP_1) | instid1(VALU_DEP_2)
	v_lshl_add_u64 v[38:39], v[8:9], 2, v[40:41]
	v_lshl_add_u64 v[42:43], v[14:15], 2, v[42:43]
	;; [unrolled: 1-line block ×3, first 2 shown]
	flat_load_b32 v38, v[38:39] offset:64
	s_wait_xcnt 0x1
	v_add_nc_u64_e32 v[44:45], s[36:37], v[40:41]
	flat_load_b32 v39, v[40:41] offset:64
	v_add_nc_u64_e32 v[46:47], s[36:37], v[44:45]
	s_clause 0x1
	flat_load_b32 v40, v[44:45] offset:64
	flat_load_b32 v37, v[46:47] offset:64
	flat_load_b32 v4, v[42:43]
	s_wait_xcnt 0x0
	ds_load_b128 v[42:45], v59
	s_wait_storecnt 0x0
	s_wait_loadcnt_dscnt 0x0
	s_barrier_signal -1
	s_barrier_wait -1
	v_fma_f32 v0, v0, v42, 0
	v_fma_f32 v29, v38, v42, 0
	s_delay_alu instid0(VALU_DEP_1) | instskip(NEXT) | instid1(VALU_DEP_1)
	v_dual_fmac_f32 v0, v1, v43 :: v_dual_fmac_f32 v29, v39, v43
	v_fmac_f32_e32 v29, v40, v44
	s_delay_alu instid0(VALU_DEP_1) | instskip(NEXT) | instid1(VALU_DEP_1)
	v_dual_fmac_f32 v0, v80, v44 :: v_dual_fmac_f32 v29, v37, v45
	v_dual_fmac_f32 v0, v36, v45 :: v_dual_add_nc_u32 v1, v58, v60
	ds_store_2addr_b32 v1, v0, v29 offset1:16
	s_wait_dscnt 0x0
	s_barrier_signal -1
	s_barrier_wait -1
	s_and_saveexec_b32 s20, s0
	s_cbranch_execz .LBB131_26
; %bb.25:                               ;   in Loop: Header=BB131_3 Depth=1
	ds_load_2addr_b32 v[0:1], v61 offset1:32
	ds_load_2addr_b32 v[42:43], v61 offset0:64 offset1:96
	ds_load_2addr_b32 v[44:45], v61 offset0:128 offset1:160
	s_wait_dscnt 0x2
	v_add_f32_e32 v0, 0, v0
	s_delay_alu instid0(VALU_DEP_1) | instskip(SKIP_1) | instid1(VALU_DEP_1)
	v_add_f32_e32 v0, v0, v1
	s_wait_dscnt 0x1
	v_add_f32_e32 v29, v0, v42
	ds_load_2addr_b32 v[0:1], v61 offset0:192 offset1:224
	v_add_f32_e32 v29, v29, v43
	s_wait_dscnt 0x1
	s_delay_alu instid0(VALU_DEP_1) | instskip(NEXT) | instid1(VALU_DEP_1)
	v_add_f32_e32 v29, v29, v44
	v_add_f32_e32 v29, v29, v45
	s_wait_dscnt 0x0
	s_delay_alu instid0(VALU_DEP_1) | instskip(NEXT) | instid1(VALU_DEP_1)
	v_add_f32_e32 v0, v29, v0
	v_add_f32_e32 v29, v0, v1
	v_lshl_add_u64 v[0:1], v[16:17], 2, v[34:35]
	s_delay_alu instid0(VALU_DEP_2)
	v_mul_f32_e32 v29, v79, v29
	flat_atomic_add_f32 v[0:1], v29 scope:SCOPE_DEV
.LBB131_26:                             ;   in Loop: Header=BB131_3 Depth=1
	s_wait_xcnt 0x0
	s_or_b32 exec_lo, exec_lo, s20
	v_dual_mov_b32 v29, v4 :: v_dual_mov_b32 v36, v5
	v_mul_f32_e32 v34, v28, v80
	s_delay_alu instid0(VALU_DEP_2) | instskip(NEXT) | instid1(VALU_DEP_3)
	v_pk_fma_f32 v[2:3], v[28:29], v[2:3], v[30:31] op_sel_hi:[0,1,1]
	v_pk_mul_f32 v[0:1], v[28:29], v[36:37]
	s_delay_alu instid0(VALU_DEP_2) | instskip(NEXT) | instid1(VALU_DEP_2)
	v_pk_fma_f32 v[2:3], v[4:5], v[38:39], v[2:3] op_sel_hi:[0,1,1]
	v_mov_b32_e32 v35, v0
	v_mul_f32_e32 v0, v4, v40
	s_delay_alu instid0(VALU_DEP_2) | instskip(NEXT) | instid1(VALU_DEP_1)
	v_pk_add_f32 v[32:33], v[32:33], v[34:35]
	v_pk_add_f32 v[0:1], v[32:33], v[0:1]
.LBB131_27:                             ;   in Loop: Header=BB131_3 Depth=1
	ds_store_2addr_b32 v78, v2, v3 offset1:16
	ds_store_2addr_b32 v78, v0, v1 offset0:32 offset1:48
	s_wait_storecnt_dscnt 0x0
	s_barrier_signal -1
	s_barrier_wait -1
	s_and_b32 exec_lo, exec_lo, s0
	s_cbranch_execz .LBB131_2
; %bb.28:                               ;   in Loop: Header=BB131_3 Depth=1
	ds_load_b32 v0, v62
	ds_load_b32 v1, v63
	;; [unrolled: 1-line block ×8, first 2 shown]
	s_add_nc_u64 s[46:47], s[46:47], s[44:45]
	s_wait_dscnt 0x7
	v_add_f32_e32 v0, 0, v0
	s_wait_dscnt 0x6
	s_delay_alu instid0(VALU_DEP_1)
	v_add_f32_e32 v0, v0, v1
	ds_load_b32 v1, v70
	s_wait_dscnt 0x6
	v_add_f32_e32 v0, v0, v2
	ds_load_b32 v2, v71
	s_wait_dscnt 0x6
	;; [unrolled: 3-line block ×3, first 2 shown]
	v_add_f32_e32 v0, v0, v4
	s_wait_dscnt 0x5
	s_delay_alu instid0(VALU_DEP_1) | instskip(SKIP_1) | instid1(VALU_DEP_1)
	v_add_f32_e32 v0, v0, v5
	s_wait_dscnt 0x4
	v_add_f32_e32 v0, v0, v28
	s_wait_dscnt 0x3
	s_delay_alu instid0(VALU_DEP_1)
	v_add_f32_e32 v0, v0, v29
	ds_load_b32 v4, v73
	ds_load_b32 v5, v74
	;; [unrolled: 1-line block ×5, first 2 shown]
	s_wait_dscnt 0x7
	v_add_f32_e32 v0, v0, v1
	s_wait_dscnt 0x6
	s_delay_alu instid0(VALU_DEP_1) | instskip(SKIP_1) | instid1(VALU_DEP_1)
	v_add_f32_e32 v0, v0, v2
	s_wait_dscnt 0x5
	v_add_f32_e32 v0, v0, v3
	s_wait_dscnt 0x4
	s_delay_alu instid0(VALU_DEP_1) | instskip(SKIP_1) | instid1(VALU_DEP_1)
	v_add_f32_e32 v0, v0, v4
	;; [unrolled: 5-line block ×3, first 2 shown]
	s_wait_dscnt 0x1
	v_add_f32_e32 v0, v0, v29
	s_wait_dscnt 0x0
	s_delay_alu instid0(VALU_DEP_1) | instskip(SKIP_1) | instid1(VALU_DEP_2)
	v_add_f32_e32 v2, v0, v30
	v_lshl_add_u64 v[0:1], v[16:17], 2, s[46:47]
	v_mul_f32_e32 v2, v79, v2
	flat_atomic_add_f32 v[0:1], v2 scope:SCOPE_DEV
	s_branch .LBB131_2
.LBB131_29:
	s_sendmsg sendmsg(MSG_DEALLOC_VGPRS)
	s_endpgm
	.section	.rodata,"a",@progbits
	.p2align	6, 0x0
	.amdhsa_kernel _ZL54rocblas_symv_kernel_upper_double_buffered_non_diagonalILi32ELi4ELi4E24rocblas_internal_val_ptrIfEPKPKfPKPfEvbiT2_lT3_lllSA_lllT4_llli
		.amdhsa_group_segment_fixed_size 4224
		.amdhsa_private_segment_fixed_size 0
		.amdhsa_kernarg_size 384
		.amdhsa_user_sgpr_count 4
		.amdhsa_user_sgpr_dispatch_ptr 1
		.amdhsa_user_sgpr_queue_ptr 0
		.amdhsa_user_sgpr_kernarg_segment_ptr 1
		.amdhsa_user_sgpr_dispatch_id 0
		.amdhsa_user_sgpr_kernarg_preload_length 0
		.amdhsa_user_sgpr_kernarg_preload_offset 0
		.amdhsa_user_sgpr_private_segment_size 0
		.amdhsa_wavefront_size32 1
		.amdhsa_uses_dynamic_stack 0
		.amdhsa_enable_private_segment 0
		.amdhsa_system_sgpr_workgroup_id_x 1
		.amdhsa_system_sgpr_workgroup_id_y 1
		.amdhsa_system_sgpr_workgroup_id_z 1
		.amdhsa_system_sgpr_workgroup_info 0
		.amdhsa_system_vgpr_workitem_id 2
		.amdhsa_next_free_vgpr 96
		.amdhsa_next_free_sgpr 57
		.amdhsa_named_barrier_count 0
		.amdhsa_reserve_vcc 1
		.amdhsa_float_round_mode_32 0
		.amdhsa_float_round_mode_16_64 0
		.amdhsa_float_denorm_mode_32 3
		.amdhsa_float_denorm_mode_16_64 3
		.amdhsa_fp16_overflow 0
		.amdhsa_memory_ordered 1
		.amdhsa_forward_progress 1
		.amdhsa_inst_pref_size 26
		.amdhsa_round_robin_scheduling 0
		.amdhsa_exception_fp_ieee_invalid_op 0
		.amdhsa_exception_fp_denorm_src 0
		.amdhsa_exception_fp_ieee_div_zero 0
		.amdhsa_exception_fp_ieee_overflow 0
		.amdhsa_exception_fp_ieee_underflow 0
		.amdhsa_exception_fp_ieee_inexact 0
		.amdhsa_exception_int_div_zero 0
	.end_amdhsa_kernel
	.section	.text._ZL54rocblas_symv_kernel_upper_double_buffered_non_diagonalILi32ELi4ELi4E24rocblas_internal_val_ptrIfEPKPKfPKPfEvbiT2_lT3_lllSA_lllT4_llli,"axG",@progbits,_ZL54rocblas_symv_kernel_upper_double_buffered_non_diagonalILi32ELi4ELi4E24rocblas_internal_val_ptrIfEPKPKfPKPfEvbiT2_lT3_lllSA_lllT4_llli,comdat
.Lfunc_end131:
	.size	_ZL54rocblas_symv_kernel_upper_double_buffered_non_diagonalILi32ELi4ELi4E24rocblas_internal_val_ptrIfEPKPKfPKPfEvbiT2_lT3_lllSA_lllT4_llli, .Lfunc_end131-_ZL54rocblas_symv_kernel_upper_double_buffered_non_diagonalILi32ELi4ELi4E24rocblas_internal_val_ptrIfEPKPKfPKPfEvbiT2_lT3_lllSA_lllT4_llli
                                        ; -- End function
	.set _ZL54rocblas_symv_kernel_upper_double_buffered_non_diagonalILi32ELi4ELi4E24rocblas_internal_val_ptrIfEPKPKfPKPfEvbiT2_lT3_lllSA_lllT4_llli.num_vgpr, 96
	.set _ZL54rocblas_symv_kernel_upper_double_buffered_non_diagonalILi32ELi4ELi4E24rocblas_internal_val_ptrIfEPKPKfPKPfEvbiT2_lT3_lllSA_lllT4_llli.num_agpr, 0
	.set _ZL54rocblas_symv_kernel_upper_double_buffered_non_diagonalILi32ELi4ELi4E24rocblas_internal_val_ptrIfEPKPKfPKPfEvbiT2_lT3_lllSA_lllT4_llli.numbered_sgpr, 57
	.set _ZL54rocblas_symv_kernel_upper_double_buffered_non_diagonalILi32ELi4ELi4E24rocblas_internal_val_ptrIfEPKPKfPKPfEvbiT2_lT3_lllSA_lllT4_llli.num_named_barrier, 0
	.set _ZL54rocblas_symv_kernel_upper_double_buffered_non_diagonalILi32ELi4ELi4E24rocblas_internal_val_ptrIfEPKPKfPKPfEvbiT2_lT3_lllSA_lllT4_llli.private_seg_size, 0
	.set _ZL54rocblas_symv_kernel_upper_double_buffered_non_diagonalILi32ELi4ELi4E24rocblas_internal_val_ptrIfEPKPKfPKPfEvbiT2_lT3_lllSA_lllT4_llli.uses_vcc, 1
	.set _ZL54rocblas_symv_kernel_upper_double_buffered_non_diagonalILi32ELi4ELi4E24rocblas_internal_val_ptrIfEPKPKfPKPfEvbiT2_lT3_lllSA_lllT4_llli.uses_flat_scratch, 1
	.set _ZL54rocblas_symv_kernel_upper_double_buffered_non_diagonalILi32ELi4ELi4E24rocblas_internal_val_ptrIfEPKPKfPKPfEvbiT2_lT3_lllSA_lllT4_llli.has_dyn_sized_stack, 0
	.set _ZL54rocblas_symv_kernel_upper_double_buffered_non_diagonalILi32ELi4ELi4E24rocblas_internal_val_ptrIfEPKPKfPKPfEvbiT2_lT3_lllSA_lllT4_llli.has_recursion, 0
	.set _ZL54rocblas_symv_kernel_upper_double_buffered_non_diagonalILi32ELi4ELi4E24rocblas_internal_val_ptrIfEPKPKfPKPfEvbiT2_lT3_lllSA_lllT4_llli.has_indirect_call, 0
	.section	.AMDGPU.csdata,"",@progbits
; Kernel info:
; codeLenInByte = 3208
; TotalNumSgprs: 59
; NumVgprs: 96
; ScratchSize: 0
; MemoryBound: 0
; FloatMode: 240
; IeeeMode: 1
; LDSByteSize: 4224 bytes/workgroup (compile time only)
; SGPRBlocks: 0
; VGPRBlocks: 5
; NumSGPRsForWavesPerEU: 59
; NumVGPRsForWavesPerEU: 96
; NamedBarCnt: 0
; Occupancy: 10
; WaveLimiterHint : 1
; COMPUTE_PGM_RSRC2:SCRATCH_EN: 0
; COMPUTE_PGM_RSRC2:USER_SGPR: 4
; COMPUTE_PGM_RSRC2:TRAP_HANDLER: 0
; COMPUTE_PGM_RSRC2:TGID_X_EN: 1
; COMPUTE_PGM_RSRC2:TGID_Y_EN: 1
; COMPUTE_PGM_RSRC2:TGID_Z_EN: 1
; COMPUTE_PGM_RSRC2:TIDIG_COMP_CNT: 2
	.section	.text._ZL58rocblas_symv_kernel_upper_double_buffered_diagonal_genericILi32ELi8E24rocblas_internal_val_ptrIfEPKPKfPKPfEvbiT1_lT2_lllSA_lllS9_lT3_lllii,"axG",@progbits,_ZL58rocblas_symv_kernel_upper_double_buffered_diagonal_genericILi32ELi8E24rocblas_internal_val_ptrIfEPKPKfPKPfEvbiT1_lT2_lllSA_lllS9_lT3_lllii,comdat
	.globl	_ZL58rocblas_symv_kernel_upper_double_buffered_diagonal_genericILi32ELi8E24rocblas_internal_val_ptrIfEPKPKfPKPfEvbiT1_lT2_lllSA_lllS9_lT3_lllii ; -- Begin function _ZL58rocblas_symv_kernel_upper_double_buffered_diagonal_genericILi32ELi8E24rocblas_internal_val_ptrIfEPKPKfPKPfEvbiT1_lT2_lllSA_lllS9_lT3_lllii
	.p2align	8
	.type	_ZL58rocblas_symv_kernel_upper_double_buffered_diagonal_genericILi32ELi8E24rocblas_internal_val_ptrIfEPKPKfPKPfEvbiT1_lT2_lllSA_lllS9_lT3_lllii,@function
_ZL58rocblas_symv_kernel_upper_double_buffered_diagonal_genericILi32ELi8E24rocblas_internal_val_ptrIfEPKPKfPKPfEvbiT1_lT2_lllSA_lllS9_lT3_lllii: ; @_ZL58rocblas_symv_kernel_upper_double_buffered_diagonal_genericILi32ELi8E24rocblas_internal_val_ptrIfEPKPKfPKPfEvbiT1_lT2_lllSA_lllS9_lT3_lllii
; %bb.0:
	s_load_b64 s[4:5], s[0:1], 0x4
	s_clause 0x1
	s_load_b256 s[8:15], s[2:3], 0x8
	s_load_b128 s[16:19], s[2:3], 0x58
	v_bfe_u32 v10, v0, 10, 10
	v_and_b32_e32 v2, 0x3ff, v0
	s_load_b64 s[28:29], s[2:3], 0x88
	v_bfe_u32 v0, v0, 20, 10
	s_wait_xcnt 0x0
	s_lshr_b32 s1, ttmp7, 16
	s_wait_kmcnt 0x0
	v_mul_u32_u24_e32 v1, s5, v10
	s_lshr_b32 s0, s4, 16
	s_getreg_b32 s4, hwreg(HW_REG_IB_STS2, 6, 4)
	s_mul_i32 s0, s0, s5
	s_bfe_u32 s5, ttmp6, 0x40008
	v_mad_u32 v1, s0, v2, v1
	s_bfe_u32 s0, ttmp6, 0x40014
	v_dual_mov_b32 v4, s8 :: v_dual_mov_b32 v5, s9
	s_add_co_i32 s0, s0, 1
	v_dual_mov_b32 v6, s16 :: v_dual_mov_b32 v7, s17
	s_mul_i32 s0, s1, s0
	s_mov_b32 s17, 0
	s_add_co_i32 s5, s5, s0
	s_cmp_eq_u32 s4, 0
	s_delay_alu instid0(VALU_DEP_3) | instskip(SKIP_1) | instid1(SALU_CYCLE_1)
	v_add_lshl_u32 v0, v1, v0, 3
	s_cselect_b32 s8, s1, s5
	s_cmp_ge_u32 s8, s29
	s_delay_alu instid0(VALU_DEP_1)
	v_add_nc_u32_e32 v1, 0x80, v0
	ds_store_2addr_stride64_b64 v1, v[6:7], v[4:5] offset0:12 offset1:16
	s_cbranch_scc1 .LBB132_62
; %bb.1:
	s_clause 0x5
	s_load_b32 s5, s[2:3], 0x0
	s_load_b64 s[30:31], s[2:3], 0x28
	s_load_b128 s[20:23], s[2:3], 0x38
	s_load_b64 s[6:7], s[2:3], 0x48
	s_load_b64 s[34:35], s[2:3], 0x68
	s_load_b128 s[24:27], s[2:3], 0x70
	v_dual_mov_b32 v3, 0 :: v_dual_add_nc_u32 v18, 0x2080, v0
	v_lshlrev_b32_e32 v12, 2, v2
	v_add_nc_u32_e32 v19, 0x1880, v0
	s_add_nc_u64 s[36:37], s[2:3], 0x90
	v_sub_co_u32 v8, s9, v2, v10
	v_mov_b32_e32 v11, v3
	v_cmp_gt_i32_e64 s33, s28, v2
	s_wait_xcnt 0x0
	v_cmp_ne_u32_e64 s2, 0, v10
	v_mul_u32_u24_e32 v14, 0x7c, v2
	v_lshl_add_u32 v9, v10, 5, v2
	v_add_nc_u32_e32 v20, 0x1800, v12
	v_cmp_le_i32_e64 s1, s28, v2
	v_cmp_eq_u32_e64 s0, 0, v10
	v_or_b32_e32 v25, 0x1000, v12
	v_lshl_add_u32 v24, v9, 2, 0x1000
	s_wait_kmcnt 0x0
	v_mul_u64_e32 v[6:7], s[6:7], v[2:3]
	v_mul_u64_e32 v[4:5], s[30:31], v[10:11]
	;; [unrolled: 1-line block ×3, first 2 shown]
	s_bitcmp1_b32 s5, 0
	v_dual_sub_nc_u32 v11, 0, v8 :: v_dual_lshlrev_b32 v13, 7, v10
	s_cselect_b32 s3, -1, 0
	s_bfe_u32 s5, ttmp6, 0x4000c
	s_and_b32 s16, ttmp6, 15
	s_add_co_i32 s5, s5, 1
	s_xor_b32 s46, s3, -1
	s_mul_i32 s5, ttmp9, s5
	v_dual_lshlrev_b32 v8, 2, v10 :: v_dual_max_i32 v11, v8, v11
	s_add_co_i32 s16, s16, s5
	s_cmp_eq_u32 s4, 0
	v_dual_add_nc_u32 v21, v13, v12 :: v_dual_mov_b32 v9, v3
	s_cselect_b32 s47, ttmp9, s16
	s_lshl_b64 s[42:43], s[30:31], 5
	s_lshl_b32 s40, s47, 5
	s_nor_b32 s48, s2, s33
	s_ashr_i32 s41, s40, 31
	s_lshr_b32 s49, s28, 3
	s_cmp_gt_u32 s28, 7
	v_add3_u32 v22, v12, v14, v8
	v_add_nc_u32_e32 v14, 0x400, v13
	v_add_nc_u32_e32 v15, 0x800, v13
	v_dual_mov_b32 v13, v3 :: v_dual_add_nc_u32 v16, 0xc00, v13
	s_add_nc_u64 s[4:5], s[30:31], 1
	s_cselect_b32 s50, -1, 0
	s_and_b32 s3, s28, 7
	s_xor_b32 s51, s9, -1
	s_cmp_gt_u32 s28, 15
	s_mul_u64 s[38:39], s[4:5], s[40:41]
	s_cselect_b32 s28, -1, 0
	s_and_b32 s52, s49, 0x1ffffffe
	s_mul_u64 s[26:27], s[26:27], s[40:41]
	s_mul_u64 s[40:41], s[6:7], s[40:41]
	v_cmp_gt_u32_e64 s3, s3, v10
	v_cmp_lt_u32_e64 s4, 16, v11
	v_cmp_lt_u32_e64 s5, 24, v11
	;; [unrolled: 1-line block ×3, first 2 shown]
	v_add_nc_u32_e32 v23, 0x1800, v8
	v_lshl_add_u64 v[10:11], s[38:39], 2, v[12:13]
	v_dual_lshlrev_b32 v2, 2, v2 :: v_dual_add_nc_u32 v27, v12, v15
	v_dual_add_nc_u32 v26, v12, v14 :: v_dual_add_nc_u32 v28, v12, v16
	s_cmp_lg_u32 s49, s52
	s_mov_b32 s44, s30
	s_mov_b32 s45, s31
	s_cselect_b32 s53, -1, 0
	s_lshl_b64 s[14:15], s[14:15], 2
	s_branch .LBB132_4
.LBB132_2:                              ;   in Loop: Header=BB132_4 Depth=1
	s_wait_xcnt 0x0
	s_or_b32 exec_lo, exec_lo, s7
.LBB132_3:                              ;   in Loop: Header=BB132_4 Depth=1
	s_delay_alu instid0(SALU_CYCLE_1) | instskip(SKIP_1) | instid1(SALU_CYCLE_1)
	s_or_b32 exec_lo, exec_lo, s54
	s_add_co_i32 s8, s8, 0x10000
	s_cmp_lt_u32 s8, s29
	s_cbranch_scc0 .LBB132_62
.LBB132_4:                              ; =>This Loop Header: Depth=1
                                        ;     Child Loop BB132_41 Depth 2
                                        ;     Child Loop BB132_48 Depth 2
	s_and_b32 vcc_lo, exec_lo, s46
	s_mov_b32 s7, -1
                                        ; implicit-def: $vgpr30
	s_cbranch_vccnz .LBB132_43
; %bb.5:                                ;   in Loop: Header=BB132_4 Depth=1
	s_and_not1_b32 vcc_lo, exec_lo, s7
	s_cbranch_vccz .LBB132_44
.LBB132_6:                              ;   in Loop: Header=BB132_4 Depth=1
	s_and_b32 vcc_lo, exec_lo, s46
	s_mov_b32 s7, -1
                                        ; implicit-def: $vgpr29
	s_cbranch_vccnz .LBB132_45
.LBB132_7:                              ;   in Loop: Header=BB132_4 Depth=1
	s_and_not1_b32 vcc_lo, exec_lo, s7
	s_cbranch_vccnz .LBB132_9
.LBB132_8:                              ;   in Loop: Header=BB132_4 Depth=1
	s_wait_loadcnt_dscnt 0x0
	ds_load_b32 v29, v19
.LBB132_9:                              ;   in Loop: Header=BB132_4 Depth=1
	s_wait_loadcnt_dscnt 0x0
	v_cmp_neq_f32_e32 vcc_lo, 0, v30
	v_cmp_neq_f32_e64 s7, 1.0, v29
	s_or_b32 s7, vcc_lo, s7
	s_wait_xcnt 0x0
	s_and_saveexec_b32 s54, s7
	s_cbranch_execz .LBB132_3
; %bb.10:                               ;   in Loop: Header=BB132_4 Depth=1
	s_mov_b32 s9, s17
	v_cmp_neq_f32_e64 s7, 0, v30
	v_mov_b64_e32 v[12:13], s[8:9]
	v_cmp_eq_f32_e32 vcc_lo, 0, v30
	s_and_saveexec_b32 s16, vcc_lo
	s_delay_alu instid0(SALU_CYCLE_1)
	s_xor_b32 s16, exec_lo, s16
; %bb.11:                               ;   in Loop: Header=BB132_4 Depth=1
	v_mov_b64_e32 v[12:13], s[8:9]
; %bb.12:                               ;   in Loop: Header=BB132_4 Depth=1
	s_or_saveexec_b32 s16, s16
	v_mov_b64_e32 v[16:17], 0
	v_mov_b64_e32 v[14:15], 0
	s_xor_b32 exec_lo, exec_lo, s16
	s_cbranch_execz .LBB132_14
; %bb.13:                               ;   in Loop: Header=BB132_4 Depth=1
	s_lshl_b64 s[56:57], s[8:9], 3
	s_delay_alu instid0(SALU_CYCLE_1)
	s_add_nc_u64 s[56:57], s[12:13], s[56:57]
	global_load_b64 v[14:15], v3, s[56:57]
	s_wait_loadcnt 0x0
	v_add_nc_u64_e32 v[14:15], s[14:15], v[14:15]
.LBB132_14:                             ;   in Loop: Header=BB132_4 Depth=1
	s_wait_xcnt 0x0
	s_or_b32 exec_lo, exec_lo, s16
	s_and_saveexec_b32 s9, s7
	s_cbranch_execz .LBB132_16
; %bb.15:                               ;   in Loop: Header=BB132_4 Depth=1
	v_lshl_add_u64 v[16:17], v[12:13], 3, s[20:21]
	global_load_b64 v[16:17], v[16:17], off
	s_wait_loadcnt 0x0
	s_wait_xcnt 0x0
	v_lshl_add_u64 v[16:17], s[22:23], 2, v[16:17]
.LBB132_16:                             ;   in Loop: Header=BB132_4 Depth=1
	s_or_b32 exec_lo, exec_lo, s9
	v_lshl_add_u64 v[12:13], v[12:13], 3, s[34:35]
	global_load_b64 v[12:13], v[12:13], off
	s_wait_loadcnt 0x0
	s_wait_xcnt 0x0
	v_lshl_add_u64 v[12:13], s[24:25], 2, v[12:13]
	s_delay_alu instid0(VALU_DEP_1) | instskip(SKIP_1) | instid1(SALU_CYCLE_1)
	v_lshl_add_u64 v[12:13], s[26:27], 2, v[12:13]
	s_and_saveexec_b32 s7, vcc_lo
	s_xor_b32 s7, exec_lo, s7
	s_cbranch_execz .LBB132_23
; %bb.17:                               ;   in Loop: Header=BB132_4 Depth=1
	s_and_saveexec_b32 s9, s0
	s_cbranch_execz .LBB132_22
; %bb.18:                               ;   in Loop: Header=BB132_4 Depth=1
	s_mov_b32 s55, s33
	s_and_saveexec_b32 s16, s1
	s_cbranch_execz .LBB132_20
; %bb.19:                               ;   in Loop: Header=BB132_4 Depth=1
	s_load_b32 s55, s[36:37], 0x0
	s_wait_kmcnt 0x0
	s_add_co_i32 s55, s55, -1
	s_delay_alu instid0(SALU_CYCLE_1) | instskip(SKIP_3) | instid1(SALU_CYCLE_1)
	s_cmp_lt_u32 s47, s55
	s_cselect_b32 s55, -1, 0
	s_and_not1_b32 s56, s33, exec_lo
	s_and_b32 s55, s55, exec_lo
	s_or_b32 s55, s56, s55
.LBB132_20:                             ;   in Loop: Header=BB132_4 Depth=1
	s_or_b32 exec_lo, exec_lo, s16
	s_delay_alu instid0(SALU_CYCLE_1)
	s_and_b32 exec_lo, exec_lo, s55
	s_cbranch_execz .LBB132_22
; %bb.21:                               ;   in Loop: Header=BB132_4 Depth=1
	v_lshl_add_u64 v[12:13], v[0:1], 2, v[12:13]
	flat_load_b32 v14, v[12:13]
	s_wait_loadcnt_dscnt 0x0
	v_mul_f32_e32 v14, v29, v14
	flat_store_b32 v[12:13], v14
.LBB132_22:                             ;   in Loop: Header=BB132_4 Depth=1
	s_wait_xcnt 0x0
	s_or_b32 exec_lo, exec_lo, s9
                                        ; implicit-def: $vgpr29
                                        ; implicit-def: $vgpr30
                                        ; implicit-def: $vgpr12_vgpr13
                                        ; implicit-def: $vgpr14_vgpr15
                                        ; implicit-def: $vgpr16_vgpr17
.LBB132_23:                             ;   in Loop: Header=BB132_4 Depth=1
	s_and_not1_saveexec_b32 s7, s7
	s_cbranch_execz .LBB132_3
; %bb.24:                               ;   in Loop: Header=BB132_4 Depth=1
	v_mov_b32_e32 v31, 0
	s_and_saveexec_b32 s7, s0
	s_cbranch_execz .LBB132_32
; %bb.25:                               ;   in Loop: Header=BB132_4 Depth=1
	s_mov_b32 s16, s33
	s_and_saveexec_b32 s9, s1
	s_cbranch_execz .LBB132_27
; %bb.26:                               ;   in Loop: Header=BB132_4 Depth=1
	s_load_b32 s16, s[36:37], 0x0
	s_wait_kmcnt 0x0
	s_add_co_i32 s16, s16, -1
	s_delay_alu instid0(SALU_CYCLE_1) | instskip(SKIP_3) | instid1(SALU_CYCLE_1)
	s_cmp_lt_u32 s47, s16
	s_cselect_b32 s16, -1, 0
	s_and_not1_b32 s55, s33, exec_lo
	s_and_b32 s16, s16, exec_lo
	s_or_b32 s16, s55, s16
.LBB132_27:                             ;   in Loop: Header=BB132_4 Depth=1
	s_or_b32 exec_lo, exec_lo, s9
	v_mov_b32_e32 v31, 0
	s_and_saveexec_b32 s9, s16
	s_cbranch_execz .LBB132_31
; %bb.28:                               ;   in Loop: Header=BB132_4 Depth=1
	v_lshl_add_u64 v[16:17], s[40:41], 2, v[16:17]
	v_mov_b32_e32 v31, 0
	s_mov_b32 s16, exec_lo
	s_delay_alu instid0(VALU_DEP_2)
	v_lshl_add_u64 v[16:17], v[6:7], 2, v[16:17]
	flat_load_b32 v16, v[16:17]
	s_wait_loadcnt_dscnt 0x0
	ds_store_b32 v20, v16
	s_wait_xcnt 0x0
	v_cmpx_neq_f32_e32 0, v29
	s_cbranch_execz .LBB132_30
; %bb.29:                               ;   in Loop: Header=BB132_4 Depth=1
	v_lshl_add_u64 v[16:17], v[0:1], 2, v[12:13]
	flat_load_b32 v16, v[16:17]
	s_wait_loadcnt_dscnt 0x0
	v_mul_f32_e32 v31, v29, v16
.LBB132_30:                             ;   in Loop: Header=BB132_4 Depth=1
	s_wait_xcnt 0x0
	s_or_b32 exec_lo, exec_lo, s16
.LBB132_31:                             ;   in Loop: Header=BB132_4 Depth=1
	s_delay_alu instid0(SALU_CYCLE_1)
	s_or_b32 exec_lo, exec_lo, s9
.LBB132_32:                             ;   in Loop: Header=BB132_4 Depth=1
	s_delay_alu instid0(SALU_CYCLE_1) | instskip(SKIP_3) | instid1(VALU_DEP_1)
	s_or_b32 exec_lo, exec_lo, s7
	s_load_b32 s7, s[36:37], 0x0
	v_lshl_add_u64 v[16:17], s[38:39], 2, v[14:15]
	s_mov_b32 s9, -1
	v_lshl_add_u64 v[16:17], v[4:5], 2, v[16:17]
	s_delay_alu instid0(VALU_DEP_1) | instskip(SKIP_2) | instid1(SALU_CYCLE_1)
	v_add_nc_u64_e32 v[16:17], v[16:17], v[2:3]
	s_wait_kmcnt 0x0
	s_add_co_i32 s7, s7, -1
	s_cmp_eq_u32 s47, s7
	s_cbranch_scc1 .LBB132_34
; %bb.33:                               ;   in Loop: Header=BB132_4 Depth=1
	s_delay_alu instid0(VALU_DEP_1) | instskip(SKIP_1) | instid1(VALU_DEP_1)
	v_add_nc_u64_e32 v[32:33], s[42:43], v[16:17]
	s_mov_b32 s9, 0
	v_add_nc_u64_e32 v[34:35], s[42:43], v[32:33]
	s_delay_alu instid0(VALU_DEP_1)
	v_add_nc_u64_e32 v[36:37], s[42:43], v[34:35]
	s_clause 0x3
	flat_load_b32 v38, v[16:17]
	flat_load_b32 v39, v[32:33]
	;; [unrolled: 1-line block ×4, first 2 shown]
	s_wait_loadcnt_dscnt 0x202
	ds_store_2addr_stride64_b32 v21, v38, v39 offset1:4
	s_wait_loadcnt_dscnt 0x1
	ds_store_2addr_stride64_b32 v21, v40, v41 offset0:8 offset1:12
.LBB132_34:                             ;   in Loop: Header=BB132_4 Depth=1
	s_and_not1_b32 vcc_lo, exec_lo, s9
	s_cbranch_vccnz .LBB132_52
; %bb.35:                               ;   in Loop: Header=BB132_4 Depth=1
	ds_store_2addr_stride64_b32 v21, v3, v3 offset1:4
	ds_store_2addr_stride64_b32 v21, v3, v3 offset0:8 offset1:12
	s_wait_xcnt 0x0
	s_and_saveexec_b32 s9, s48
; %bb.36:                               ;   in Loop: Header=BB132_4 Depth=1
	ds_store_b32 v20, v3
; %bb.37:                               ;   in Loop: Header=BB132_4 Depth=1
	s_or_b32 exec_lo, exec_lo, s9
	s_and_saveexec_b32 s9, s33
	s_cbranch_execz .LBB132_51
; %bb.38:                               ;   in Loop: Header=BB132_4 Depth=1
	s_and_not1_b32 vcc_lo, exec_lo, s50
	s_mov_b32 s55, 0
	s_cbranch_vccnz .LBB132_49
; %bb.39:                               ;   in Loop: Header=BB132_4 Depth=1
	s_and_not1_b32 vcc_lo, exec_lo, s28
	s_cbranch_vccnz .LBB132_46
; %bb.40:                               ;   in Loop: Header=BB132_4 Depth=1
	s_mov_b32 s55, 1
	s_mov_b32 s56, 0
	;; [unrolled: 1-line block ×3, first 2 shown]
.LBB132_41:                             ;   Parent Loop BB132_4 Depth=1
                                        ; =>  This Inner Loop Header: Depth=2
	s_lshl_b32 s16, s56, 3
	s_lshl_b32 s58, s55, 3
	s_mov_b32 s59, s17
	s_mul_u64 s[60:61], s[30:31], s[16:17]
	s_mul_u64 s[58:59], s[44:45], s[58:59]
	v_lshl_add_u64 v[32:33], s[60:61], 2, v[16:17]
	v_lshl_add_u64 v[34:35], s[58:59], 2, v[16:17]
	s_add_co_i32 s57, s57, -2
	s_mov_b32 s58, s53
	s_clause 0x1
	flat_load_b32 v32, v[32:33]
	flat_load_b32 v33, v[34:35]
	s_wait_xcnt 0x0
	v_lshl_add_u32 v34, s56, 10, v21
	v_lshl_add_u32 v35, s55, 10, v21
	s_add_co_i32 s56, s56, 2
	s_add_co_i32 s55, s55, 2
	s_cmp_lg_u32 s57, 0
	s_mov_b32 s16, s52
	s_wait_loadcnt_dscnt 0x101
	ds_store_b32 v34, v32
	s_wait_loadcnt_dscnt 0x1
	ds_store_b32 v35, v33
	s_cbranch_scc1 .LBB132_41
; %bb.42:                               ;   in Loop: Header=BB132_4 Depth=1
	s_and_b32 vcc_lo, exec_lo, s58
	s_mov_b32 s55, s49
	s_cbranch_vccnz .LBB132_47
	s_branch .LBB132_49
.LBB132_43:                             ;   in Loop: Header=BB132_4 Depth=1
	ds_load_b64 v[12:13], v18
	s_mov_b32 s9, s17
	s_delay_alu instid0(SALU_CYCLE_1)
	s_mul_u64 s[54:55], s[10:11], s[8:9]
	s_wait_dscnt 0x0
	v_lshl_add_u64 v[12:13], s[54:55], 2, v[12:13]
	flat_load_b32 v30, v[12:13]
	s_cbranch_execnz .LBB132_6
.LBB132_44:                             ;   in Loop: Header=BB132_4 Depth=1
	s_wait_loadcnt_dscnt 0x0
	ds_load_b32 v30, v18
	s_and_b32 vcc_lo, exec_lo, s46
	s_mov_b32 s7, -1
                                        ; implicit-def: $vgpr29
	s_cbranch_vccz .LBB132_7
.LBB132_45:                             ;   in Loop: Header=BB132_4 Depth=1
	s_wait_xcnt 0x0
	ds_load_b64 v[12:13], v19
	s_mov_b32 s9, s17
	s_delay_alu instid0(SALU_CYCLE_1)
	s_mul_u64 s[54:55], s[18:19], s[8:9]
	s_wait_dscnt 0x0
	v_lshl_add_u64 v[12:13], s[54:55], 2, v[12:13]
	flat_load_b32 v29, v[12:13]
	s_cbranch_execz .LBB132_8
	s_branch .LBB132_9
.LBB132_46:                             ;   in Loop: Header=BB132_4 Depth=1
	s_mov_b32 s16, 0
	s_mov_b32 s55, s49
	s_cbranch_execz .LBB132_49
.LBB132_47:                             ;   in Loop: Header=BB132_4 Depth=1
	s_lshl_b64 s[56:57], s[16:17], 5
	v_add_nc_u64_e32 v[14:15], v[14:15], v[10:11]
	v_add_nc_u64_e32 v[32:33], s[56:57], v[8:9]
	s_delay_alu instid0(VALU_DEP_1) | instskip(NEXT) | instid1(VALU_DEP_1)
	v_mad_nc_u64_u32 v[14:15], s30, v32, v[14:15]
	v_mad_u32 v15, s31, v32, v15
	v_lshl_add_u32 v32, s16, 10, v21
	s_sub_co_i32 s16, s49, s16
	s_delay_alu instid0(VALU_DEP_2)
	v_mad_u32 v15, s30, v33, v15
.LBB132_48:                             ;   Parent Loop BB132_4 Depth=1
                                        ; =>  This Inner Loop Header: Depth=2
	flat_load_b32 v33, v[14:15]
	s_wait_xcnt 0x0
	v_add_nc_u64_e32 v[14:15], s[42:43], v[14:15]
	s_add_co_i32 s16, s16, -1
	s_mov_b32 s55, s49
	s_cmp_lg_u32 s16, 0
	s_wait_loadcnt_dscnt 0x0
	ds_store_b32 v32, v33
	v_add_nc_u32_e32 v32, 0x400, v32
	s_cbranch_scc1 .LBB132_48
.LBB132_49:                             ;   in Loop: Header=BB132_4 Depth=1
	s_and_b32 exec_lo, exec_lo, s3
	s_cbranch_execz .LBB132_51
; %bb.50:                               ;   in Loop: Header=BB132_4 Depth=1
	s_lshl_b32 s16, s55, 3
	s_delay_alu instid0(SALU_CYCLE_1) | instskip(NEXT) | instid1(SALU_CYCLE_1)
	s_mul_u64 s[56:57], s[30:31], s[16:17]
	v_lshl_add_u64 v[14:15], s[56:57], 2, v[16:17]
	flat_load_b32 v14, v[14:15]
	s_wait_xcnt 0x0
	v_lshl_add_u32 v15, s55, 10, v21
	s_wait_loadcnt_dscnt 0x0
	ds_store_b32 v15, v14
.LBB132_51:                             ;   in Loop: Header=BB132_4 Depth=1
	s_or_b32 exec_lo, exec_lo, s9
.LBB132_52:                             ;   in Loop: Header=BB132_4 Depth=1
	s_wait_storecnt_dscnt 0x0
	s_barrier_signal -1
	s_barrier_wait -1
	s_wait_xcnt 0x0
	s_and_saveexec_b32 s9, s4
	s_cbranch_execnz .LBB132_59
; %bb.53:                               ;   in Loop: Header=BB132_4 Depth=1
	s_or_b32 exec_lo, exec_lo, s9
	s_and_saveexec_b32 s9, s5
	s_cbranch_execnz .LBB132_60
.LBB132_54:                             ;   in Loop: Header=BB132_4 Depth=1
	s_or_b32 exec_lo, exec_lo, s9
	s_and_saveexec_b32 s9, s51
	s_cbranch_execnz .LBB132_61
.LBB132_55:                             ;   in Loop: Header=BB132_4 Depth=1
	s_or_b32 exec_lo, exec_lo, s9
	s_and_saveexec_b32 s9, s6
	s_cbranch_execz .LBB132_57
.LBB132_56:                             ;   in Loop: Header=BB132_4 Depth=1
	ds_load_b32 v14, v22 offset:32
	s_wait_dscnt 0x0
	ds_store_b32 v26, v14
.LBB132_57:                             ;   in Loop: Header=BB132_4 Depth=1
	s_or_b32 exec_lo, exec_lo, s9
	s_wait_dscnt 0x0
	s_barrier_signal -1
	s_barrier_wait -1
	ds_load_b32 v14, v21
	ds_load_b32 v15, v26
	ds_load_2addr_b32 v[16:17], v23 offset1:8
	ds_load_2addr_b32 v[32:33], v23 offset0:16 offset1:24
	ds_load_b32 v34, v27
	ds_load_b32 v35, v28
	s_cmp_ge_u32 s47, s7
	s_cselect_b32 s7, -1, 0
	s_delay_alu instid0(SALU_CYCLE_1) | instskip(NEXT) | instid1(SALU_CYCLE_1)
	s_and_b32 s7, s1, s7
	s_nor_b32 s9, s7, s2
	s_wait_dscnt 0x3
	v_pk_mul_f32 v[14:15], v[14:15], v[16:17]
	s_wait_dscnt 0x0
	v_pk_mul_f32 v[16:17], v[34:35], v[32:33]
	s_delay_alu instid0(VALU_DEP_2) | instskip(NEXT) | instid1(VALU_DEP_1)
	v_add_f32_e32 v14, 0, v14
	v_add_f32_e32 v14, v14, v15
	s_delay_alu instid0(VALU_DEP_1) | instskip(NEXT) | instid1(VALU_DEP_1)
	v_add_f32_e32 v14, v14, v16
	v_add_f32_e32 v14, v14, v17
	ds_store_b32 v24, v14
	s_wait_dscnt 0x0
	s_barrier_signal -1
	s_barrier_wait -1
	s_and_saveexec_b32 s7, s9
	s_cbranch_execz .LBB132_2
; %bb.58:                               ;   in Loop: Header=BB132_4 Depth=1
	ds_load_2addr_b32 v[14:15], v25 offset1:32
	ds_load_2addr_b32 v[16:17], v25 offset0:64 offset1:96
	ds_load_2addr_b32 v[32:33], v25 offset0:128 offset1:160
	v_cmp_neq_f32_e32 vcc_lo, 0, v29
	v_lshl_add_u64 v[12:13], v[0:1], 2, v[12:13]
	s_wait_dscnt 0x2
	v_add_f32_e32 v14, 0, v14
	s_delay_alu instid0(VALU_DEP_1) | instskip(SKIP_3) | instid1(VALU_DEP_1)
	v_add_f32_e32 v34, v14, v15
	ds_load_2addr_b32 v[14:15], v25 offset0:192 offset1:224
	s_wait_dscnt 0x2
	v_add_f32_e32 v16, v34, v16
	v_add_f32_e32 v16, v16, v17
	s_wait_dscnt 0x1
	s_delay_alu instid0(VALU_DEP_1) | instskip(NEXT) | instid1(VALU_DEP_1)
	v_add_f32_e32 v16, v16, v32
	v_add_f32_e32 v16, v16, v33
	s_wait_dscnt 0x0
	s_delay_alu instid0(VALU_DEP_1) | instskip(NEXT) | instid1(VALU_DEP_1)
	v_add_f32_e32 v14, v16, v14
	v_add_f32_e32 v14, v14, v15
	s_delay_alu instid0(VALU_DEP_1) | instskip(NEXT) | instid1(VALU_DEP_1)
	v_dual_mul_f32 v15, v30, v14 :: v_dual_fmac_f32 v31, v30, v14
	v_cndmask_b32_e32 v14, v15, v31, vcc_lo
	flat_store_b32 v[12:13], v14
	s_branch .LBB132_2
.LBB132_59:                             ;   in Loop: Header=BB132_4 Depth=1
	ds_load_b32 v14, v22 offset:64
	s_wait_dscnt 0x0
	ds_store_b32 v21, v14 offset:2048
	s_or_b32 exec_lo, exec_lo, s9
	s_and_saveexec_b32 s9, s5
	s_cbranch_execz .LBB132_54
.LBB132_60:                             ;   in Loop: Header=BB132_4 Depth=1
	ds_load_b32 v14, v22 offset:96
	s_wait_dscnt 0x0
	ds_store_b32 v21, v14 offset:3072
	s_or_b32 exec_lo, exec_lo, s9
	s_and_saveexec_b32 s9, s51
	s_cbranch_execz .LBB132_55
.LBB132_61:                             ;   in Loop: Header=BB132_4 Depth=1
	ds_load_b32 v14, v22
	s_wait_dscnt 0x0
	ds_store_b32 v21, v14
	s_or_b32 exec_lo, exec_lo, s9
	s_and_saveexec_b32 s9, s6
	s_cbranch_execnz .LBB132_56
	s_branch .LBB132_57
.LBB132_62:
	s_endpgm
	.section	.rodata,"a",@progbits
	.p2align	6, 0x0
	.amdhsa_kernel _ZL58rocblas_symv_kernel_upper_double_buffered_diagonal_genericILi32ELi8E24rocblas_internal_val_ptrIfEPKPKfPKPfEvbiT1_lT2_lllSA_lllS9_lT3_lllii
		.amdhsa_group_segment_fixed_size 10368
		.amdhsa_private_segment_fixed_size 0
		.amdhsa_kernarg_size 400
		.amdhsa_user_sgpr_count 4
		.amdhsa_user_sgpr_dispatch_ptr 1
		.amdhsa_user_sgpr_queue_ptr 0
		.amdhsa_user_sgpr_kernarg_segment_ptr 1
		.amdhsa_user_sgpr_dispatch_id 0
		.amdhsa_user_sgpr_kernarg_preload_length 0
		.amdhsa_user_sgpr_kernarg_preload_offset 0
		.amdhsa_user_sgpr_private_segment_size 0
		.amdhsa_wavefront_size32 1
		.amdhsa_uses_dynamic_stack 0
		.amdhsa_enable_private_segment 0
		.amdhsa_system_sgpr_workgroup_id_x 1
		.amdhsa_system_sgpr_workgroup_id_y 0
		.amdhsa_system_sgpr_workgroup_id_z 1
		.amdhsa_system_sgpr_workgroup_info 0
		.amdhsa_system_vgpr_workitem_id 2
		.amdhsa_next_free_vgpr 42
		.amdhsa_next_free_sgpr 62
		.amdhsa_named_barrier_count 0
		.amdhsa_reserve_vcc 1
		.amdhsa_float_round_mode_32 0
		.amdhsa_float_round_mode_16_64 0
		.amdhsa_float_denorm_mode_32 3
		.amdhsa_float_denorm_mode_16_64 3
		.amdhsa_fp16_overflow 0
		.amdhsa_memory_ordered 1
		.amdhsa_forward_progress 1
		.amdhsa_inst_pref_size 20
		.amdhsa_round_robin_scheduling 0
		.amdhsa_exception_fp_ieee_invalid_op 0
		.amdhsa_exception_fp_denorm_src 0
		.amdhsa_exception_fp_ieee_div_zero 0
		.amdhsa_exception_fp_ieee_overflow 0
		.amdhsa_exception_fp_ieee_underflow 0
		.amdhsa_exception_fp_ieee_inexact 0
		.amdhsa_exception_int_div_zero 0
	.end_amdhsa_kernel
	.section	.text._ZL58rocblas_symv_kernel_upper_double_buffered_diagonal_genericILi32ELi8E24rocblas_internal_val_ptrIfEPKPKfPKPfEvbiT1_lT2_lllSA_lllS9_lT3_lllii,"axG",@progbits,_ZL58rocblas_symv_kernel_upper_double_buffered_diagonal_genericILi32ELi8E24rocblas_internal_val_ptrIfEPKPKfPKPfEvbiT1_lT2_lllSA_lllS9_lT3_lllii,comdat
.Lfunc_end132:
	.size	_ZL58rocblas_symv_kernel_upper_double_buffered_diagonal_genericILi32ELi8E24rocblas_internal_val_ptrIfEPKPKfPKPfEvbiT1_lT2_lllSA_lllS9_lT3_lllii, .Lfunc_end132-_ZL58rocblas_symv_kernel_upper_double_buffered_diagonal_genericILi32ELi8E24rocblas_internal_val_ptrIfEPKPKfPKPfEvbiT1_lT2_lllSA_lllS9_lT3_lllii
                                        ; -- End function
	.set _ZL58rocblas_symv_kernel_upper_double_buffered_diagonal_genericILi32ELi8E24rocblas_internal_val_ptrIfEPKPKfPKPfEvbiT1_lT2_lllSA_lllS9_lT3_lllii.num_vgpr, 42
	.set _ZL58rocblas_symv_kernel_upper_double_buffered_diagonal_genericILi32ELi8E24rocblas_internal_val_ptrIfEPKPKfPKPfEvbiT1_lT2_lllSA_lllS9_lT3_lllii.num_agpr, 0
	.set _ZL58rocblas_symv_kernel_upper_double_buffered_diagonal_genericILi32ELi8E24rocblas_internal_val_ptrIfEPKPKfPKPfEvbiT1_lT2_lllSA_lllS9_lT3_lllii.numbered_sgpr, 62
	.set _ZL58rocblas_symv_kernel_upper_double_buffered_diagonal_genericILi32ELi8E24rocblas_internal_val_ptrIfEPKPKfPKPfEvbiT1_lT2_lllSA_lllS9_lT3_lllii.num_named_barrier, 0
	.set _ZL58rocblas_symv_kernel_upper_double_buffered_diagonal_genericILi32ELi8E24rocblas_internal_val_ptrIfEPKPKfPKPfEvbiT1_lT2_lllSA_lllS9_lT3_lllii.private_seg_size, 0
	.set _ZL58rocblas_symv_kernel_upper_double_buffered_diagonal_genericILi32ELi8E24rocblas_internal_val_ptrIfEPKPKfPKPfEvbiT1_lT2_lllSA_lllS9_lT3_lllii.uses_vcc, 1
	.set _ZL58rocblas_symv_kernel_upper_double_buffered_diagonal_genericILi32ELi8E24rocblas_internal_val_ptrIfEPKPKfPKPfEvbiT1_lT2_lllSA_lllS9_lT3_lllii.uses_flat_scratch, 1
	.set _ZL58rocblas_symv_kernel_upper_double_buffered_diagonal_genericILi32ELi8E24rocblas_internal_val_ptrIfEPKPKfPKPfEvbiT1_lT2_lllSA_lllS9_lT3_lllii.has_dyn_sized_stack, 0
	.set _ZL58rocblas_symv_kernel_upper_double_buffered_diagonal_genericILi32ELi8E24rocblas_internal_val_ptrIfEPKPKfPKPfEvbiT1_lT2_lllSA_lllS9_lT3_lllii.has_recursion, 0
	.set _ZL58rocblas_symv_kernel_upper_double_buffered_diagonal_genericILi32ELi8E24rocblas_internal_val_ptrIfEPKPKfPKPfEvbiT1_lT2_lllSA_lllS9_lT3_lllii.has_indirect_call, 0
	.section	.AMDGPU.csdata,"",@progbits
; Kernel info:
; codeLenInByte = 2504
; TotalNumSgprs: 64
; NumVgprs: 42
; ScratchSize: 0
; MemoryBound: 0
; FloatMode: 240
; IeeeMode: 1
; LDSByteSize: 10368 bytes/workgroup (compile time only)
; SGPRBlocks: 0
; VGPRBlocks: 2
; NumSGPRsForWavesPerEU: 64
; NumVGPRsForWavesPerEU: 42
; NamedBarCnt: 0
; Occupancy: 16
; WaveLimiterHint : 1
; COMPUTE_PGM_RSRC2:SCRATCH_EN: 0
; COMPUTE_PGM_RSRC2:USER_SGPR: 4
; COMPUTE_PGM_RSRC2:TRAP_HANDLER: 0
; COMPUTE_PGM_RSRC2:TGID_X_EN: 1
; COMPUTE_PGM_RSRC2:TGID_Y_EN: 0
; COMPUTE_PGM_RSRC2:TGID_Z_EN: 1
; COMPUTE_PGM_RSRC2:TIDIG_COMP_CNT: 2
	.section	.text._ZL62rocblas_symv_kernel_upper_double_buffered_non_diagonal_genericILi32ELi8ELi2ELi0E24rocblas_internal_val_ptrIfEPKPKfPKPfEvbiT3_lT4_lllSA_lllT5_lllii,"axG",@progbits,_ZL62rocblas_symv_kernel_upper_double_buffered_non_diagonal_genericILi32ELi8ELi2ELi0E24rocblas_internal_val_ptrIfEPKPKfPKPfEvbiT3_lT4_lllSA_lllT5_lllii,comdat
	.globl	_ZL62rocblas_symv_kernel_upper_double_buffered_non_diagonal_genericILi32ELi8ELi2ELi0E24rocblas_internal_val_ptrIfEPKPKfPKPfEvbiT3_lT4_lllSA_lllT5_lllii ; -- Begin function _ZL62rocblas_symv_kernel_upper_double_buffered_non_diagonal_genericILi32ELi8ELi2ELi0E24rocblas_internal_val_ptrIfEPKPKfPKPfEvbiT3_lT4_lllSA_lllT5_lllii
	.p2align	8
	.type	_ZL62rocblas_symv_kernel_upper_double_buffered_non_diagonal_genericILi32ELi8ELi2ELi0E24rocblas_internal_val_ptrIfEPKPKfPKPfEvbiT3_lT4_lllSA_lllT5_lllii,@function
_ZL62rocblas_symv_kernel_upper_double_buffered_non_diagonal_genericILi32ELi8ELi2ELi0E24rocblas_internal_val_ptrIfEPKPKfPKPfEvbiT3_lT4_lllSA_lllT5_lllii: ; @_ZL62rocblas_symv_kernel_upper_double_buffered_non_diagonal_genericILi32ELi8ELi2ELi0E24rocblas_internal_val_ptrIfEPKPKfPKPfEvbiT3_lT4_lllSA_lllT5_lllii
; %bb.0:
	s_load_b64 s[12:13], s[0:1], 0x4
	s_load_b256 s[4:11], s[2:3], 0x8
	v_bfe_u32 v1, v0, 10, 10
	s_load_b64 s[20:21], s[2:3], 0x78
	v_and_b32_e32 v2, 0x3ff, v0
	s_wait_xcnt 0x0
	s_lshr_b32 s1, ttmp7, 16
	v_bfe_u32 v0, v0, 20, 10
	s_mov_b32 s23, 0
	s_wait_kmcnt 0x0
	v_mul_u32_u24_e32 v3, s13, v1
	s_lshr_b32 s0, s12, 16
	v_dual_mov_b32 v4, s4 :: v_dual_mov_b32 v5, s5
	s_mul_i32 s0, s0, s13
	s_bfe_u32 s5, ttmp6, 0x40008
	v_mad_u32 v3, s0, v2, v3
	s_bfe_u32 s0, ttmp6, 0x40014
	s_delay_alu instid0(SALU_CYCLE_1) | instskip(NEXT) | instid1(SALU_CYCLE_1)
	s_add_co_i32 s0, s0, 1
	s_mul_i32 s4, s1, s0
	s_getreg_b32 s0, hwreg(HW_REG_IB_STS2, 6, 4)
	s_add_co_i32 s5, s5, s4
	s_cmp_eq_u32 s0, 0
	s_cselect_b32 s4, s1, s5
	s_delay_alu instid0(VALU_DEP_1)
	v_add_lshl_u32 v0, v3, v0, 3
	s_cmp_ge_u32 s4, s21
	ds_store_b64 v0, v[4:5] offset:4224
	s_cbranch_scc1 .LBB133_44
; %bb.1:
	s_clause 0x1
	s_load_b32 s1, s[2:3], 0x0
	s_load_b64 s[24:25], s[2:3], 0x28
	v_add_nc_u32_e32 v37, 0x1080, v0
	v_lshl_add_u32 v0, v1, 5, v2
	v_dual_mov_b32 v3, 0 :: v_dual_bitop2_b32 v8, 15, v2 bitop3:0x40
	v_lshl_add_u32 v20, v2, 6, 0x800
	s_clause 0x1
	s_load_b128 s[12:15], s[2:3], 0x38
	s_load_b64 s[26:27], s[2:3], 0x48
	v_dual_mov_b32 v9, v3 :: v_dual_lshrrev_b32 v12, 4, v0
	v_dual_lshlrev_b32 v0, 2, v8 :: v_dual_lshlrev_b32 v47, 2, v2
	s_delay_alu instid0(VALU_DEP_2)
	v_dual_mov_b32 v11, v3 :: v_dual_lshlrev_b32 v52, 7, v12
	v_dual_lshlrev_b32 v10, 1, v12 :: v_dual_lshlrev_b32 v14, 3, v12
	s_clause 0x1
	s_load_b64 s[28:29], s[2:3], 0x58
	s_load_b128 s[16:19], s[2:3], 0x60
	v_dual_add_nc_u32 v17, 5, v2 :: v_dual_add_nc_u32 v18, 6, v2
	v_add_nc_u32_e32 v23, 13, v2
	s_wait_kmcnt 0x0
	s_bitcmp1_b32 s1, 0
	v_mad_nc_u64_u32 v[4:5], s24, v10, v[8:9]
	s_cselect_b32 s1, -1, 0
	s_bfe_u32 s22, ttmp6, 0x4000c
	s_bfe_u32 s30, ttmp6, 0x40010
	s_and_b32 s31, ttmp7, 0xffff
	s_add_co_i32 s22, s22, 1
	s_add_co_i32 s30, s30, 1
	s_and_b32 s5, ttmp6, 15
	s_bfe_u32 s34, ttmp6, 0x40004
	s_xor_b32 s33, s1, -1
	s_mul_i32 s1, ttmp9, s22
	s_mul_i32 s22, s31, s30
	s_add_co_i32 s5, s5, s1
	s_add_co_i32 s34, s34, s22
	s_cmp_eq_u32 s0, 0
	v_mad_u32 v5, s25, v10, v5
	s_cselect_b32 s30, ttmp9, s5
	s_cselect_b32 s54, s31, s34
	s_lshl_b32 s38, s30, 5
	s_lshl_b32 s55, s54, 5
	s_ashr_i32 s39, s38, 31
	s_cmp_lg_u32 s30, 0
	v_or_b32_e32 v10, 16, v8
	s_cselect_b32 s56, -1, 0
	s_lshr_b32 s0, s20, 31
	v_or_b32_e32 v57, v20, v0
	s_add_co_i32 s0, s20, s0
	v_cmp_gt_i32_e64 s1, s20, v2
	s_ashr_i32 s5, s0, 1
	v_cmp_eq_u32_e64 s0, 0, v1
	v_or_b32_e32 v1, 0x800, v0
	v_dual_add_nc_u32 v15, 2, v2 :: v_dual_bitop2_b32 v54, v0, v52 bitop3:0x54
	v_mul_u64_e32 v[6:7], s[26:27], v[2:3]
	v_cmp_gt_i32_e64 s20, s5, v12
	s_delay_alu instid0(VALU_DEP_4)
	v_dual_add_nc_u32 v55, v1, v52 :: v_dual_add_nc_u32 v1, 1, v2
	v_add_nc_u32_e32 v16, 4, v2
	v_add_nc_u32_e32 v56, 0x1000, v14
	v_mul_u64_e32 v[8:9], s[26:27], v[8:9]
	v_mul_u64_e32 v[10:11], s[26:27], v[10:11]
	v_and_b32_e32 v1, 15, v1
	v_mul_u64_e32 v[12:13], s[18:19], v[2:3]
	s_lshl_b64 s[10:11], s[10:11], 2
	v_or_b32_e32 v53, 0x1000, v47
	s_mul_u64 s[42:43], s[24:25], s[38:39]
	v_lshl_or_b32 v58, v1, 2, v20
	v_dual_add_nc_u32 v15, 3, v2 :: v_dual_bitop2_b32 v1, 15, v15 bitop3:0x40
	s_mul_u64 s[40:41], s[26:27], s[38:39]
	s_mul_u64 s[44:45], s[18:19], s[38:39]
	s_add_nc_u64 s[2:3], s[2:3], 0x80
	s_delay_alu instid0(VALU_DEP_1)
	v_lshl_or_b32 v59, v1, 2, v20
	v_and_b32_e32 v1, 15, v15
	v_and_b32_e32 v15, 15, v16
	;; [unrolled: 1-line block ×4, first 2 shown]
	v_add_nc_u32_e32 v18, 7, v2
	v_lshl_or_b32 v60, v1, 2, v20
	s_lshl_b64 s[34:35], s[26:27], 7
	s_lshl_b64 s[36:37], s[18:19], 7
	v_lshl_or_b32 v63, v17, 2, v20
	v_and_b32_e32 v1, 15, v18
	v_add_nc_u32_e32 v17, 9, v2
	v_lshl_or_b32 v61, v15, 2, v20
	v_dual_mov_b32 v15, v3 :: v_dual_add_nc_u32 v18, 10, v2
	v_lshl_or_b32 v62, v16, 2, v20
	v_bitop3_b32 v16, v2, 8, 15 bitop3:0x6c
	v_lshl_or_b32 v64, v1, 2, v20
	v_dual_add_nc_u32 v17, 11, v2 :: v_dual_bitop2_b32 v1, 15, v17 bitop3:0x40
	v_lshl_add_u64 v[14:15], s[38:39], 2, v[14:15]
	s_delay_alu instid0(VALU_DEP_4) | instskip(SKIP_1) | instid1(VALU_DEP_4)
	v_lshl_or_b32 v65, v16, 2, v20
	v_and_b32_e32 v16, 15, v18
	v_dual_add_nc_u32 v18, 12, v2 :: v_dual_bitop2_b32 v21, 15, v17 bitop3:0x40
	v_lshl_or_b32 v66, v1, 2, v20
	v_or_b32_e32 v1, 4, v14
	s_delay_alu instid0(VALU_DEP_4) | instskip(NEXT) | instid1(VALU_DEP_4)
	v_lshl_or_b32 v67, v16, 2, v20
	v_and_b32_e32 v22, 15, v18
	v_mul_lo_u32 v15, s24, v15
	v_mul_lo_u32 v25, s25, v14
	;; [unrolled: 1-line block ×3, first 2 shown]
	v_mad_nc_u64_u32 v[16:17], s24, v1, s[10:11]
	v_mad_nc_u64_u32 v[18:19], s24, v14, s[10:11]
	v_dual_add_nc_u32 v14, 14, v2 :: v_dual_bitop2_b32 v1, 15, v23 bitop3:0x40
	v_add_nc_u32_e32 v2, -1, v2
	v_lshl_or_b32 v68, v21, 2, v20
	v_lshl_or_b32 v69, v22, 2, v20
	s_delay_alu instid0(VALU_DEP_4)
	v_and_b32_e32 v14, 15, v14
	v_lshl_or_b32 v70, v1, 2, v20
	v_dual_mov_b32 v1, v3 :: v_dual_bitop2_b32 v2, 15, v2 bitop3:0x40
	v_add3_u32 v17, v24, v17, v15
	v_add3_u32 v19, v25, v19, v15
	v_lshl_or_b32 v71, v14, 2, v20
	s_mov_b32 s31, s23
	v_lshl_or_b32 v72, v2, 2, v20
	v_add_nc_u64_e32 v[14:15], v[16:17], v[0:1]
	v_add_nc_u64_e32 v[16:17], v[18:19], v[0:1]
	v_or_b32_e32 v2, 0x80, v0
	v_dual_mov_b32 v19, v3 :: v_dual_bitop2_b32 v18, 64, v0 bitop3:0x54
	s_lshl_b64 s[38:39], s[26:27], 2
	s_lshl_b64 s[14:15], s[14:15], 2
	s_lshl_b64 s[40:41], s[40:41], 2
	s_lshl_b64 s[42:43], s[42:43], 2
	s_lshl_b64 s[16:17], s[16:17], 2
	s_lshl_b64 s[44:45], s[44:45], 2
	s_branch .LBB133_3
.LBB133_2:                              ;   in Loop: Header=BB133_3 Depth=1
	s_wait_xcnt 0x0
	s_or_b32 exec_lo, exec_lo, s5
	s_add_co_i32 s4, s4, 0x10000
	s_delay_alu instid0(SALU_CYCLE_1)
	s_cmp_lt_u32 s4, s21
	s_cbranch_scc0 .LBB133_44
.LBB133_3:                              ; =>This Loop Header: Depth=1
                                        ;     Child Loop BB133_27 Depth 2
	s_and_b32 vcc_lo, exec_lo, s33
	s_mov_b32 s5, -1
                                        ; implicit-def: $vgpr1
	s_cbranch_vccz .LBB133_5
; %bb.4:                                ;   in Loop: Header=BB133_3 Depth=1
	s_wait_loadcnt 0x0
	ds_load_b64 v[20:21], v37
	s_mov_b32 s5, s23
	s_delay_alu instid0(SALU_CYCLE_1)
	s_mul_u64 s[46:47], s[6:7], s[4:5]
	s_mov_b32 s5, 0
	s_wait_dscnt 0x0
	v_lshl_add_u64 v[20:21], s[46:47], 2, v[20:21]
	flat_load_b32 v1, v[20:21]
.LBB133_5:                              ;   in Loop: Header=BB133_3 Depth=1
	s_and_not1_b32 vcc_lo, exec_lo, s5
	s_cbranch_vccnz .LBB133_7
; %bb.6:                                ;   in Loop: Header=BB133_3 Depth=1
	s_wait_loadcnt_dscnt 0x0
	ds_load_b32 v1, v37
.LBB133_7:                              ;   in Loop: Header=BB133_3 Depth=1
	s_mov_b32 s5, exec_lo
	s_wait_loadcnt_dscnt 0x0
	s_wait_xcnt 0x0
	v_cmpx_neq_f32_e32 0, v1
	s_cbranch_execz .LBB133_2
; %bb.8:                                ;   in Loop: Header=BB133_3 Depth=1
	s_and_not1_b32 vcc_lo, exec_lo, s56
	s_cbranch_vccnz .LBB133_2
; %bb.9:                                ;   in Loop: Header=BB133_3 Depth=1
	v_mov_b32_e32 v22, s4
	s_clause 0x1
	global_load_b64 v[28:29], v22, s[8:9] scale_offset
	global_load_b64 v[20:21], v22, s[12:13] scale_offset
	s_load_b32 s46, s[2:3], 0x4
	s_wait_kmcnt 0x0
	s_cvt_f32_u32 s22, s46
	s_sub_co_i32 s47, 0, s46
	s_delay_alu instid0(SALU_CYCLE_2) | instskip(SKIP_1) | instid1(TRANS32_DEP_1)
	v_rcp_iflag_f32_e32 v22, s22
	v_nop
	v_readfirstlane_b32 s22, v22
	s_mul_f32 s22, s22, 0x4f7ffffe
	s_delay_alu instid0(SALU_CYCLE_3) | instskip(NEXT) | instid1(SALU_CYCLE_3)
	s_cvt_u32_f32 s22, s22
	s_mul_i32 s47, s47, s22
	s_delay_alu instid0(SALU_CYCLE_1) | instskip(NEXT) | instid1(SALU_CYCLE_1)
	s_mul_hi_u32 s47, s22, s47
	s_add_co_i32 s22, s22, s47
	s_delay_alu instid0(SALU_CYCLE_1) | instskip(NEXT) | instid1(SALU_CYCLE_1)
	s_mul_u64 s[48:49], s[30:31], s[22:23]
	s_mul_i32 s22, s49, s46
	s_add_co_i32 s47, s49, 1
	s_sub_co_i32 s22, s30, s22
	s_delay_alu instid0(SALU_CYCLE_1)
	s_sub_co_i32 s48, s22, s46
	s_cmp_ge_u32 s22, s46
	s_cselect_b32 s47, s47, s49
	s_cselect_b32 s22, s48, s22
	s_add_co_i32 s48, s47, 1
	s_cmp_ge_u32 s22, s46
	s_cselect_b32 s48, s48, s47
	s_add_co_i32 s22, s46, -1
	s_mov_b32 s58, s48
	s_cmp_lg_u32 s54, s22
	s_cbranch_scc1 .LBB133_11
; %bb.10:                               ;   in Loop: Header=BB133_3 Depth=1
	s_mul_i32 s22, s48, s46
	s_delay_alu instid0(SALU_CYCLE_1) | instskip(NEXT) | instid1(SALU_CYCLE_1)
	s_sub_co_i32 s22, s30, s22
	s_add_co_i32 s58, s22, s48
.LBB133_11:                             ;   in Loop: Header=BB133_3 Depth=1
	s_delay_alu instid0(SALU_CYCLE_1)
	s_cmp_eq_u32 s58, 0
	s_cbranch_scc1 .LBB133_2
; %bb.12:                               ;   in Loop: Header=BB133_3 Depth=1
	s_load_b32 s22, s[2:3], 0x0
	s_load_b64 s[46:47], s[28:29], s4 offset:0x0 scale_offset
	s_wait_loadcnt 0x0
	v_add_nc_u64_e32 v[22:23], s[14:15], v[20:21]
	s_mov_b32 s57, -1
	s_mov_b32 s49, -1
	s_delay_alu instid0(VALU_DEP_1) | instskip(SKIP_2) | instid1(SALU_CYCLE_1)
	v_add_nc_u64_e32 v[20:21], s[40:41], v[22:23]
	s_wait_kmcnt 0x0
	s_add_co_i32 s22, s22, -1
	s_cmp_lg_u32 s30, s22
	s_cbranch_scc0 .LBB133_16
; %bb.13:                               ;   in Loop: Header=BB133_3 Depth=1
	s_and_saveexec_b32 s49, s0
	s_cbranch_execz .LBB133_15
; %bb.14:                               ;   in Loop: Header=BB133_3 Depth=1
	v_lshl_add_u64 v[24:25], v[6:7], 2, v[20:21]
	flat_load_b32 v24, v[24:25]
	s_wait_loadcnt_dscnt 0x0
	ds_store_b32 v53, v24
.LBB133_15:                             ;   in Loop: Header=BB133_3 Depth=1
	s_wait_xcnt 0x0
	s_or_b32 exec_lo, exec_lo, s49
	s_mov_b32 s49, 0
.LBB133_16:                             ;   in Loop: Header=BB133_3 Depth=1
	s_delay_alu instid0(SALU_CYCLE_1)
	s_and_not1_b32 vcc_lo, exec_lo, s49
	s_cbranch_vccnz .LBB133_22
; %bb.17:                               ;   in Loop: Header=BB133_3 Depth=1
	s_and_saveexec_b32 s49, s0
	s_cbranch_execz .LBB133_21
; %bb.18:                               ;   in Loop: Header=BB133_3 Depth=1
	v_mov_b32_e32 v24, 0
	s_and_saveexec_b32 s50, s1
	s_cbranch_execz .LBB133_20
; %bb.19:                               ;   in Loop: Header=BB133_3 Depth=1
	v_lshl_add_u64 v[20:21], v[6:7], 2, v[20:21]
	flat_load_b32 v24, v[20:21]
.LBB133_20:                             ;   in Loop: Header=BB133_3 Depth=1
	s_wait_xcnt 0x0
	s_or_b32 exec_lo, exec_lo, s50
	s_wait_loadcnt_dscnt 0x0
	ds_store_b32 v53, v24
.LBB133_21:                             ;   in Loop: Header=BB133_3 Depth=1
	s_or_b32 exec_lo, exec_lo, s49
	s_mov_b32 s57, s20
	ds_store_2addr_b32 v54, v3, v3 offset1:16
	ds_store_2addr_b32 v55, v3, v3 offset1:16
.LBB133_22:                             ;   in Loop: Header=BB133_3 Depth=1
	v_add_nc_u64_e32 v[20:21], s[10:11], v[28:29]
	s_mul_i32 s50, s55, s48
	v_mov_b64_e32 v[34:35], 0
	s_ashr_i32 s51, s50, 31
	s_wait_dscnt 0x0
	s_lshl_b64 s[48:49], s[50:51], 2
	s_barrier_signal -1
	v_add_nc_u64_e32 v[30:31], s[42:43], v[20:21]
	s_barrier_wait -1
	s_delay_alu instid0(VALU_DEP_1)
	v_add_nc_u64_e32 v[38:39], s[48:49], v[30:31]
	s_and_saveexec_b32 s52, s57
	s_cbranch_execz .LBB133_24
; %bb.23:                               ;   in Loop: Header=BB133_3 Depth=1
	s_delay_alu instid0(VALU_DEP_1) | instskip(NEXT) | instid1(VALU_DEP_1)
	v_lshl_add_u64 v[20:21], v[4:5], 2, v[38:39]
	v_lshl_add_u64 v[24:25], s[24:25], 2, v[20:21]
	s_clause 0x1
	flat_load_b32 v34, v[20:21]
	flat_load_b32 v35, v[24:25]
.LBB133_24:                             ;   in Loop: Header=BB133_3 Depth=1
	s_wait_xcnt 0x0
	s_or_b32 exec_lo, exec_lo, s52
	s_cmp_lt_i32 s58, 1
	s_add_nc_u64 s[46:47], s[46:47], s[16:17]
	s_cbranch_scc1 .LBB133_35
; %bb.25:                               ;   in Loop: Header=BB133_3 Depth=1
	s_mul_u64 s[52:53], s[26:27], s[50:51]
	v_mov_b32_e32 v27, 0
	s_lshl_b64 s[52:53], s[52:53], 2
	s_delay_alu instid0(SALU_CYCLE_1) | instskip(SKIP_1) | instid1(SALU_CYCLE_1)
	v_add_nc_u64_e32 v[40:41], s[52:53], v[22:23]
	s_mul_u64 s[52:53], s[18:19], s[50:51]
	s_lshl_b64 s[52:53], s[52:53], 2
	s_cmp_eq_u32 s58, 1
	s_add_nc_u64 s[52:53], s[46:47], s[52:53]
	s_delay_alu instid0(VALU_DEP_1)
	v_lshl_add_u64 v[20:21], v[8:9], 2, v[40:41]
	flat_load_b32 v36, v[20:21]
	s_cbranch_scc1 .LBB133_36
; %bb.26:                               ;   in Loop: Header=BB133_3 Depth=1
	s_wait_xcnt 0x0
	v_add_nc_u64_e32 v[20:21], s[48:49], v[2:3]
	v_add_nc_u64_e32 v[24:25], s[48:49], v[18:19]
	;; [unrolled: 1-line block ×4, first 2 shown]
	s_mul_u64 s[50:51], s[38:39], s[50:51]
	s_delay_alu instid0(VALU_DEP_4) | instskip(NEXT) | instid1(VALU_DEP_4)
	v_mul_u64_e32 v[38:39], s[26:27], v[20:21]
	v_mul_u64_e32 v[40:41], s[26:27], v[24:25]
	v_mov_b32_e32 v20, 0
	v_mov_b64_e32 v[24:25], s[52:53]
	s_add_co_i32 s52, s58, -1
	s_delay_alu instid0(VALU_DEP_2)
	v_dual_mov_b32 v21, v20 :: v_dual_mov_b32 v26, v20
	v_mov_b32_e32 v27, v20
.LBB133_27:                             ;   Parent Loop BB133_3 Depth=1
                                        ; =>  This Inner Loop Header: Depth=2
	v_add_nc_u64_e32 v[28:29], v[22:23], v[40:41]
	v_add_nc_u64_e32 v[32:33], s[48:49], v[44:45]
	;; [unrolled: 1-line block ×3, first 2 shown]
	flat_load_b32 v46, v[28:29]
	s_wait_xcnt 0x0
	s_and_saveexec_b32 s53, s57
	s_cbranch_execz .LBB133_29
; %bb.28:                               ;   in Loop: Header=BB133_27 Depth=2
	flat_load_b32 v26, v[32:33] offset:64
	flat_load_b32 v27, v[48:49] offset:64
.LBB133_29:                             ;   in Loop: Header=BB133_27 Depth=2
	s_wait_xcnt 0x0
	s_or_b32 exec_lo, exec_lo, s53
	ds_load_b64 v[50:51], v56
	s_wait_loadcnt_dscnt 0x203
	v_mov_b64_e32 v[28:29], v[34:35]
	s_and_saveexec_b32 s53, s57
	s_cbranch_execz .LBB133_31
; %bb.30:                               ;   in Loop: Header=BB133_27 Depth=2
	flat_load_b32 v28, v[32:33] offset:128
	flat_load_b32 v29, v[48:49] offset:128
.LBB133_31:                             ;   in Loop: Header=BB133_27 Depth=2
	s_wait_xcnt 0x0
	s_or_b32 exec_lo, exec_lo, s53
	v_add_nc_u64_e32 v[32:33], v[22:23], v[38:39]
	s_wait_loadcnt_dscnt 0x100
	v_fma_f32 v48, v26, v50, 0
	s_wait_loadcnt 0x0
	s_delay_alu instid0(VALU_DEP_1)
	v_dual_fmac_f32 v48, v27, v51 :: v_dual_add_nc_u32 v49, v0, v52
	flat_load_b32 v32, v[32:33]
	s_wait_xcnt 0x0
	v_fma_f32 v33, v34, v50, 0
	s_wait_loadcnt_dscnt 0x0
	s_barrier_signal -1
	s_barrier_wait -1
	s_delay_alu instid0(VALU_DEP_1)
	v_fmac_f32_e32 v33, v35, v51
	ds_store_2addr_b32 v49, v33, v48 offset1:16
	s_wait_dscnt 0x0
	s_barrier_signal -1
	s_barrier_wait -1
	s_and_saveexec_b32 s53, s0
	s_cbranch_execz .LBB133_33
; %bb.32:                               ;   in Loop: Header=BB133_27 Depth=2
	ds_load_2addr_b32 v[48:49], v47 offset1:32
	ds_load_2addr_b32 v[50:51], v47 offset0:64 offset1:96
	ds_load_2addr_b32 v[74:75], v47 offset0:128 offset1:160
	v_add_nc_u32_e32 v73, 0x400, v47
	s_wait_dscnt 0x2
	v_add_f32_e32 v33, 0, v48
	s_delay_alu instid0(VALU_DEP_1) | instskip(SKIP_3) | instid1(VALU_DEP_1)
	v_add_f32_e32 v33, v33, v49
	ds_load_2addr_b32 v[48:49], v47 offset0:192 offset1:224
	s_wait_dscnt 0x2
	v_add_f32_e32 v33, v33, v50
	v_add_f32_e32 v33, v33, v51
	ds_load_2addr_b32 v[50:51], v73 offset1:32
	s_wait_dscnt 0x2
	v_add_f32_e32 v33, v33, v74
	s_delay_alu instid0(VALU_DEP_1) | instskip(SKIP_3) | instid1(VALU_DEP_1)
	v_add_f32_e32 v33, v33, v75
	ds_load_2addr_b32 v[74:75], v73 offset0:64 offset1:96
	s_wait_dscnt 0x2
	v_add_f32_e32 v33, v33, v48
	v_add_f32_e32 v33, v33, v49
	ds_load_2addr_b32 v[48:49], v73 offset0:128 offset1:160
	s_wait_dscnt 0x2
	v_add_f32_e32 v33, v33, v50
	s_delay_alu instid0(VALU_DEP_1) | instskip(SKIP_3) | instid1(VALU_DEP_1)
	v_add_f32_e32 v33, v33, v51
	ds_load_2addr_b32 v[50:51], v73 offset0:192 offset1:224
	s_wait_dscnt 0x2
	v_add_f32_e32 v33, v33, v74
	v_add_f32_e32 v33, v33, v75
	s_wait_dscnt 0x1
	s_delay_alu instid0(VALU_DEP_1) | instskip(NEXT) | instid1(VALU_DEP_1)
	v_add_f32_e32 v33, v33, v48
	v_add_f32_e32 v33, v33, v49
	v_lshl_add_u64 v[48:49], v[12:13], 2, v[24:25]
	v_add_nc_u64_e32 v[24:25], s[36:37], v[24:25]
	s_wait_dscnt 0x0
	s_delay_alu instid0(VALU_DEP_3) | instskip(NEXT) | instid1(VALU_DEP_1)
	v_add_f32_e32 v33, v33, v50
	v_add_f32_e32 v33, v33, v51
	s_delay_alu instid0(VALU_DEP_1)
	v_mul_f32_e32 v33, v1, v33
	flat_atomic_add_f32 v[48:49], v33 scope:SCOPE_DEV
.LBB133_33:                             ;   in Loop: Header=BB133_27 Depth=2
	s_wait_xcnt 0x0
	s_or_b32 exec_lo, exec_lo, s53
	v_pk_fma_f32 v[20:21], v[36:37], v[34:35], v[20:21] op_sel_hi:[0,1,1]
	v_add_nc_u64_e32 v[42:43], 0x80, v[42:43]
	v_add_nc_u64_e32 v[44:45], 0x80, v[44:45]
	;; [unrolled: 1-line block ×4, first 2 shown]
	v_pk_fma_f32 v[20:21], v[46:47], v[26:27], v[20:21] op_sel_hi:[0,1,1]
	s_add_co_i32 s52, s52, -1
	s_delay_alu instid0(SALU_CYCLE_1)
	s_cmp_eq_u32 s52, 0
	s_cbranch_scc1 .LBB133_37
; %bb.34:                               ;   in Loop: Header=BB133_27 Depth=2
	v_mov_b32_e32 v36, v32
	v_mov_b64_e32 v[34:35], v[28:29]
	s_branch .LBB133_27
.LBB133_35:                             ;   in Loop: Header=BB133_3 Depth=1
	v_mov_b32_e32 v21, 0
	s_delay_alu instid0(VALU_DEP_1)
	v_mov_b32_e32 v20, v21
	s_branch .LBB133_42
.LBB133_36:                             ;   in Loop: Header=BB133_3 Depth=1
	v_mov_b64_e32 v[24:25], s[52:53]
	s_wait_loadcnt_dscnt 0x101
	v_mov_b64_e32 v[28:29], v[34:35]
	s_wait_xcnt 0x0
	v_dual_mov_b32 v26, v27 :: v_dual_mov_b32 v21, v27
	s_wait_loadcnt_dscnt 0x0
	v_dual_mov_b32 v20, v27 :: v_dual_mov_b32 v32, v36
	v_lshl_add_u64 v[22:23], v[10:11], 2, v[40:41]
	flat_load_b32 v33, v[22:23]
	s_wait_xcnt 0x0
	s_and_saveexec_b32 s48, s57
	s_cbranch_execnz .LBB133_38
	s_branch .LBB133_39
.LBB133_37:                             ;   in Loop: Header=BB133_3 Depth=1
	s_delay_alu instid0(VALU_DEP_2) | instskip(SKIP_1) | instid1(VALU_DEP_2)
	v_add_nc_u64_e32 v[40:41], s[50:51], v[22:23]
	v_add_nc_u64_e32 v[38:39], s[48:49], v[30:31]
	v_lshl_add_u64 v[22:23], v[10:11], 2, v[40:41]
	flat_load_b32 v33, v[22:23]
	s_wait_xcnt 0x0
	s_and_saveexec_b32 s48, s57
	s_cbranch_execz .LBB133_39
.LBB133_38:                             ;   in Loop: Header=BB133_3 Depth=1
	v_lshl_add_u64 v[22:23], v[4:5], 2, v[38:39]
	s_delay_alu instid0(VALU_DEP_1)
	v_lshl_add_u64 v[30:31], s[24:25], 2, v[22:23]
	s_clause 0x1
	flat_load_b32 v26, v[22:23] offset:64
	flat_load_b32 v27, v[30:31] offset:64
.LBB133_39:                             ;   in Loop: Header=BB133_3 Depth=1
	s_wait_xcnt 0x0
	s_or_b32 exec_lo, exec_lo, s48
	ds_load_b64 v[22:23], v56
	s_wait_storecnt 0x0
	s_wait_loadcnt_dscnt 0x0
	s_barrier_signal -1
	s_barrier_wait -1
	v_fma_f32 v30, v28, v22, 0
	v_fma_f32 v22, v26, v22, 0
	s_delay_alu instid0(VALU_DEP_2) | instskip(NEXT) | instid1(VALU_DEP_2)
	v_dual_fmac_f32 v30, v29, v23 :: v_dual_add_nc_u32 v31, v0, v52
	v_fmac_f32_e32 v22, v27, v23
	ds_store_2addr_b32 v31, v30, v22 offset1:16
	s_wait_dscnt 0x0
	s_barrier_signal -1
	s_barrier_wait -1
	s_and_saveexec_b32 s48, s0
	s_cbranch_execz .LBB133_41
; %bb.40:                               ;   in Loop: Header=BB133_3 Depth=1
	ds_load_2addr_b32 v[22:23], v47 offset1:32
	ds_load_2addr_b32 v[30:31], v47 offset0:64 offset1:96
	ds_load_2addr_b32 v[34:35], v47 offset0:128 offset1:160
	s_wait_dscnt 0x2
	v_add_f32_e32 v22, 0, v22
	s_delay_alu instid0(VALU_DEP_1) | instskip(SKIP_4) | instid1(VALU_DEP_2)
	v_add_f32_e32 v36, v22, v23
	ds_load_2addr_b32 v[22:23], v47 offset0:192 offset1:224
	s_wait_dscnt 0x2
	v_add_f32_e32 v30, v36, v30
	v_add_nc_u32_e32 v36, 0x400, v47
	v_add_f32_e32 v38, v30, v31
	ds_load_2addr_b32 v[30:31], v36 offset1:32
	s_wait_dscnt 0x2
	v_add_f32_e32 v34, v38, v34
	s_delay_alu instid0(VALU_DEP_1) | instskip(SKIP_3) | instid1(VALU_DEP_1)
	v_add_f32_e32 v38, v34, v35
	ds_load_2addr_b32 v[34:35], v36 offset0:64 offset1:96
	s_wait_dscnt 0x2
	v_add_f32_e32 v22, v38, v22
	v_add_f32_e32 v22, v22, v23
	s_wait_dscnt 0x1
	s_delay_alu instid0(VALU_DEP_1) | instskip(SKIP_3) | instid1(VALU_DEP_1)
	v_add_f32_e32 v30, v22, v30
	ds_load_2addr_b32 v[22:23], v36 offset0:128 offset1:160
	v_add_f32_e32 v30, v30, v31
	s_wait_dscnt 0x1
	v_add_f32_e32 v34, v30, v34
	ds_load_2addr_b32 v[30:31], v36 offset0:192 offset1:224
	v_add_f32_e32 v34, v34, v35
	s_wait_dscnt 0x1
	s_delay_alu instid0(VALU_DEP_1) | instskip(NEXT) | instid1(VALU_DEP_1)
	v_add_f32_e32 v22, v34, v22
	v_add_f32_e32 v22, v22, v23
	s_wait_dscnt 0x0
	s_delay_alu instid0(VALU_DEP_1) | instskip(NEXT) | instid1(VALU_DEP_1)
	v_add_f32_e32 v22, v22, v30
	v_add_f32_e32 v30, v22, v31
	v_lshl_add_u64 v[22:23], v[12:13], 2, v[24:25]
	s_delay_alu instid0(VALU_DEP_2)
	v_mul_f32_e32 v24, v1, v30
	flat_atomic_add_f32 v[22:23], v24 scope:SCOPE_DEV
.LBB133_41:                             ;   in Loop: Header=BB133_3 Depth=1
	s_wait_xcnt 0x0
	s_or_b32 exec_lo, exec_lo, s48
	v_mul_f32_e32 v22, v33, v26
	v_mov_b32_e32 v26, v29
	s_delay_alu instid0(VALU_DEP_1) | instskip(SKIP_1) | instid1(VALU_DEP_2)
	v_pk_mul_f32 v[24:25], v[32:33], v[26:27]
	v_mul_f32_e32 v26, v32, v28
	v_dual_mov_b32 v27, v24 :: v_dual_mov_b32 v23, v25
	s_delay_alu instid0(VALU_DEP_1) | instskip(NEXT) | instid1(VALU_DEP_1)
	v_pk_add_f32 v[20:21], v[20:21], v[26:27]
	v_pk_add_f32 v[20:21], v[20:21], v[22:23]
.LBB133_42:                             ;   in Loop: Header=BB133_3 Depth=1
	s_cmp_lt_u32 s30, s22
	ds_store_2addr_b32 v55, v20, v21 offset1:16
	s_cselect_b32 s22, -1, 0
	s_wait_storecnt 0x0
	s_wait_loadcnt_dscnt 0x0
	s_or_b32 s22, s1, s22
	s_barrier_signal -1
	s_and_b32 s22, s0, s22
	s_barrier_wait -1
	s_and_b32 exec_lo, exec_lo, s22
	s_cbranch_execz .LBB133_2
; %bb.43:                               ;   in Loop: Header=BB133_3 Depth=1
	ds_load_b32 v20, v57
	ds_load_b32 v21, v58
	;; [unrolled: 1-line block ×8, first 2 shown]
	s_add_nc_u64 s[46:47], s[46:47], s[44:45]
	s_wait_dscnt 0x7
	v_add_f32_e32 v20, 0, v20
	s_wait_dscnt 0x6
	s_delay_alu instid0(VALU_DEP_1)
	v_add_f32_e32 v20, v20, v21
	ds_load_b32 v21, v65
	s_wait_dscnt 0x6
	v_add_f32_e32 v20, v20, v22
	ds_load_b32 v22, v66
	s_wait_dscnt 0x6
	;; [unrolled: 3-line block ×3, first 2 shown]
	v_add_f32_e32 v20, v20, v24
	s_wait_dscnt 0x5
	s_delay_alu instid0(VALU_DEP_1) | instskip(SKIP_1) | instid1(VALU_DEP_1)
	v_add_f32_e32 v20, v20, v25
	s_wait_dscnt 0x4
	v_add_f32_e32 v20, v20, v26
	s_wait_dscnt 0x3
	s_delay_alu instid0(VALU_DEP_1)
	v_add_f32_e32 v20, v20, v27
	ds_load_b32 v24, v68
	ds_load_b32 v25, v69
	;; [unrolled: 1-line block ×5, first 2 shown]
	s_wait_dscnt 0x7
	v_add_f32_e32 v20, v20, v21
	s_wait_dscnt 0x6
	s_delay_alu instid0(VALU_DEP_1) | instskip(SKIP_1) | instid1(VALU_DEP_1)
	v_add_f32_e32 v20, v20, v22
	s_wait_dscnt 0x5
	v_add_f32_e32 v20, v20, v23
	s_wait_dscnt 0x4
	s_delay_alu instid0(VALU_DEP_1) | instskip(SKIP_1) | instid1(VALU_DEP_1)
	v_add_f32_e32 v20, v20, v24
	;; [unrolled: 5-line block ×3, first 2 shown]
	s_wait_dscnt 0x1
	v_add_f32_e32 v20, v20, v27
	s_wait_dscnt 0x0
	s_delay_alu instid0(VALU_DEP_1) | instskip(SKIP_1) | instid1(VALU_DEP_2)
	v_add_f32_e32 v22, v20, v28
	v_lshl_add_u64 v[20:21], v[12:13], 2, s[46:47]
	v_mul_f32_e32 v1, v1, v22
	flat_atomic_add_f32 v[20:21], v1 scope:SCOPE_DEV
	s_branch .LBB133_2
.LBB133_44:
	s_sendmsg sendmsg(MSG_DEALLOC_VGPRS)
	s_endpgm
	.section	.rodata,"a",@progbits
	.p2align	6, 0x0
	.amdhsa_kernel _ZL62rocblas_symv_kernel_upper_double_buffered_non_diagonal_genericILi32ELi8ELi2ELi0E24rocblas_internal_val_ptrIfEPKPKfPKPfEvbiT3_lT4_lllSA_lllT5_lllii
		.amdhsa_group_segment_fixed_size 6272
		.amdhsa_private_segment_fixed_size 0
		.amdhsa_kernarg_size 384
		.amdhsa_user_sgpr_count 4
		.amdhsa_user_sgpr_dispatch_ptr 1
		.amdhsa_user_sgpr_queue_ptr 0
		.amdhsa_user_sgpr_kernarg_segment_ptr 1
		.amdhsa_user_sgpr_dispatch_id 0
		.amdhsa_user_sgpr_kernarg_preload_length 0
		.amdhsa_user_sgpr_kernarg_preload_offset 0
		.amdhsa_user_sgpr_private_segment_size 0
		.amdhsa_wavefront_size32 1
		.amdhsa_uses_dynamic_stack 0
		.amdhsa_enable_private_segment 0
		.amdhsa_system_sgpr_workgroup_id_x 1
		.amdhsa_system_sgpr_workgroup_id_y 1
		.amdhsa_system_sgpr_workgroup_id_z 1
		.amdhsa_system_sgpr_workgroup_info 0
		.amdhsa_system_vgpr_workitem_id 2
		.amdhsa_next_free_vgpr 76
		.amdhsa_next_free_sgpr 59
		.amdhsa_named_barrier_count 0
		.amdhsa_reserve_vcc 1
		.amdhsa_float_round_mode_32 0
		.amdhsa_float_round_mode_16_64 0
		.amdhsa_float_denorm_mode_32 3
		.amdhsa_float_denorm_mode_16_64 3
		.amdhsa_fp16_overflow 0
		.amdhsa_memory_ordered 1
		.amdhsa_forward_progress 1
		.amdhsa_inst_pref_size 26
		.amdhsa_round_robin_scheduling 0
		.amdhsa_exception_fp_ieee_invalid_op 0
		.amdhsa_exception_fp_denorm_src 0
		.amdhsa_exception_fp_ieee_div_zero 0
		.amdhsa_exception_fp_ieee_overflow 0
		.amdhsa_exception_fp_ieee_underflow 0
		.amdhsa_exception_fp_ieee_inexact 0
		.amdhsa_exception_int_div_zero 0
	.end_amdhsa_kernel
	.section	.text._ZL62rocblas_symv_kernel_upper_double_buffered_non_diagonal_genericILi32ELi8ELi2ELi0E24rocblas_internal_val_ptrIfEPKPKfPKPfEvbiT3_lT4_lllSA_lllT5_lllii,"axG",@progbits,_ZL62rocblas_symv_kernel_upper_double_buffered_non_diagonal_genericILi32ELi8ELi2ELi0E24rocblas_internal_val_ptrIfEPKPKfPKPfEvbiT3_lT4_lllSA_lllT5_lllii,comdat
.Lfunc_end133:
	.size	_ZL62rocblas_symv_kernel_upper_double_buffered_non_diagonal_genericILi32ELi8ELi2ELi0E24rocblas_internal_val_ptrIfEPKPKfPKPfEvbiT3_lT4_lllSA_lllT5_lllii, .Lfunc_end133-_ZL62rocblas_symv_kernel_upper_double_buffered_non_diagonal_genericILi32ELi8ELi2ELi0E24rocblas_internal_val_ptrIfEPKPKfPKPfEvbiT3_lT4_lllSA_lllT5_lllii
                                        ; -- End function
	.set _ZL62rocblas_symv_kernel_upper_double_buffered_non_diagonal_genericILi32ELi8ELi2ELi0E24rocblas_internal_val_ptrIfEPKPKfPKPfEvbiT3_lT4_lllSA_lllT5_lllii.num_vgpr, 76
	.set _ZL62rocblas_symv_kernel_upper_double_buffered_non_diagonal_genericILi32ELi8ELi2ELi0E24rocblas_internal_val_ptrIfEPKPKfPKPfEvbiT3_lT4_lllSA_lllT5_lllii.num_agpr, 0
	.set _ZL62rocblas_symv_kernel_upper_double_buffered_non_diagonal_genericILi32ELi8ELi2ELi0E24rocblas_internal_val_ptrIfEPKPKfPKPfEvbiT3_lT4_lllSA_lllT5_lllii.numbered_sgpr, 59
	.set _ZL62rocblas_symv_kernel_upper_double_buffered_non_diagonal_genericILi32ELi8ELi2ELi0E24rocblas_internal_val_ptrIfEPKPKfPKPfEvbiT3_lT4_lllSA_lllT5_lllii.num_named_barrier, 0
	.set _ZL62rocblas_symv_kernel_upper_double_buffered_non_diagonal_genericILi32ELi8ELi2ELi0E24rocblas_internal_val_ptrIfEPKPKfPKPfEvbiT3_lT4_lllSA_lllT5_lllii.private_seg_size, 0
	.set _ZL62rocblas_symv_kernel_upper_double_buffered_non_diagonal_genericILi32ELi8ELi2ELi0E24rocblas_internal_val_ptrIfEPKPKfPKPfEvbiT3_lT4_lllSA_lllT5_lllii.uses_vcc, 1
	.set _ZL62rocblas_symv_kernel_upper_double_buffered_non_diagonal_genericILi32ELi8ELi2ELi0E24rocblas_internal_val_ptrIfEPKPKfPKPfEvbiT3_lT4_lllSA_lllT5_lllii.uses_flat_scratch, 1
	.set _ZL62rocblas_symv_kernel_upper_double_buffered_non_diagonal_genericILi32ELi8ELi2ELi0E24rocblas_internal_val_ptrIfEPKPKfPKPfEvbiT3_lT4_lllSA_lllT5_lllii.has_dyn_sized_stack, 0
	.set _ZL62rocblas_symv_kernel_upper_double_buffered_non_diagonal_genericILi32ELi8ELi2ELi0E24rocblas_internal_val_ptrIfEPKPKfPKPfEvbiT3_lT4_lllSA_lllT5_lllii.has_recursion, 0
	.set _ZL62rocblas_symv_kernel_upper_double_buffered_non_diagonal_genericILi32ELi8ELi2ELi0E24rocblas_internal_val_ptrIfEPKPKfPKPfEvbiT3_lT4_lllSA_lllT5_lllii.has_indirect_call, 0
	.section	.AMDGPU.csdata,"",@progbits
; Kernel info:
; codeLenInByte = 3228
; TotalNumSgprs: 61
; NumVgprs: 76
; ScratchSize: 0
; MemoryBound: 0
; FloatMode: 240
; IeeeMode: 1
; LDSByteSize: 6272 bytes/workgroup (compile time only)
; SGPRBlocks: 0
; VGPRBlocks: 4
; NumSGPRsForWavesPerEU: 61
; NumVGPRsForWavesPerEU: 76
; NamedBarCnt: 0
; Occupancy: 12
; WaveLimiterHint : 1
; COMPUTE_PGM_RSRC2:SCRATCH_EN: 0
; COMPUTE_PGM_RSRC2:USER_SGPR: 4
; COMPUTE_PGM_RSRC2:TRAP_HANDLER: 0
; COMPUTE_PGM_RSRC2:TGID_X_EN: 1
; COMPUTE_PGM_RSRC2:TGID_Y_EN: 1
; COMPUTE_PGM_RSRC2:TGID_Z_EN: 1
; COMPUTE_PGM_RSRC2:TIDIG_COMP_CNT: 2
	.section	.text._ZL62rocblas_symv_kernel_upper_double_buffered_non_diagonal_genericILi32ELi8ELi2ELi1E24rocblas_internal_val_ptrIfEPKPKfPKPfEvbiT3_lT4_lllSA_lllT5_lllii,"axG",@progbits,_ZL62rocblas_symv_kernel_upper_double_buffered_non_diagonal_genericILi32ELi8ELi2ELi1E24rocblas_internal_val_ptrIfEPKPKfPKPfEvbiT3_lT4_lllSA_lllT5_lllii,comdat
	.globl	_ZL62rocblas_symv_kernel_upper_double_buffered_non_diagonal_genericILi32ELi8ELi2ELi1E24rocblas_internal_val_ptrIfEPKPKfPKPfEvbiT3_lT4_lllSA_lllT5_lllii ; -- Begin function _ZL62rocblas_symv_kernel_upper_double_buffered_non_diagonal_genericILi32ELi8ELi2ELi1E24rocblas_internal_val_ptrIfEPKPKfPKPfEvbiT3_lT4_lllSA_lllT5_lllii
	.p2align	8
	.type	_ZL62rocblas_symv_kernel_upper_double_buffered_non_diagonal_genericILi32ELi8ELi2ELi1E24rocblas_internal_val_ptrIfEPKPKfPKPfEvbiT3_lT4_lllSA_lllT5_lllii,@function
_ZL62rocblas_symv_kernel_upper_double_buffered_non_diagonal_genericILi32ELi8ELi2ELi1E24rocblas_internal_val_ptrIfEPKPKfPKPfEvbiT3_lT4_lllSA_lllT5_lllii: ; @_ZL62rocblas_symv_kernel_upper_double_buffered_non_diagonal_genericILi32ELi8ELi2ELi1E24rocblas_internal_val_ptrIfEPKPKfPKPfEvbiT3_lT4_lllSA_lllT5_lllii
; %bb.0:
	s_load_b64 s[12:13], s[0:1], 0x4
	s_load_b256 s[4:11], s[2:3], 0x8
	v_bfe_u32 v1, v0, 10, 10
	s_load_b64 s[20:21], s[2:3], 0x78
	v_and_b32_e32 v2, 0x3ff, v0
	s_wait_xcnt 0x0
	s_lshr_b32 s1, ttmp7, 16
	v_bfe_u32 v0, v0, 20, 10
	s_mov_b32 s23, 0
	s_wait_kmcnt 0x0
	v_mul_u32_u24_e32 v3, s13, v1
	s_lshr_b32 s0, s12, 16
	v_dual_mov_b32 v4, s4 :: v_dual_mov_b32 v5, s5
	s_mul_i32 s0, s0, s13
	s_bfe_u32 s5, ttmp6, 0x40008
	v_mad_u32 v3, s0, v2, v3
	s_bfe_u32 s0, ttmp6, 0x40014
	s_delay_alu instid0(SALU_CYCLE_1) | instskip(NEXT) | instid1(SALU_CYCLE_1)
	s_add_co_i32 s0, s0, 1
	s_mul_i32 s4, s1, s0
	s_getreg_b32 s0, hwreg(HW_REG_IB_STS2, 6, 4)
	s_add_co_i32 s5, s5, s4
	s_cmp_eq_u32 s0, 0
	s_cselect_b32 s4, s1, s5
	s_delay_alu instid0(VALU_DEP_1)
	v_add_lshl_u32 v0, v3, v0, 3
	s_cmp_ge_u32 s4, s21
	ds_store_b64 v0, v[4:5] offset:4224
	s_cbranch_scc1 .LBB134_77
; %bb.1:
	s_clause 0x1
	s_load_b32 s1, s[2:3], 0x0
	s_load_b64 s[24:25], s[2:3], 0x28
	v_add_nc_u32_e32 v47, 0x1080, v0
	v_lshl_add_u32 v0, v1, 5, v2
	s_clause 0x3
	s_load_b128 s[12:15], s[2:3], 0x38
	s_load_b64 s[26:27], s[2:3], 0x48
	s_load_b64 s[28:29], s[2:3], 0x58
	s_load_b128 s[16:19], s[2:3], 0x60
	s_add_nc_u64 s[30:31], s[2:3], 0x80
	v_dual_mov_b32 v3, 0 :: v_dual_bitop2_b32 v8, 15, v2 bitop3:0x40
	v_lshrrev_b32_e32 v12, 4, v0
	v_lshl_add_u32 v20, v2, 6, 0x800
	s_delay_alu instid0(VALU_DEP_3) | instskip(NEXT) | instid1(VALU_DEP_3)
	v_dual_mov_b32 v9, v3 :: v_dual_lshlrev_b32 v52, 2, v2
	v_dual_mov_b32 v11, v3 :: v_dual_lshlrev_b32 v53, 7, v12
	v_lshlrev_b32_e32 v10, 1, v12
	v_dual_lshlrev_b32 v0, 2, v8 :: v_dual_add_nc_u32 v17, 5, v2
	v_dual_add_nc_u32 v18, 6, v2 :: v_dual_add_nc_u32 v23, 13, v2
	s_wait_kmcnt 0x0
	s_bitcmp1_b32 s1, 0
	v_mad_nc_u64_u32 v[4:5], s24, v10, v[8:9]
	s_cselect_b32 s1, -1, 0
	s_bfe_u32 s3, ttmp6, 0x4000c
	s_bfe_u32 s22, ttmp6, 0x40010
	s_and_b32 s5, ttmp7, 0xffff
	s_add_co_i32 s3, s3, 1
	s_add_co_i32 s22, s22, 1
	s_and_b32 s2, ttmp6, 15
	s_bfe_u32 s34, ttmp6, 0x40004
	s_xor_b32 s33, s1, -1
	s_mul_i32 s1, ttmp9, s3
	s_mul_i32 s3, s5, s22
	s_add_co_i32 s2, s2, s1
	s_add_co_i32 s1, s34, s3
	s_cmp_eq_u32 s0, 0
	v_mad_u32 v5, s25, v10, v5
	s_cselect_b32 s34, ttmp9, s2
	s_cselect_b32 s56, s5, s1
	s_lshl_b32 s40, s34, 5
	s_lshl_b32 s57, s56, 5
	s_ashr_i32 s41, s40, 31
	s_cmp_lg_u32 s34, 0
	v_or_b32_e32 v10, 16, v8
	s_cselect_b32 s58, -1, 0
	s_lshr_b32 s0, s20, 31
	v_mul_u64_e32 v[6:7], s[26:27], v[2:3]
	s_add_co_i32 s0, s20, s0
	v_lshlrev_b32_e32 v14, 3, v12
	s_ashr_i32 s3, s0, 1
	v_cmp_eq_u32_e64 s0, 0, v1
	v_or_b32_e32 v1, 0x800, v0
	v_add_nc_u32_e32 v15, 2, v2
	v_add_nc_u32_e32 v57, 0x1000, v14
	v_cmp_le_i32_e64 s2, s3, v12
	v_cmp_eq_u32_e64 s3, s3, v12
	v_dual_add_nc_u32 v56, v1, v53 :: v_dual_add_nc_u32 v1, 1, v2
	v_dual_add_nc_u32 v16, 4, v2 :: v_dual_bitop2_b32 v58, v20, v0 bitop3:0x54
	v_or_b32_e32 v55, v0, v53
	v_mul_u64_e32 v[8:9], s[26:27], v[8:9]
	s_delay_alu instid0(VALU_DEP_4)
	v_and_b32_e32 v1, 15, v1
	v_mul_u64_e32 v[10:11], s[26:27], v[10:11]
	v_mul_u64_e32 v[12:13], s[18:19], v[2:3]
	s_lshl_b64 s[10:11], s[10:11], 2
	v_cmp_gt_i32_e64 s1, s20, v2
	v_lshl_or_b32 v59, v1, 2, v20
	v_dual_add_nc_u32 v15, 3, v2 :: v_dual_bitop2_b32 v1, 15, v15 bitop3:0x40
	v_or_b32_e32 v54, 0x1000, v52
	s_mul_u64 s[44:45], s[24:25], s[40:41]
	s_mul_u64 s[42:43], s[26:27], s[40:41]
	s_delay_alu instid0(VALU_DEP_2)
	v_lshl_or_b32 v60, v1, 2, v20
	v_and_b32_e32 v1, 15, v15
	v_and_b32_e32 v15, 15, v16
	;; [unrolled: 1-line block ×4, first 2 shown]
	v_add_nc_u32_e32 v18, 7, v2
	v_lshl_or_b32 v61, v1, 2, v20
	s_mul_u64 s[46:47], s[18:19], s[40:41]
	s_lshl_b64 s[36:37], s[26:27], 7
	v_lshl_or_b32 v64, v17, 2, v20
	v_and_b32_e32 v1, 15, v18
	v_add_nc_u32_e32 v17, 9, v2
	v_lshl_or_b32 v62, v15, 2, v20
	v_dual_mov_b32 v15, v3 :: v_dual_add_nc_u32 v18, 10, v2
	v_lshl_or_b32 v63, v16, 2, v20
	v_bitop3_b32 v16, v2, 8, 15 bitop3:0x6c
	v_lshl_or_b32 v65, v1, 2, v20
	v_dual_add_nc_u32 v17, 11, v2 :: v_dual_bitop2_b32 v1, 15, v17 bitop3:0x40
	v_lshl_add_u64 v[14:15], s[40:41], 2, v[14:15]
	s_delay_alu instid0(VALU_DEP_4) | instskip(SKIP_1) | instid1(VALU_DEP_4)
	v_lshl_or_b32 v66, v16, 2, v20
	v_and_b32_e32 v16, 15, v18
	v_dual_add_nc_u32 v18, 12, v2 :: v_dual_bitop2_b32 v21, 15, v17 bitop3:0x40
	v_lshl_or_b32 v67, v1, 2, v20
	v_or_b32_e32 v1, 4, v14
	s_delay_alu instid0(VALU_DEP_4) | instskip(NEXT) | instid1(VALU_DEP_4)
	v_lshl_or_b32 v68, v16, 2, v20
	v_and_b32_e32 v22, 15, v18
	v_mul_lo_u32 v15, s24, v15
	v_mul_lo_u32 v25, s25, v14
	v_mad_nc_u64_u32 v[18:19], s24, v14, s[10:11]
	v_lshl_or_b32 v69, v21, 2, v20
	v_mov_b32_e32 v21, v3
	v_mul_lo_u32 v24, s25, v1
	v_mad_nc_u64_u32 v[16:17], s24, v1, s[10:11]
	v_dual_add_nc_u32 v14, 14, v2 :: v_dual_bitop2_b32 v1, 15, v23 bitop3:0x40
	v_add_nc_u32_e32 v2, -1, v2
	v_lshl_or_b32 v70, v22, 2, v20
	s_lshl_b64 s[38:39], s[18:19], 7
	s_delay_alu instid0(VALU_DEP_3)
	v_and_b32_e32 v14, 15, v14
	v_lshl_or_b32 v71, v1, 2, v20
	v_mov_b32_e32 v1, v3
	v_add3_u32 v19, v25, v19, v15
	v_and_b32_e32 v2, 15, v2
	v_add3_u32 v17, v24, v17, v15
	v_lshl_or_b32 v72, v14, 2, v20
	s_mov_b32 s35, s23
	s_lshl_b64 s[40:41], s[26:27], 2
	v_lshl_or_b32 v73, v2, 2, v20
	v_add_nc_u64_e32 v[14:15], v[16:17], v[0:1]
	v_add_nc_u64_e32 v[16:17], v[18:19], v[0:1]
	v_or_b32_e32 v18, 0x80, v0
	v_dual_mov_b32 v19, v3 :: v_dual_bitop2_b32 v20, 64, v0 bitop3:0x54
	s_lshl_b64 s[14:15], s[14:15], 2
	s_lshl_b64 s[42:43], s[42:43], 2
	;; [unrolled: 1-line block ×5, first 2 shown]
	s_branch .LBB134_3
.LBB134_2:                              ;   in Loop: Header=BB134_3 Depth=1
	s_wait_xcnt 0x0
	s_or_b32 exec_lo, exec_lo, s5
	s_add_co_i32 s4, s4, 0x10000
	s_delay_alu instid0(SALU_CYCLE_1)
	s_cmp_lt_u32 s4, s21
	s_cbranch_scc0 .LBB134_77
.LBB134_3:                              ; =>This Loop Header: Depth=1
                                        ;     Child Loop BB134_27 Depth 2
	s_and_b32 vcc_lo, exec_lo, s33
	s_mov_b32 s5, -1
                                        ; implicit-def: $vgpr74
	s_cbranch_vccz .LBB134_5
; %bb.4:                                ;   in Loop: Header=BB134_3 Depth=1
	s_wait_loadcnt 0x0
	ds_load_b64 v[22:23], v47
	s_mov_b32 s5, s23
	s_delay_alu instid0(SALU_CYCLE_1)
	s_mul_u64 s[48:49], s[6:7], s[4:5]
	s_mov_b32 s5, 0
	s_wait_dscnt 0x0
	v_lshl_add_u64 v[22:23], s[48:49], 2, v[22:23]
	flat_load_b32 v74, v[22:23]
.LBB134_5:                              ;   in Loop: Header=BB134_3 Depth=1
	s_and_not1_b32 vcc_lo, exec_lo, s5
	s_cbranch_vccnz .LBB134_7
; %bb.6:                                ;   in Loop: Header=BB134_3 Depth=1
	s_wait_loadcnt_dscnt 0x0
	ds_load_b32 v74, v47
.LBB134_7:                              ;   in Loop: Header=BB134_3 Depth=1
	s_mov_b32 s5, exec_lo
	s_wait_loadcnt_dscnt 0x0
	s_wait_xcnt 0x0
	v_cmpx_neq_f32_e32 0, v74
	s_cbranch_execz .LBB134_2
; %bb.8:                                ;   in Loop: Header=BB134_3 Depth=1
	s_and_not1_b32 vcc_lo, exec_lo, s58
	s_cbranch_vccnz .LBB134_2
; %bb.9:                                ;   in Loop: Header=BB134_3 Depth=1
	v_mov_b32_e32 v1, s4
	s_clause 0x1
	global_load_b64 v[32:33], v1, s[8:9] scale_offset
	global_load_b64 v[22:23], v1, s[12:13] scale_offset
	s_load_b32 s20, s[30:31], 0x4
	s_wait_kmcnt 0x0
	s_cvt_f32_u32 s22, s20
	s_sub_co_i32 s48, 0, s20
	s_delay_alu instid0(SALU_CYCLE_2) | instskip(SKIP_1) | instid1(TRANS32_DEP_1)
	v_rcp_iflag_f32_e32 v1, s22
	v_nop
	v_readfirstlane_b32 s22, v1
	s_mul_f32 s22, s22, 0x4f7ffffe
	s_delay_alu instid0(SALU_CYCLE_3) | instskip(NEXT) | instid1(SALU_CYCLE_3)
	s_cvt_u32_f32 s22, s22
	s_mul_i32 s48, s48, s22
	s_delay_alu instid0(SALU_CYCLE_1) | instskip(NEXT) | instid1(SALU_CYCLE_1)
	s_mul_hi_u32 s48, s22, s48
	s_add_co_i32 s22, s22, s48
	s_delay_alu instid0(SALU_CYCLE_1) | instskip(NEXT) | instid1(SALU_CYCLE_1)
	s_mul_u64 s[48:49], s[34:35], s[22:23]
	s_mul_i32 s22, s49, s20
	s_add_co_i32 s48, s49, 1
	s_sub_co_i32 s22, s34, s22
	s_delay_alu instid0(SALU_CYCLE_1)
	s_sub_co_i32 s50, s22, s20
	s_cmp_ge_u32 s22, s20
	s_cselect_b32 s48, s48, s49
	s_cselect_b32 s22, s50, s22
	s_add_co_i32 s49, s48, 1
	s_cmp_ge_u32 s22, s20
	s_cselect_b32 s50, s49, s48
	s_add_co_i32 s22, s20, -1
	s_delay_alu instid0(SALU_CYCLE_1)
	s_cmp_lg_u32 s56, s22
	s_mov_b32 s22, s50
	s_cbranch_scc1 .LBB134_11
; %bb.10:                               ;   in Loop: Header=BB134_3 Depth=1
	s_mul_i32 s20, s50, s20
	s_delay_alu instid0(SALU_CYCLE_1) | instskip(NEXT) | instid1(SALU_CYCLE_1)
	s_sub_co_i32 s20, s34, s20
	s_add_co_i32 s22, s20, s50
.LBB134_11:                             ;   in Loop: Header=BB134_3 Depth=1
	s_delay_alu instid0(SALU_CYCLE_1)
	s_cmp_eq_u32 s22, 0
	s_cbranch_scc1 .LBB134_2
; %bb.12:                               ;   in Loop: Header=BB134_3 Depth=1
	s_load_b32 s20, s[30:31], 0x0
	s_load_b64 s[48:49], s[28:29], s4 offset:0x0 scale_offset
	s_wait_loadcnt 0x0
	v_add_nc_u64_e32 v[26:27], s[14:15], v[22:23]
	s_mov_b32 s51, -1
	s_delay_alu instid0(VALU_DEP_1) | instskip(SKIP_2) | instid1(SALU_CYCLE_1)
	v_add_nc_u64_e32 v[22:23], s[42:43], v[26:27]
	s_wait_kmcnt 0x0
	s_add_co_i32 s20, s20, -1
	s_cmp_lg_u32 s34, s20
	s_cselect_b32 s54, -1, 0
	s_delay_alu instid0(SALU_CYCLE_1)
	s_and_b32 vcc_lo, exec_lo, s54
	s_cbranch_vccz .LBB134_16
; %bb.13:                               ;   in Loop: Header=BB134_3 Depth=1
	s_and_saveexec_b32 s51, s0
	s_cbranch_execz .LBB134_15
; %bb.14:                               ;   in Loop: Header=BB134_3 Depth=1
	v_lshl_add_u64 v[24:25], v[6:7], 2, v[22:23]
	flat_load_b32 v1, v[24:25]
	s_wait_loadcnt_dscnt 0x0
	ds_store_b32 v54, v1
.LBB134_15:                             ;   in Loop: Header=BB134_3 Depth=1
	s_wait_xcnt 0x0
	s_or_b32 exec_lo, exec_lo, s51
	s_mov_b32 s51, 0
.LBB134_16:                             ;   in Loop: Header=BB134_3 Depth=1
	s_delay_alu instid0(SALU_CYCLE_1)
	s_and_not1_b32 vcc_lo, exec_lo, s51
	s_cbranch_vccnz .LBB134_22
; %bb.17:                               ;   in Loop: Header=BB134_3 Depth=1
	s_and_saveexec_b32 s51, s0
	s_cbranch_execz .LBB134_21
; %bb.18:                               ;   in Loop: Header=BB134_3 Depth=1
	v_mov_b32_e32 v1, 0
	s_and_saveexec_b32 s52, s1
	s_cbranch_execz .LBB134_20
; %bb.19:                               ;   in Loop: Header=BB134_3 Depth=1
	v_lshl_add_u64 v[22:23], v[6:7], 2, v[22:23]
	flat_load_b32 v1, v[22:23]
.LBB134_20:                             ;   in Loop: Header=BB134_3 Depth=1
	s_wait_xcnt 0x0
	s_or_b32 exec_lo, exec_lo, s52
	s_wait_loadcnt_dscnt 0x0
	ds_store_b32 v54, v1
.LBB134_21:                             ;   in Loop: Header=BB134_3 Depth=1
	s_or_b32 exec_lo, exec_lo, s51
	ds_store_2addr_b32 v55, v3, v3 offset1:16
	ds_store_2addr_b32 v56, v3, v3 offset1:16
.LBB134_22:                             ;   in Loop: Header=BB134_3 Depth=1
	v_add_nc_u64_e32 v[22:23], s[10:11], v[32:33]
	s_mul_i32 s52, s57, s50
	v_cndmask_b32_e64 v1, 0, 1, s54
	s_ashr_i32 s53, s52, 31
	s_and_not1_b32 vcc_lo, exec_lo, s54
	s_lshl_b64 s[50:51], s[52:53], 2
	s_mov_b32 s54, -1
	v_add_nc_u64_e32 v[28:29], s[44:45], v[22:23]
	s_wait_dscnt 0x0
	s_barrier_signal -1
	s_barrier_wait -1
                                        ; implicit-def: $vgpr30_vgpr31
	s_delay_alu instid0(VALU_DEP_1)
	v_add_nc_u64_e32 v[36:37], s[50:51], v[28:29]
	s_cbranch_vccz .LBB134_51
; %bb.23:                               ;   in Loop: Header=BB134_3 Depth=1
	s_and_not1_b32 vcc_lo, exec_lo, s54
	s_cbranch_vccz .LBB134_52
.LBB134_24:                             ;   in Loop: Header=BB134_3 Depth=1
	s_cmp_lt_i32 s22, 1
	s_add_nc_u64 s[48:49], s[48:49], s[16:17]
	s_cbranch_scc1 .LBB134_59
.LBB134_25:                             ;   in Loop: Header=BB134_3 Depth=1
	s_mul_u64 s[54:55], s[26:27], s[52:53]
	v_mov_b32_e32 v35, 0
	s_lshl_b64 s[54:55], s[54:55], 2
	s_delay_alu instid0(SALU_CYCLE_1) | instskip(SKIP_1) | instid1(SALU_CYCLE_1)
	v_add_nc_u64_e32 v[38:39], s[54:55], v[26:27]
	s_mul_u64 s[54:55], s[18:19], s[52:53]
	s_lshl_b64 s[54:55], s[54:55], 2
	s_cmp_eq_u32 s22, 1
	s_add_nc_u64 s[54:55], s[48:49], s[54:55]
	s_wait_xcnt 0x0
	s_delay_alu instid0(VALU_DEP_1)
	v_lshl_add_u64 v[22:23], v[8:9], 2, v[38:39]
	flat_load_b32 v2, v[22:23]
	s_cbranch_scc1 .LBB134_60
; %bb.26:                               ;   in Loop: Header=BB134_3 Depth=1
	s_wait_xcnt 0x0
	v_add_nc_u64_e32 v[22:23], s[50:51], v[18:19]
	v_add_nc_u64_e32 v[24:25], s[50:51], v[20:21]
	;; [unrolled: 1-line block ×4, first 2 shown]
	s_add_co_i32 s22, s22, -1
	s_mul_u64 s[52:53], s[40:41], s[52:53]
	s_delay_alu instid0(VALU_DEP_4) | instskip(NEXT) | instid1(VALU_DEP_4)
	v_mul_u64_e32 v[36:37], s[26:27], v[22:23]
	v_mul_u64_e32 v[38:39], s[26:27], v[24:25]
	v_mov_b32_e32 v22, 0
	v_mov_b64_e32 v[24:25], s[54:55]
	s_delay_alu instid0(VALU_DEP_2)
	v_dual_mov_b32 v23, v22 :: v_dual_mov_b32 v32, v22
	v_mov_b32_e32 v33, v22
.LBB134_27:                             ;   Parent Loop BB134_3 Depth=1
                                        ; =>  This Inner Loop Header: Depth=2
	v_add_nc_u64_e32 v[34:35], v[26:27], v[38:39]
	v_cmp_ne_u32_e32 vcc_lo, 1, v1
	s_mov_b32 s54, -1
                                        ; implicit-def: $vgpr48_vgpr49
	flat_load_b32 v46, v[34:35]
                                        ; implicit-def: $vgpr35
	s_cbranch_vccnz .LBB134_29
; %bb.28:                               ;   in Loop: Header=BB134_27 Depth=2
	s_wait_xcnt 0x0
	v_add_nc_u64_e32 v[34:35], s[50:51], v[44:45]
	v_add_nc_u64_e32 v[42:43], s[50:51], v[40:41]
	s_mov_b32 s54, 0
	flat_load_b32 v34, v[34:35] offset:64
	flat_load_b32 v35, v[42:43] offset:64
	s_wait_loadcnt_dscnt 0x0
	v_mov_b64_e32 v[48:49], v[34:35]
.LBB134_29:                             ;   in Loop: Header=BB134_27 Depth=2
	s_and_not1_b32 vcc_lo, exec_lo, s54
	s_cbranch_vccnz .LBB134_37
; %bb.30:                               ;   in Loop: Header=BB134_27 Depth=2
                                        ; implicit-def: $vgpr48_vgpr49
	s_wait_xcnt 0x0
	s_and_saveexec_b32 s54, s2
	s_delay_alu instid0(SALU_CYCLE_1)
	s_xor_b32 s54, exec_lo, s54
	s_cbranch_execz .LBB134_34
; %bb.31:                               ;   in Loop: Header=BB134_27 Depth=2
	v_mov_b64_e32 v[48:49], v[32:33]
	s_and_saveexec_b32 s55, s3
	s_cbranch_execz .LBB134_33
; %bb.32:                               ;   in Loop: Header=BB134_27 Depth=2
	v_add_nc_u64_e32 v[34:35], s[50:51], v[44:45]
	flat_load_b32 v32, v[34:35] offset:64
	s_wait_loadcnt_dscnt 0x0
	v_mov_b64_e32 v[48:49], v[32:33]
.LBB134_33:                             ;   in Loop: Header=BB134_27 Depth=2
	s_wait_xcnt 0x0
	s_or_b32 exec_lo, exec_lo, s55
.LBB134_34:                             ;   in Loop: Header=BB134_27 Depth=2
	s_and_not1_saveexec_b32 s54, s54
	s_cbranch_execz .LBB134_36
; %bb.35:                               ;   in Loop: Header=BB134_27 Depth=2
	v_add_nc_u64_e32 v[32:33], s[50:51], v[44:45]
	v_add_nc_u64_e32 v[34:35], s[50:51], v[40:41]
	flat_load_b32 v32, v[32:33] offset:64
	flat_load_b32 v33, v[34:35] offset:64
	s_wait_loadcnt_dscnt 0x0
	v_mov_b64_e32 v[48:49], v[32:33]
.LBB134_36:                             ;   in Loop: Header=BB134_27 Depth=2
	s_wait_xcnt 0x0
	s_or_b32 exec_lo, exec_lo, s54
	v_dual_mov_b32 v34, v32 :: v_dual_mov_b32 v35, v33
.LBB134_37:                             ;   in Loop: Header=BB134_27 Depth=2
	ds_load_b64 v[50:51], v57
	v_cmp_ne_u32_e32 vcc_lo, 1, v1
	s_mov_b32 s54, -1
                                        ; implicit-def: $vgpr32_vgpr33
	s_cbranch_vccnz .LBB134_39
; %bb.38:                               ;   in Loop: Header=BB134_27 Depth=2
	v_add_nc_u64_e32 v[32:33], s[50:51], v[44:45]
	s_wait_xcnt 0x0
	v_add_nc_u64_e32 v[42:43], s[50:51], v[40:41]
	s_mov_b32 s54, 0
	flat_load_b32 v32, v[32:33] offset:128
	flat_load_b32 v33, v[42:43] offset:128
.LBB134_39:                             ;   in Loop: Header=BB134_27 Depth=2
	s_and_not1_b32 vcc_lo, exec_lo, s54
	s_cbranch_vccnz .LBB134_47
; %bb.40:                               ;   in Loop: Header=BB134_27 Depth=2
                                        ; implicit-def: $vgpr32_vgpr33
	s_wait_xcnt 0x0
	s_and_saveexec_b32 s54, s2
	s_delay_alu instid0(SALU_CYCLE_1)
	s_xor_b32 s54, exec_lo, s54
	s_cbranch_execz .LBB134_44
; %bb.41:                               ;   in Loop: Header=BB134_27 Depth=2
	s_wait_loadcnt_dscnt 0x0
	v_mov_b64_e32 v[32:33], v[30:31]
	s_and_saveexec_b32 s55, s3
	s_cbranch_execz .LBB134_43
; %bb.42:                               ;   in Loop: Header=BB134_27 Depth=2
	v_add_nc_u64_e32 v[32:33], s[50:51], v[44:45]
	flat_load_b32 v32, v[32:33] offset:128
	s_wait_xcnt 0x0
	v_mov_b32_e32 v33, v31
.LBB134_43:                             ;   in Loop: Header=BB134_27 Depth=2
	s_or_b32 exec_lo, exec_lo, s55
.LBB134_44:                             ;   in Loop: Header=BB134_27 Depth=2
	s_and_not1_saveexec_b32 s54, s54
	s_cbranch_execz .LBB134_46
; %bb.45:                               ;   in Loop: Header=BB134_27 Depth=2
	s_wait_loadcnt_dscnt 0x0
	v_add_nc_u64_e32 v[32:33], s[50:51], v[44:45]
	v_add_nc_u64_e32 v[42:43], s[50:51], v[40:41]
	flat_load_b32 v32, v[32:33] offset:128
	flat_load_b32 v33, v[42:43] offset:128
.LBB134_46:                             ;   in Loop: Header=BB134_27 Depth=2
	s_wait_xcnt 0x0
	s_or_b32 exec_lo, exec_lo, s54
.LBB134_47:                             ;   in Loop: Header=BB134_27 Depth=2
	s_wait_xcnt 0x0
	v_add_nc_u64_e32 v[42:43], v[26:27], v[36:37]
	flat_load_b32 v42, v[42:43]
	s_wait_loadcnt_dscnt 0x401
	s_wait_xcnt 0x0
	v_fma_f32 v43, v30, v50, 0
	v_fma_f32 v50, v34, v50, 0
	s_wait_loadcnt_dscnt 0x0
	s_barrier_signal -1
	s_barrier_wait -1
	v_fmac_f32_e32 v43, v31, v51
	v_dual_fmac_f32 v50, v35, v51 :: v_dual_add_nc_u32 v51, v0, v53
	ds_store_2addr_b32 v51, v43, v50 offset1:16
	s_wait_dscnt 0x0
	s_barrier_signal -1
	s_barrier_wait -1
	s_and_saveexec_b32 s54, s0
	s_cbranch_execz .LBB134_49
; %bb.48:                               ;   in Loop: Header=BB134_27 Depth=2
	ds_load_2addr_b32 v[50:51], v52 offset1:32
	ds_load_2addr_b32 v[76:77], v52 offset0:64 offset1:96
	ds_load_2addr_b32 v[78:79], v52 offset0:128 offset1:160
	v_add_nc_u32_e32 v75, 0x400, v52
	s_wait_dscnt 0x2
	v_add_f32_e32 v43, 0, v50
	s_delay_alu instid0(VALU_DEP_1) | instskip(SKIP_3) | instid1(VALU_DEP_1)
	v_add_f32_e32 v43, v43, v51
	ds_load_2addr_b32 v[50:51], v52 offset0:192 offset1:224
	s_wait_dscnt 0x2
	v_add_f32_e32 v43, v43, v76
	v_add_f32_e32 v43, v43, v77
	ds_load_2addr_b32 v[76:77], v75 offset1:32
	s_wait_dscnt 0x2
	v_add_f32_e32 v43, v43, v78
	s_delay_alu instid0(VALU_DEP_1) | instskip(SKIP_3) | instid1(VALU_DEP_1)
	v_add_f32_e32 v43, v43, v79
	ds_load_2addr_b32 v[78:79], v75 offset0:64 offset1:96
	s_wait_dscnt 0x2
	v_add_f32_e32 v43, v43, v50
	v_add_f32_e32 v43, v43, v51
	ds_load_2addr_b32 v[50:51], v75 offset0:128 offset1:160
	s_wait_dscnt 0x2
	v_add_f32_e32 v43, v43, v76
	s_delay_alu instid0(VALU_DEP_1) | instskip(SKIP_3) | instid1(VALU_DEP_1)
	v_add_f32_e32 v43, v43, v77
	ds_load_2addr_b32 v[76:77], v75 offset0:192 offset1:224
	s_wait_dscnt 0x2
	v_add_f32_e32 v43, v43, v78
	v_add_f32_e32 v43, v43, v79
	s_wait_dscnt 0x1
	s_delay_alu instid0(VALU_DEP_1) | instskip(NEXT) | instid1(VALU_DEP_1)
	v_add_f32_e32 v43, v43, v50
	v_add_f32_e32 v43, v43, v51
	v_lshl_add_u64 v[50:51], v[12:13], 2, v[24:25]
	v_add_nc_u64_e32 v[24:25], s[38:39], v[24:25]
	s_wait_dscnt 0x0
	s_delay_alu instid0(VALU_DEP_3) | instskip(NEXT) | instid1(VALU_DEP_1)
	v_add_f32_e32 v43, v43, v76
	v_add_f32_e32 v43, v43, v77
	s_delay_alu instid0(VALU_DEP_1)
	v_mul_f32_e32 v43, v74, v43
	flat_atomic_add_f32 v[50:51], v43 scope:SCOPE_DEV
.LBB134_49:                             ;   in Loop: Header=BB134_27 Depth=2
	s_wait_xcnt 0x0
	s_or_b32 exec_lo, exec_lo, s54
	v_pk_fma_f32 v[22:23], v[2:3], v[30:31], v[22:23] op_sel_hi:[0,1,1]
	v_add_nc_u64_e32 v[40:41], 0x80, v[40:41]
	v_add_nc_u64_e32 v[44:45], 0x80, v[44:45]
	;; [unrolled: 1-line block ×4, first 2 shown]
	v_pk_fma_f32 v[22:23], v[46:47], v[48:49], v[22:23] op_sel_hi:[0,1,1]
	s_add_co_i32 s22, s22, -1
	s_delay_alu instid0(SALU_CYCLE_1)
	s_cmp_eq_u32 s22, 0
	s_cbranch_scc1 .LBB134_61
; %bb.50:                               ;   in Loop: Header=BB134_27 Depth=2
	v_mov_b32_e32 v2, v42
	v_mov_b64_e32 v[30:31], v[32:33]
	v_dual_mov_b32 v32, v34 :: v_dual_mov_b32 v33, v35
	s_branch .LBB134_27
.LBB134_51:                             ;   in Loop: Header=BB134_3 Depth=1
	s_delay_alu instid0(VALU_DEP_1) | instskip(NEXT) | instid1(VALU_DEP_1)
	v_lshl_add_u64 v[22:23], v[4:5], 2, v[36:37]
	v_lshl_add_u64 v[24:25], s[24:25], 2, v[22:23]
	s_clause 0x1
	flat_load_b32 v30, v[22:23]
	flat_load_b32 v31, v[24:25]
	s_cbranch_execnz .LBB134_24
.LBB134_52:                             ;   in Loop: Header=BB134_3 Depth=1
                                        ; implicit-def: $vgpr30_vgpr31
	s_wait_xcnt 0x0
	s_and_saveexec_b32 s54, s2
	s_delay_alu instid0(SALU_CYCLE_1)
	s_xor_b32 s54, exec_lo, s54
	s_cbranch_execz .LBB134_56
; %bb.53:                               ;   in Loop: Header=BB134_3 Depth=1
	s_wait_loadcnt_dscnt 0x0
	v_mov_b64_e32 v[30:31], 0
	s_and_saveexec_b32 s55, s3
	s_cbranch_execz .LBB134_55
; %bb.54:                               ;   in Loop: Header=BB134_3 Depth=1
	v_lshl_add_u64 v[22:23], v[4:5], 2, v[36:37]
	flat_load_b32 v2, v[22:23]
	s_wait_loadcnt_dscnt 0x0
	v_mov_b64_e32 v[30:31], v[2:3]
.LBB134_55:                             ;   in Loop: Header=BB134_3 Depth=1
	s_wait_xcnt 0x0
	s_or_b32 exec_lo, exec_lo, s55
.LBB134_56:                             ;   in Loop: Header=BB134_3 Depth=1
	s_and_not1_saveexec_b32 s54, s54
	s_cbranch_execz .LBB134_58
; %bb.57:                               ;   in Loop: Header=BB134_3 Depth=1
	v_lshl_add_u64 v[22:23], v[4:5], 2, v[36:37]
	s_delay_alu instid0(VALU_DEP_1)
	v_lshl_add_u64 v[24:25], s[24:25], 2, v[22:23]
	s_wait_loadcnt_dscnt 0x101
	flat_load_b32 v30, v[22:23]
	s_wait_loadcnt_dscnt 0x101
	flat_load_b32 v31, v[24:25]
.LBB134_58:                             ;   in Loop: Header=BB134_3 Depth=1
	s_wait_xcnt 0x0
	s_or_b32 exec_lo, exec_lo, s54
	s_cmp_lt_i32 s22, 1
	s_add_nc_u64 s[48:49], s[48:49], s[16:17]
	s_cbranch_scc0 .LBB134_25
.LBB134_59:                             ;   in Loop: Header=BB134_3 Depth=1
	s_wait_xcnt 0x0
	v_mov_b32_e32 v23, 0
	s_delay_alu instid0(VALU_DEP_1)
	v_mov_b32_e32 v22, v23
	s_branch .LBB134_75
.LBB134_60:                             ;   in Loop: Header=BB134_3 Depth=1
	s_wait_xcnt 0x1
	v_mov_b64_e32 v[24:25], s[54:55]
	s_wait_loadcnt_dscnt 0x101
	v_mov_b64_e32 v[32:33], v[30:31]
	s_wait_xcnt 0x0
	v_dual_mov_b32 v34, v35 :: v_dual_mov_b32 v23, v35
	s_wait_loadcnt_dscnt 0x0
	v_dual_mov_b32 v22, v35 :: v_dual_mov_b32 v42, v2
	s_branch .LBB134_62
.LBB134_61:                             ;   in Loop: Header=BB134_3 Depth=1
	s_delay_alu instid0(VALU_DEP_2)
	v_add_nc_u64_e32 v[38:39], s[52:53], v[26:27]
	v_add_nc_u64_e32 v[36:37], s[50:51], v[28:29]
.LBB134_62:                             ;   in Loop: Header=BB134_3 Depth=1
	s_delay_alu instid0(VALU_DEP_2)
	v_lshl_add_u64 v[26:27], v[10:11], 2, v[38:39]
	v_cmp_ne_u32_e32 vcc_lo, 1, v1
	s_mov_b32 s22, -1
                                        ; implicit-def: $vgpr1
                                        ; implicit-def: $vgpr2
	flat_load_b32 v43, v[26:27]
                                        ; implicit-def: $vgpr26_vgpr27
	s_cbranch_vccnz .LBB134_64
; %bb.63:                               ;   in Loop: Header=BB134_3 Depth=1
	s_wait_xcnt 0x0
	v_lshl_add_u64 v[26:27], v[4:5], 2, v[36:37]
	s_mov_b32 s22, 0
	s_delay_alu instid0(VALU_DEP_1)
	v_lshl_add_u64 v[28:29], s[24:25], 2, v[26:27]
	s_clause 0x1
	flat_load_b32 v1, v[28:29] offset:64
	flat_load_b32 v2, v[26:27] offset:64
	s_wait_loadcnt_dscnt 0x101
	s_wait_xcnt 0x0
	v_mov_b64_e32 v[26:27], v[0:1]
.LBB134_64:                             ;   in Loop: Header=BB134_3 Depth=1
	s_and_not1_b32 vcc_lo, exec_lo, s22
	s_cbranch_vccnz .LBB134_72
; %bb.65:                               ;   in Loop: Header=BB134_3 Depth=1
                                        ; implicit-def: $vgpr26_vgpr27
	s_wait_xcnt 0x0
	s_and_saveexec_b32 s22, s2
	s_delay_alu instid0(SALU_CYCLE_1)
	s_xor_b32 s22, exec_lo, s22
	s_cbranch_execz .LBB134_69
; %bb.66:                               ;   in Loop: Header=BB134_3 Depth=1
	v_mov_b64_e32 v[26:27], v[34:35]
	s_and_saveexec_b32 s50, s3
	s_cbranch_execz .LBB134_68
; %bb.67:                               ;   in Loop: Header=BB134_3 Depth=1
	v_lshl_add_u64 v[26:27], v[4:5], 2, v[36:37]
	flat_load_b32 v34, v[26:27] offset:64
	s_wait_loadcnt_dscnt 0x0
	v_mov_b64_e32 v[26:27], v[34:35]
.LBB134_68:                             ;   in Loop: Header=BB134_3 Depth=1
	s_or_b32 exec_lo, exec_lo, s50
                                        ; implicit-def: $vgpr36_vgpr37
.LBB134_69:                             ;   in Loop: Header=BB134_3 Depth=1
	s_and_not1_saveexec_b32 s22, s22
	s_cbranch_execz .LBB134_71
; %bb.70:                               ;   in Loop: Header=BB134_3 Depth=1
	v_lshl_add_u64 v[26:27], v[4:5], 2, v[36:37]
	s_delay_alu instid0(VALU_DEP_1)
	v_lshl_add_u64 v[28:29], s[24:25], 2, v[26:27]
	s_clause 0x1
	flat_load_b32 v34, v[26:27] offset:64
	flat_load_b32 v35, v[28:29] offset:64
	s_wait_loadcnt_dscnt 0x0
	s_wait_xcnt 0x1
	v_mov_b64_e32 v[26:27], v[34:35]
.LBB134_71:                             ;   in Loop: Header=BB134_3 Depth=1
	s_wait_xcnt 0x0
	s_or_b32 exec_lo, exec_lo, s22
	s_wait_loadcnt_dscnt 0x0
	v_dual_mov_b32 v2, v34 :: v_dual_mov_b32 v1, v35
.LBB134_72:                             ;   in Loop: Header=BB134_3 Depth=1
	ds_load_b64 v[28:29], v57
	v_add_nc_u32_e32 v30, v0, v53
	s_wait_storecnt 0x0
	s_wait_loadcnt_dscnt 0x0
	s_barrier_signal -1
	s_barrier_wait -1
	v_fma_f32 v26, v32, v28, 0
	v_fma_f32 v28, v2, v28, 0
	s_delay_alu instid0(VALU_DEP_2) | instskip(NEXT) | instid1(VALU_DEP_2)
	v_fmac_f32_e32 v26, v33, v29
	v_fmac_f32_e32 v28, v1, v29
	ds_store_2addr_b32 v30, v26, v28 offset1:16
	s_wait_dscnt 0x0
	s_barrier_signal -1
	s_barrier_wait -1
	s_and_saveexec_b32 s22, s0
	s_cbranch_execz .LBB134_74
; %bb.73:                               ;   in Loop: Header=BB134_3 Depth=1
	ds_load_2addr_b32 v[28:29], v52 offset1:32
	ds_load_2addr_b32 v[30:31], v52 offset0:64 offset1:96
	ds_load_2addr_b32 v[34:35], v52 offset0:128 offset1:160
	v_lshl_add_u64 v[24:25], v[12:13], 2, v[24:25]
	v_add_nc_u32_e32 v26, 0x400, v52
	s_wait_dscnt 0x2
	v_add_f32_e32 v1, 0, v28
	s_delay_alu instid0(VALU_DEP_1) | instskip(SKIP_3) | instid1(VALU_DEP_1)
	v_add_f32_e32 v1, v1, v29
	ds_load_2addr_b32 v[28:29], v52 offset0:192 offset1:224
	s_wait_dscnt 0x2
	v_add_f32_e32 v1, v1, v30
	v_add_f32_e32 v1, v1, v31
	ds_load_2addr_b32 v[30:31], v26 offset1:32
	s_wait_dscnt 0x2
	v_add_f32_e32 v1, v1, v34
	s_delay_alu instid0(VALU_DEP_1) | instskip(SKIP_3) | instid1(VALU_DEP_1)
	v_add_f32_e32 v1, v1, v35
	ds_load_2addr_b32 v[34:35], v26 offset0:64 offset1:96
	s_wait_dscnt 0x2
	v_add_f32_e32 v1, v1, v28
	v_add_f32_e32 v1, v1, v29
	ds_load_2addr_b32 v[28:29], v26 offset0:128 offset1:160
	s_wait_dscnt 0x2
	v_add_f32_e32 v1, v1, v30
	s_delay_alu instid0(VALU_DEP_1) | instskip(SKIP_3) | instid1(VALU_DEP_1)
	v_add_f32_e32 v1, v1, v31
	ds_load_2addr_b32 v[30:31], v26 offset0:192 offset1:224
	s_wait_dscnt 0x2
	v_add_f32_e32 v1, v1, v34
	v_add_f32_e32 v1, v1, v35
	s_wait_dscnt 0x1
	s_delay_alu instid0(VALU_DEP_1) | instskip(NEXT) | instid1(VALU_DEP_1)
	v_add_f32_e32 v1, v1, v28
	v_add_f32_e32 v1, v1, v29
	s_wait_dscnt 0x0
	s_delay_alu instid0(VALU_DEP_1) | instskip(NEXT) | instid1(VALU_DEP_1)
	v_add_f32_e32 v1, v1, v30
	v_add_f32_e32 v1, v1, v31
	s_delay_alu instid0(VALU_DEP_1)
	v_mul_f32_e32 v1, v74, v1
	flat_atomic_add_f32 v[24:25], v1 scope:SCOPE_DEV
.LBB134_74:                             ;   in Loop: Header=BB134_3 Depth=1
	s_wait_xcnt 0x0
	s_or_b32 exec_lo, exec_lo, s22
	v_mov_b32_e32 v26, v33
	s_delay_alu instid0(VALU_DEP_1) | instskip(NEXT) | instid1(VALU_DEP_1)
	v_pk_mul_f32 v[24:25], v[42:43], v[26:27]
	v_dual_mul_f32 v26, v42, v32 :: v_dual_mov_b32 v27, v24
	v_mul_f32_e32 v24, v43, v2
	s_delay_alu instid0(VALU_DEP_2) | instskip(NEXT) | instid1(VALU_DEP_1)
	v_pk_add_f32 v[22:23], v[22:23], v[26:27]
	v_pk_add_f32 v[22:23], v[22:23], v[24:25]
.LBB134_75:                             ;   in Loop: Header=BB134_3 Depth=1
	s_cmp_lt_u32 s34, s20
	ds_store_2addr_b32 v56, v22, v23 offset1:16
	s_cselect_b32 s20, -1, 0
	s_wait_storecnt 0x0
	s_wait_loadcnt_dscnt 0x0
	s_or_b32 s20, s1, s20
	s_barrier_signal -1
	s_and_b32 s20, s0, s20
	s_barrier_wait -1
	s_and_b32 exec_lo, exec_lo, s20
	s_cbranch_execz .LBB134_2
; %bb.76:                               ;   in Loop: Header=BB134_3 Depth=1
	ds_load_b32 v1, v58
	ds_load_b32 v2, v59
	;; [unrolled: 1-line block ×8, first 2 shown]
	s_add_nc_u64 s[48:49], s[48:49], s[46:47]
	s_wait_dscnt 0x7
	v_add_f32_e32 v1, 0, v1
	s_wait_dscnt 0x6
	s_delay_alu instid0(VALU_DEP_1)
	v_add_f32_e32 v1, v1, v2
	ds_load_b32 v2, v66
	s_wait_dscnt 0x6
	v_add_f32_e32 v1, v1, v22
	ds_load_b32 v22, v67
	s_wait_dscnt 0x6
	;; [unrolled: 3-line block ×3, first 2 shown]
	v_add_f32_e32 v1, v1, v24
	s_wait_dscnt 0x5
	s_delay_alu instid0(VALU_DEP_1) | instskip(SKIP_1) | instid1(VALU_DEP_1)
	v_add_f32_e32 v1, v1, v25
	s_wait_dscnt 0x4
	v_add_f32_e32 v1, v1, v26
	s_wait_dscnt 0x3
	s_delay_alu instid0(VALU_DEP_1)
	v_add_f32_e32 v1, v1, v27
	ds_load_b32 v24, v69
	ds_load_b32 v25, v70
	;; [unrolled: 1-line block ×5, first 2 shown]
	s_wait_dscnt 0x7
	v_add_f32_e32 v1, v1, v2
	s_wait_dscnt 0x6
	s_delay_alu instid0(VALU_DEP_1) | instskip(SKIP_1) | instid1(VALU_DEP_1)
	v_add_f32_e32 v1, v1, v22
	s_wait_dscnt 0x5
	v_add_f32_e32 v1, v1, v23
	v_lshl_add_u64 v[22:23], v[12:13], 2, s[48:49]
	s_wait_dscnt 0x4
	s_delay_alu instid0(VALU_DEP_2) | instskip(SKIP_1) | instid1(VALU_DEP_1)
	v_add_f32_e32 v1, v1, v24
	s_wait_dscnt 0x3
	v_add_f32_e32 v1, v1, v25
	s_wait_dscnt 0x2
	s_delay_alu instid0(VALU_DEP_1) | instskip(SKIP_1) | instid1(VALU_DEP_1)
	v_add_f32_e32 v1, v1, v26
	s_wait_dscnt 0x1
	v_add_f32_e32 v1, v1, v27
	s_wait_dscnt 0x0
	s_delay_alu instid0(VALU_DEP_1) | instskip(NEXT) | instid1(VALU_DEP_1)
	v_add_f32_e32 v1, v1, v28
	v_mul_f32_e32 v1, v74, v1
	flat_atomic_add_f32 v[22:23], v1 scope:SCOPE_DEV
	s_branch .LBB134_2
.LBB134_77:
	s_sendmsg sendmsg(MSG_DEALLOC_VGPRS)
	s_endpgm
	.section	.rodata,"a",@progbits
	.p2align	6, 0x0
	.amdhsa_kernel _ZL62rocblas_symv_kernel_upper_double_buffered_non_diagonal_genericILi32ELi8ELi2ELi1E24rocblas_internal_val_ptrIfEPKPKfPKPfEvbiT3_lT4_lllSA_lllT5_lllii
		.amdhsa_group_segment_fixed_size 6272
		.amdhsa_private_segment_fixed_size 0
		.amdhsa_kernarg_size 384
		.amdhsa_user_sgpr_count 4
		.amdhsa_user_sgpr_dispatch_ptr 1
		.amdhsa_user_sgpr_queue_ptr 0
		.amdhsa_user_sgpr_kernarg_segment_ptr 1
		.amdhsa_user_sgpr_dispatch_id 0
		.amdhsa_user_sgpr_kernarg_preload_length 0
		.amdhsa_user_sgpr_kernarg_preload_offset 0
		.amdhsa_user_sgpr_private_segment_size 0
		.amdhsa_wavefront_size32 1
		.amdhsa_uses_dynamic_stack 0
		.amdhsa_enable_private_segment 0
		.amdhsa_system_sgpr_workgroup_id_x 1
		.amdhsa_system_sgpr_workgroup_id_y 1
		.amdhsa_system_sgpr_workgroup_id_z 1
		.amdhsa_system_sgpr_workgroup_info 0
		.amdhsa_system_vgpr_workitem_id 2
		.amdhsa_next_free_vgpr 80
		.amdhsa_next_free_sgpr 59
		.amdhsa_named_barrier_count 0
		.amdhsa_reserve_vcc 1
		.amdhsa_float_round_mode_32 0
		.amdhsa_float_round_mode_16_64 0
		.amdhsa_float_denorm_mode_32 3
		.amdhsa_float_denorm_mode_16_64 3
		.amdhsa_fp16_overflow 0
		.amdhsa_memory_ordered 1
		.amdhsa_forward_progress 1
		.amdhsa_inst_pref_size 30
		.amdhsa_round_robin_scheduling 0
		.amdhsa_exception_fp_ieee_invalid_op 0
		.amdhsa_exception_fp_denorm_src 0
		.amdhsa_exception_fp_ieee_div_zero 0
		.amdhsa_exception_fp_ieee_overflow 0
		.amdhsa_exception_fp_ieee_underflow 0
		.amdhsa_exception_fp_ieee_inexact 0
		.amdhsa_exception_int_div_zero 0
	.end_amdhsa_kernel
	.section	.text._ZL62rocblas_symv_kernel_upper_double_buffered_non_diagonal_genericILi32ELi8ELi2ELi1E24rocblas_internal_val_ptrIfEPKPKfPKPfEvbiT3_lT4_lllSA_lllT5_lllii,"axG",@progbits,_ZL62rocblas_symv_kernel_upper_double_buffered_non_diagonal_genericILi32ELi8ELi2ELi1E24rocblas_internal_val_ptrIfEPKPKfPKPfEvbiT3_lT4_lllSA_lllT5_lllii,comdat
.Lfunc_end134:
	.size	_ZL62rocblas_symv_kernel_upper_double_buffered_non_diagonal_genericILi32ELi8ELi2ELi1E24rocblas_internal_val_ptrIfEPKPKfPKPfEvbiT3_lT4_lllSA_lllT5_lllii, .Lfunc_end134-_ZL62rocblas_symv_kernel_upper_double_buffered_non_diagonal_genericILi32ELi8ELi2ELi1E24rocblas_internal_val_ptrIfEPKPKfPKPfEvbiT3_lT4_lllSA_lllT5_lllii
                                        ; -- End function
	.set _ZL62rocblas_symv_kernel_upper_double_buffered_non_diagonal_genericILi32ELi8ELi2ELi1E24rocblas_internal_val_ptrIfEPKPKfPKPfEvbiT3_lT4_lllSA_lllT5_lllii.num_vgpr, 80
	.set _ZL62rocblas_symv_kernel_upper_double_buffered_non_diagonal_genericILi32ELi8ELi2ELi1E24rocblas_internal_val_ptrIfEPKPKfPKPfEvbiT3_lT4_lllSA_lllT5_lllii.num_agpr, 0
	.set _ZL62rocblas_symv_kernel_upper_double_buffered_non_diagonal_genericILi32ELi8ELi2ELi1E24rocblas_internal_val_ptrIfEPKPKfPKPfEvbiT3_lT4_lllSA_lllT5_lllii.numbered_sgpr, 59
	.set _ZL62rocblas_symv_kernel_upper_double_buffered_non_diagonal_genericILi32ELi8ELi2ELi1E24rocblas_internal_val_ptrIfEPKPKfPKPfEvbiT3_lT4_lllSA_lllT5_lllii.num_named_barrier, 0
	.set _ZL62rocblas_symv_kernel_upper_double_buffered_non_diagonal_genericILi32ELi8ELi2ELi1E24rocblas_internal_val_ptrIfEPKPKfPKPfEvbiT3_lT4_lllSA_lllT5_lllii.private_seg_size, 0
	.set _ZL62rocblas_symv_kernel_upper_double_buffered_non_diagonal_genericILi32ELi8ELi2ELi1E24rocblas_internal_val_ptrIfEPKPKfPKPfEvbiT3_lT4_lllSA_lllT5_lllii.uses_vcc, 1
	.set _ZL62rocblas_symv_kernel_upper_double_buffered_non_diagonal_genericILi32ELi8ELi2ELi1E24rocblas_internal_val_ptrIfEPKPKfPKPfEvbiT3_lT4_lllSA_lllT5_lllii.uses_flat_scratch, 1
	.set _ZL62rocblas_symv_kernel_upper_double_buffered_non_diagonal_genericILi32ELi8ELi2ELi1E24rocblas_internal_val_ptrIfEPKPKfPKPfEvbiT3_lT4_lllSA_lllT5_lllii.has_dyn_sized_stack, 0
	.set _ZL62rocblas_symv_kernel_upper_double_buffered_non_diagonal_genericILi32ELi8ELi2ELi1E24rocblas_internal_val_ptrIfEPKPKfPKPfEvbiT3_lT4_lllSA_lllT5_lllii.has_recursion, 0
	.set _ZL62rocblas_symv_kernel_upper_double_buffered_non_diagonal_genericILi32ELi8ELi2ELi1E24rocblas_internal_val_ptrIfEPKPKfPKPfEvbiT3_lT4_lllSA_lllT5_lllii.has_indirect_call, 0
	.section	.AMDGPU.csdata,"",@progbits
; Kernel info:
; codeLenInByte = 3824
; TotalNumSgprs: 61
; NumVgprs: 80
; ScratchSize: 0
; MemoryBound: 0
; FloatMode: 240
; IeeeMode: 1
; LDSByteSize: 6272 bytes/workgroup (compile time only)
; SGPRBlocks: 0
; VGPRBlocks: 4
; NumSGPRsForWavesPerEU: 61
; NumVGPRsForWavesPerEU: 80
; NamedBarCnt: 0
; Occupancy: 12
; WaveLimiterHint : 1
; COMPUTE_PGM_RSRC2:SCRATCH_EN: 0
; COMPUTE_PGM_RSRC2:USER_SGPR: 4
; COMPUTE_PGM_RSRC2:TRAP_HANDLER: 0
; COMPUTE_PGM_RSRC2:TGID_X_EN: 1
; COMPUTE_PGM_RSRC2:TGID_Y_EN: 1
; COMPUTE_PGM_RSRC2:TGID_Z_EN: 1
; COMPUTE_PGM_RSRC2:TIDIG_COMP_CNT: 2
	.section	.text._ZL26rocblas_hemvn_kernel_upperILb0ELi64ELi4ELi33ELi32ELi16ElPKfPKS1_PfEviT6_lT7_lT5_lS6_lS7_lS5_lT8_i,"axG",@progbits,_ZL26rocblas_hemvn_kernel_upperILb0ELi64ELi4ELi33ELi32ELi16ElPKfPKS1_PfEviT6_lT7_lT5_lS6_lS7_lS5_lT8_i,comdat
	.globl	_ZL26rocblas_hemvn_kernel_upperILb0ELi64ELi4ELi33ELi32ELi16ElPKfPKS1_PfEviT6_lT7_lT5_lS6_lS7_lS5_lT8_i ; -- Begin function _ZL26rocblas_hemvn_kernel_upperILb0ELi64ELi4ELi33ELi32ELi16ElPKfPKS1_PfEviT6_lT7_lT5_lS6_lS7_lS5_lT8_i
	.p2align	8
	.type	_ZL26rocblas_hemvn_kernel_upperILb0ELi64ELi4ELi33ELi32ELi16ElPKfPKS1_PfEviT6_lT7_lT5_lS6_lS7_lS5_lT8_i,@function
_ZL26rocblas_hemvn_kernel_upperILb0ELi64ELi4ELi33ELi32ELi16ElPKfPKS1_PfEviT6_lT7_lT5_lS6_lS7_lS5_lT8_i: ; @_ZL26rocblas_hemvn_kernel_upperILb0ELi64ELi4ELi33ELi32ELi16ElPKfPKS1_PfEviT6_lT7_lT5_lS6_lS7_lS5_lT8_i
; %bb.0:
	s_clause 0x1
	s_load_b64 s[2:3], s[0:1], 0x84
	s_load_b32 s33, s[0:1], 0x70
	s_bfe_u32 s4, ttmp6, 0x40014
	s_lshr_b32 s5, ttmp7, 16
	s_add_co_i32 s4, s4, 1
	s_bfe_u32 s6, ttmp6, 0x40008
	s_mul_i32 s7, s5, s4
	s_getreg_b32 s4, hwreg(HW_REG_IB_STS2, 6, 4)
	s_add_co_i32 s6, s6, s7
	s_mov_b32 s35, 0
	s_wait_kmcnt 0x0
	s_lshr_b32 s7, s2, 16
	s_and_b32 s2, s2, 0xffff
	s_and_b32 s3, s3, 0xffff
	s_mul_i32 s2, s7, s2
	s_cmp_eq_u32 s4, 0
	s_mul_i32 s2, s2, s3
	s_cselect_b32 s34, s5, s6
	s_cmp_lg_u32 s2, 0x100
	s_cselect_b32 s2, -1, 0
	s_cmp_ge_u32 s34, s33
	s_cselect_b32 s3, -1, 0
	s_delay_alu instid0(SALU_CYCLE_1) | instskip(NEXT) | instid1(SALU_CYCLE_1)
	s_or_b32 s2, s2, s3
	s_and_b32 vcc_lo, exec_lo, s2
	s_cbranch_vccnz .LBB135_131
; %bb.1:
	s_load_b32 s2, s[0:1], 0x0
	s_add_nc_u64 s[6:7], s[0:1], 0x78
	s_clause 0x2
	s_load_b256 s[20:27], s[0:1], 0x8
	s_load_b64 s[18:19], s[0:1], 0x28
	s_load_b128 s[28:31], s[0:1], 0x38
	s_load_b32 s40, s[6:7], 0x0
	s_clause 0x2
	s_load_b64 s[8:9], s[0:1], 0x68
	s_load_b64 s[42:43], s[0:1], 0x48
	s_load_b128 s[36:39], s[0:1], 0x58
	s_wait_xcnt 0x0
	s_bfe_u32 s1, ttmp6, 0x4000c
	s_and_b32 s0, ttmp6, 15
	s_add_co_i32 s1, s1, 1
	v_and_b32_e32 v110, 0x3ff, v0
	s_mul_i32 s1, ttmp9, s1
	v_bfe_u32 v1, v0, 10, 10
	s_add_co_i32 s0, s0, s1
	v_dual_mov_b32 v19, 0 :: v_dual_bitop2_b32 v16, 31, v0 bitop3:0x40
	s_mov_b32 s41, s35
	s_delay_alu instid0(VALU_DEP_2) | instskip(SKIP_1) | instid1(VALU_DEP_3)
	v_lshl_add_u32 v25, v1, 6, v110
	v_and_b32_e32 v63, 15, v0
	v_dual_lshlrev_b32 v111, 2, v16 :: v_dual_mov_b32 v17, v19
	v_mul_u32_u24_e32 v6, 33, v16
	s_delay_alu instid0(VALU_DEP_4)
	v_dual_lshrrev_b32 v40, 5, v25 :: v_dual_bitop2_b32 v0, 48, v0 bitop3:0x40
	s_wait_kmcnt 0x0
	s_ashr_i32 s3, s2, 31
	s_cmp_eq_u32 s4, 0
	v_lshrrev_b32_e32 v64, 2, v25
	s_cselect_b32 s44, ttmp9, s0
	s_lshr_b32 s0, s3, 26
	s_lshl_b32 s70, s44, 6
	s_add_co_i32 s0, s2, s0
	v_dual_add_nc_u32 v20, s70, v110 :: v_dual_lshlrev_b32 v24, 2, v110
	s_and_not1_b32 s0, s0, 63
	s_add_co_i32 s1, s40, -1
	s_sub_co_i32 s74, s2, s0
	s_cmp_eq_u32 s44, s1
	v_dual_ashrrev_i32 v21, 31, v20 :: v_dual_lshlrev_b32 v18, 4, v1
	s_cselect_b32 s46, s74, 0
	v_dual_add_nc_u32 v59, 24, v40 :: v_dual_lshlrev_b32 v60, 2, v40
	s_cmp_lg_u32 s46, 0
	s_delay_alu instid0(VALU_DEP_2)
	v_add_nc_u64_e32 v[26:27], 0x108, v[18:19]
	s_cselect_b32 s75, -1, 0
	s_cmp_eq_u32 s46, 0
	v_or_b32_e32 v5, 3, v60
	s_cselect_b32 s1, -1, 0
	s_ashr_i32 s45, s44, 31
	v_lshlrev_b32_e32 v4, 4, v40
	s_mul_u64 s[4:5], s[2:3], s[44:45]
	v_mul_u64_e32 v[42:43], s[18:19], v[26:27]
	s_lshl_b64 s[4:5], s[4:5], 2
	v_add_nc_u64_e32 v[26:27], 0x10c, v[18:19]
	s_add_nc_u64 s[50:51], s[8:9], s[4:5]
	v_cmp_gt_u32_e64 s9, v5, v16
	v_or_b32_e32 v5, 32, v16
	v_lshl_or_b32 v113, v16, 7, v111
	v_mad_nc_u64_u32 v[22:23], s18, v40, v[16:17]
	v_dual_add_nc_u32 v41, 8, v40 :: v_dual_add_nc_u32 v58, 16, v40
	s_delay_alu instid0(VALU_DEP_4)
	v_cmp_gt_i32_e64 s11, s46, v5
	v_mul_u64_e32 v[44:45], s[18:19], v[26:27]
	v_dual_lshlrev_b32 v26, 2, v1 :: v_dual_add_nc_u32 v114, v113, v4
	v_mov_b32_e32 v27, v19
	v_add_nc_u32_e32 v115, 0x11c0, v4
	v_add_nc_u64_e32 v[4:5], 0x8c, v[18:19]
	s_sub_co_i32 s15, s46, 32
	v_mad_u32 v23, s19, v40, v23
	v_cmp_gt_i32_e64 s4, s46, v58
	v_cmp_gt_i32_e64 s5, s46, v59
	;; [unrolled: 1-line block ×3, first 2 shown]
	v_add_nc_u64_e32 v[30:31], 0x100, v[18:19]
	v_mul_u64_e32 v[4:5], s[18:19], v[4:5]
	v_cmp_gt_i32_e64 s13, s15, v41
	v_cmp_gt_i32_e64 s14, s15, v58
	;; [unrolled: 1-line block ×3, first 2 shown]
	v_or_b32_e32 v2, 1, v60
	v_lshl_add_u32 v116, v6, 2, v60
	v_lshlrev_b64_e32 v[58:59], 2, v[22:23]
	v_mul_u64_e32 v[48:49], s[18:19], v[30:31]
	v_add_nc_u64_e32 v[6:7], 0x84, v[18:19]
	v_mul_u32_u24_e32 v62, 0x84, v2
	v_add_nc_u64_e32 v[8:9], 0xc8, v[18:19]
	v_add_nc_u64_e32 v[10:11], 0xcc, v[18:19]
	;; [unrolled: 1-line block ×9, first 2 shown]
	v_mul_u64_e32 v[6:7], s[18:19], v[6:7]
	v_mul_u64_e32 v[8:9], s[18:19], v[8:9]
	;; [unrolled: 1-line block ×10, first 2 shown]
	s_mul_u64 s[48:49], s[40:41], s[2:3]
	v_cmp_gt_i32_e64 s2, s46, v40
	v_mul_u32_u24_e32 v112, 0x84, v40
	v_sub_nc_u64_e32 v[30:31], v[4:5], v[58:59]
	v_and_b32_e32 v5, 0x7ff0, v25
	v_or_b32_e32 v3, 2, v60
	v_cmp_gt_i32_e64 s3, s46, v41
	v_mul_u32_u24_e32 v61, 0x210, v40
	v_cmp_eq_u32_e64 s16, 1, v40
	v_mul_i32_i24_e32 v117, -12, v40
	v_cmp_gt_u32_e64 s8, v3, v16
	v_add_nc_u64_e32 v[2:3], 0x88, v[18:19]
	v_sub_nc_u64_e32 v[42:43], v[42:43], v[58:59]
	v_sub_nc_u64_e32 v[44:45], v[44:45], v[58:59]
	;; [unrolled: 1-line block ×3, first 2 shown]
	v_cmp_gt_i32_e32 vcc_lo, s46, v110
	s_add_co_i32 s17, s44, 1
	s_ashr_i32 s71, s70, 31
	v_mul_u64_e32 v[2:3], s[18:19], v[2:3]
	s_ashr_i32 s47, s46, 31
	s_or_b32 s76, s1, vcc_lo
	s_lshl_b64 s[54:55], s[18:19], 5
	v_sub_nc_u64_e32 v[32:33], v[6:7], v[58:59]
	v_sub_nc_u64_e32 v[34:35], v[8:9], v[58:59]
	v_sub_nc_u64_e32 v[36:37], v[10:11], v[58:59]
	v_sub_nc_u64_e32 v[38:39], v[12:13], v[58:59]
	v_sub_nc_u64_e32 v[40:41], v[14:15], v[58:59]
	v_sub_nc_u64_e32 v[46:47], v[46:47], v[58:59]
	v_sub_nc_u64_e32 v[50:51], v[50:51], v[58:59]
	v_sub_nc_u64_e32 v[52:53], v[52:53], v[58:59]
	v_sub_nc_u64_e32 v[54:55], v[54:55], v[58:59]
	v_sub_nc_u64_e32 v[56:57], v[56:57], v[58:59]
	s_lshl_b64 s[56:57], s[18:19], 6
	v_cmp_gt_u32_e64 s10, 32, v25
	s_cmp_lt_u32 s17, s40
	v_dual_add_nc_u32 v125, v111, v61 :: v_dual_bitop2_b32 v4, 60, v24 bitop3:0x54
	v_cmp_gt_u32_e64 s17, 64, v25
	v_dual_mov_b32 v25, v19 :: v_dual_lshlrev_b32 v0, 2, v0
	v_cmp_eq_u32_e64 s0, 0, v1
	v_cmp_gt_u32_e64 s6, v60, v16
	v_cmp_ge_u32_e64 s7, v60, v16
	v_mad_u32_u24 v120, 0x10c, v63, v4
	v_mad_u32_u24 v119, 0x10c, v63, v0
	v_add_nc_u32_e32 v124, 0x11c0, v60
	v_add_nc_u32_e32 v126, v111, v62
	v_cmp_gt_i32_e64 s1, s46, v16
	v_mad_u32_u24 v121, 0x430, v1, v24
	v_mad_u32_u24 v122, 0x10c, v1, v24
	v_sub_nc_u64_e32 v[28:29], v[2:3], v[58:59]
	v_mul_u64_e32 v[58:59], s[18:19], v[26:27]
	v_and_b32_e32 v3, 0x1ffc, v64
	v_mul_u32_u24_e32 v2, 0x10c, v63
	v_add_nc_u32_e32 v27, v113, v60
	v_sub_nc_u64_e32 v[60:61], 0, v[16:17]
	v_add_nc_u32_e32 v127, 0x11c0, v24
	v_mad_u32_u24 v118, 0x10c, v63, v3
	v_sub_nc_u64_e32 v[62:63], 0, v[22:23]
	v_add_nc_u32_e32 v123, v2, v5
	v_add_nc_u32_e32 v128, 0x10c0, v18
	v_dual_add_nc_u32 v129, 17, v26 :: v_dual_add_nc_u32 v130, 18, v26
	v_dual_add_nc_u32 v131, 19, v26 :: v_dual_add_nc_u32 v132, 32, v26
	v_dual_add_nc_u32 v133, 33, v26 :: v_dual_add_nc_u32 v134, 34, v26
	v_dual_add_nc_u32 v135, 35, v26 :: v_dual_add_nc_u32 v136, 48, v26
	v_dual_add_nc_u32 v137, 49, v26 :: v_dual_add_nc_u32 v17, 50, v26
	v_add_nc_u32_e32 v138, 51, v26
	s_mul_u64 s[60:61], s[42:43], s[70:71]
	s_mul_u64 s[52:53], s[18:19], s[70:71]
	;; [unrolled: 1-line block ×3, first 2 shown]
	s_sub_nc_u64 s[60:61], 0, s[60:61]
	s_cselect_b32 s41, -1, 0
	s_add_co_i32 s45, s40, -2
	s_and_b32 s77, s0, s76
	s_sub_nc_u64 s[62:63], 0, s[46:47]
	s_add_co_i32 s78, s70, 64
	s_lshl_b64 s[64:65], s[18:19], 8
	s_mov_b64 s[66:67], 0xffffffffffffff80
	s_mov_b64 s[68:69], 0xffffffffffffff7c
	s_lshl_b64 s[30:31], s[30:31], 2
	s_lshl_b64 s[26:27], s[26:27], 2
	;; [unrolled: 1-line block ×3, first 2 shown]
	s_branch .LBB135_4
.LBB135_2:                              ;   in Loop: Header=BB135_4 Depth=1
	s_wait_xcnt 0x0
	s_or_b32 exec_lo, exec_lo, s72
.LBB135_3:                              ;   in Loop: Header=BB135_4 Depth=1
	s_add_co_i32 s34, s34, 0x10000
	s_delay_alu instid0(SALU_CYCLE_1)
	s_cmp_lt_u32 s34, s33
	s_cbranch_scc0 .LBB135_131
.LBB135_4:                              ; =>This Loop Header: Depth=1
                                        ;     Child Loop BB135_71 Depth 2
	s_mul_u64 s[18:19], s[22:23], s[34:35]
	s_wait_xcnt 0x0
	s_mul_u64 s[72:73], s[38:39], s[34:35]
	s_lshl_b64 s[18:19], s[18:19], 2
	s_lshl_b64 s[72:73], s[72:73], 2
	s_add_nc_u64 s[18:19], s[20:21], s[18:19]
	s_add_nc_u64 s[72:73], s[36:37], s[72:73]
	s_clause 0x1
	global_load_b32 v0, v19, s[18:19]
	global_load_b32 v1, v19, s[72:73]
	s_wait_loadcnt 0x1
	s_wait_xcnt 0x1
	v_cmp_eq_f32_e64 s18, 0, v0
	s_wait_loadcnt 0x0
	v_cmp_eq_f32_e32 vcc_lo, 1.0, v1
	s_and_b32 s19, s18, vcc_lo
	s_delay_alu instid0(SALU_CYCLE_1)
	s_and_b32 vcc_lo, exec_lo, s19
	s_cbranch_vccnz .LBB135_3
; %bb.5:                                ;   in Loop: Header=BB135_4 Depth=1
	s_and_b32 vcc_lo, exec_lo, s18
	s_cbranch_vccz .LBB135_7
; %bb.6:                                ;   in Loop: Header=BB135_4 Depth=1
	s_cbranch_execnz .LBB135_3
	s_branch .LBB135_8
.LBB135_7:                              ;   in Loop: Header=BB135_4 Depth=1
.LBB135_8:                              ;   in Loop: Header=BB135_4 Depth=1
	s_lshl_b64 s[18:19], s[34:35], 3
	v_mul_u64_e32 v[4:5], s[42:43], v[20:21]
	s_wait_xcnt 0x0
	s_add_nc_u64 s[72:73], s[28:29], s[18:19]
	s_add_nc_u64 s[18:19], s[24:25], s[18:19]
	s_clause 0x1
	global_load_b64 v[2:3], v19, s[72:73]
	global_load_b64 v[0:1], v19, s[18:19]
	s_wait_loadcnt 0x1
	v_add_nc_u64_e32 v[2:3], s[30:31], v[2:3]
	s_delay_alu instid0(VALU_DEP_1)
	v_lshl_add_u64 v[4:5], v[4:5], 2, v[2:3]
	s_wait_xcnt 0x0
	s_and_saveexec_b32 s18, s0
	s_cbranch_execz .LBB135_12
; %bb.9:                                ;   in Loop: Header=BB135_4 Depth=1
	v_mov_b32_e32 v2, 0
	s_and_saveexec_b32 s19, s76
	s_cbranch_execz .LBB135_11
; %bb.10:                               ;   in Loop: Header=BB135_4 Depth=1
	flat_load_b32 v2, v[4:5]
.LBB135_11:                             ;   in Loop: Header=BB135_4 Depth=1
	s_wait_xcnt 0x0
	s_or_b32 exec_lo, exec_lo, s19
	s_wait_loadcnt_dscnt 0x0
	ds_store_b32 v127, v2
.LBB135_12:                             ;   in Loop: Header=BB135_4 Depth=1
	s_or_b32 exec_lo, exec_lo, s18
	s_wait_loadcnt 0x0
	v_add_nc_u64_e32 v[0:1], s[26:27], v[0:1]
	s_and_b32 vcc_lo, exec_lo, s75
	s_mov_b32 s18, -1
	s_delay_alu instid0(VALU_DEP_1) | instskip(NEXT) | instid1(VALU_DEP_1)
	v_add_nc_u64_e32 v[0:1], s[70:71], v[0:1]
	v_lshl_add_u64 v[0:1], v[22:23], 2, v[0:1]
	s_delay_alu instid0(VALU_DEP_1)
	v_lshl_add_u64 v[2:3], s[52:53], 2, v[0:1]
                                        ; implicit-def: $vgpr0_vgpr1
	s_cbranch_vccz .LBB135_22
; %bb.13:                               ;   in Loop: Header=BB135_4 Depth=1
	s_delay_alu instid0(VALU_DEP_1) | instskip(SKIP_1) | instid1(VALU_DEP_2)
	v_lshl_add_u64 v[0:1], v[60:61], 2, v[2:3]
	v_mov_b32_e32 v7, 0
	v_lshl_add_u64 v[0:1], s[46:47], 2, v[0:1]
	s_delay_alu instid0(VALU_DEP_1) | instskip(NEXT) | instid1(VALU_DEP_1)
	v_add_nc_u64_e32 v[0:1], -4, v[0:1]
	v_dual_mov_b32 v8, 0 :: v_dual_cndmask_b32 v1, v1, v3, s1
	s_delay_alu instid0(VALU_DEP_2)
	v_cndmask_b32_e64 v0, v0, v2, s1
	s_and_saveexec_b32 s18, s2
	s_cbranch_execz .LBB135_15
; %bb.14:                               ;   in Loop: Header=BB135_4 Depth=1
	flat_load_b32 v7, v[0:1]
.LBB135_15:                             ;   in Loop: Header=BB135_4 Depth=1
	s_wait_xcnt 0x0
	s_or_b32 exec_lo, exec_lo, s18
	v_add_nc_u32_e32 v6, v111, v112
	s_wait_loadcnt_dscnt 0x0
	ds_store_b32 v6, v7
	s_and_saveexec_b32 s18, s3
	s_cbranch_execz .LBB135_17
; %bb.16:                               ;   in Loop: Header=BB135_4 Depth=1
	v_add_nc_u64_e32 v[8:9], s[54:55], v[0:1]
	flat_load_b32 v8, v[8:9]
.LBB135_17:                             ;   in Loop: Header=BB135_4 Depth=1
	s_wait_xcnt 0x0
	s_or_b32 exec_lo, exec_lo, s18
	v_dual_mov_b32 v7, 0 :: v_dual_mov_b32 v9, 0
	s_wait_loadcnt_dscnt 0x0
	ds_store_b32 v6, v8 offset:1056
	s_and_saveexec_b32 s18, s4
	s_cbranch_execz .LBB135_19
; %bb.18:                               ;   in Loop: Header=BB135_4 Depth=1
	v_add_nc_u64_e32 v[8:9], s[56:57], v[0:1]
	flat_load_b32 v9, v[8:9]
.LBB135_19:                             ;   in Loop: Header=BB135_4 Depth=1
	s_wait_xcnt 0x0
	s_or_b32 exec_lo, exec_lo, s18
	s_wait_loadcnt_dscnt 0x0
	ds_store_b32 v6, v9 offset:2112
	s_and_saveexec_b32 s18, s5
	s_cbranch_execz .LBB135_21
; %bb.20:                               ;   in Loop: Header=BB135_4 Depth=1
	v_add_nc_u64_e32 v[8:9], s[58:59], v[0:1]
	flat_load_b32 v7, v[8:9]
.LBB135_21:                             ;   in Loop: Header=BB135_4 Depth=1
	s_wait_xcnt 0x0
	s_or_b32 exec_lo, exec_lo, s18
	v_lshlrev_b32_e32 v18, 2, v16
	s_mov_b32 s18, 0
	s_wait_loadcnt_dscnt 0x0
	ds_store_b32 v6, v7 offset:3168
	v_add_nc_u64_e32 v[0:1], v[0:1], v[18:19]
	s_delay_alu instid0(VALU_DEP_1) | instskip(NEXT) | instid1(VALU_DEP_1)
	v_lshl_add_u64 v[0:1], s[62:63], 2, v[0:1]
	v_add_nc_u64_e32 v[0:1], 4, v[0:1]
	s_delay_alu instid0(VALU_DEP_1)
	v_dual_cndmask_b32 v1, v1, v3, s1 :: v_dual_cndmask_b32 v0, v0, v2, s1
.LBB135_22:                             ;   in Loop: Header=BB135_4 Depth=1
	v_add_nc_u32_e32 v8, v111, v112
	s_and_b32 vcc_lo, exec_lo, s18
	s_cbranch_vccz .LBB135_24
; %bb.23:                               ;   in Loop: Header=BB135_4 Depth=1
	v_add_nc_u64_e32 v[0:1], s[54:55], v[2:3]
	s_delay_alu instid0(VALU_DEP_1) | instskip(NEXT) | instid1(VALU_DEP_1)
	v_add_nc_u64_e32 v[6:7], s[54:55], v[0:1]
	v_add_nc_u64_e32 v[10:11], s[54:55], v[6:7]
	s_clause 0x3
	flat_load_b32 v9, v[2:3]
	flat_load_b32 v12, v[0:1]
	;; [unrolled: 1-line block ×4, first 2 shown]
	v_mov_b64_e32 v[0:1], v[2:3]
	s_wait_loadcnt_dscnt 0x303
	ds_store_b32 v8, v9
	s_wait_loadcnt_dscnt 0x203
	ds_store_b32 v8, v12 offset:1056
	s_wait_loadcnt_dscnt 0x103
	ds_store_b32 v8, v6 offset:2112
	;; [unrolled: 2-line block ×3, first 2 shown]
.LBB135_24:                             ;   in Loop: Header=BB135_4 Depth=1
	s_wait_dscnt 0x0
	s_barrier_signal -1
	s_barrier_wait -1
	s_wait_xcnt 0x0
	s_and_saveexec_b32 s18, s6
	s_cbranch_execnz .LBB135_125
; %bb.25:                               ;   in Loop: Header=BB135_4 Depth=1
	s_or_b32 exec_lo, exec_lo, s18
	s_and_saveexec_b32 s18, s7
	s_cbranch_execnz .LBB135_126
.LBB135_26:                             ;   in Loop: Header=BB135_4 Depth=1
	s_or_b32 exec_lo, exec_lo, s18
	s_and_saveexec_b32 s18, s8
	s_cbranch_execnz .LBB135_127
.LBB135_27:                             ;   in Loop: Header=BB135_4 Depth=1
	s_or_b32 exec_lo, exec_lo, s18
	s_and_saveexec_b32 s18, s9
	s_cbranch_execz .LBB135_29
.LBB135_28:                             ;   in Loop: Header=BB135_4 Depth=1
	ds_load_b32 v2, v126 offset:264
	s_wait_dscnt 0x0
	ds_store_b32 v114, v2 offset:12
.LBB135_29:                             ;   in Loop: Header=BB135_4 Depth=1
	s_or_b32 exec_lo, exec_lo, s18
	s_wait_dscnt 0x0
	s_barrier_signal -1
	s_barrier_wait -1
	ds_load_2addr_b32 v[2:3], v126 offset1:33
	ds_load_b32 v6, v125
	ds_load_b128 v[10:13], v115
	ds_load_b32 v15, v126 offset:264
	s_wait_dscnt 0x0
	s_barrier_signal -1
	s_barrier_wait -1
	v_dual_mov_b32 v139, 0 :: v_dual_mov_b32 v7, v2
	v_mov_b32_e32 v14, v3
	s_delay_alu instid0(VALU_DEP_2) | instskip(NEXT) | instid1(VALU_DEP_2)
	v_pk_mul_f32 v[6:7], v[6:7], v[10:11]
	v_pk_mul_f32 v[2:3], v[14:15], v[12:13]
	s_delay_alu instid0(VALU_DEP_2) | instskip(NEXT) | instid1(VALU_DEP_1)
	v_add_f32_e32 v6, 0, v6
	v_add_f32_e32 v6, v6, v7
	s_delay_alu instid0(VALU_DEP_1) | instskip(NEXT) | instid1(VALU_DEP_1)
	v_add_f32_e32 v2, v6, v2
	v_add_f32_e32 v2, v2, v3
	ds_store_b32 v116, v2
	s_wait_dscnt 0x0
	s_barrier_signal -1
	s_barrier_wait -1
	s_and_saveexec_b32 s18, s10
	s_cbranch_execz .LBB135_31
; %bb.30:                               ;   in Loop: Header=BB135_4 Depth=1
	ds_load_2addr_b32 v[2:3], v113 offset1:1
	ds_load_2addr_b32 v[6:7], v113 offset0:2 offset1:3
	ds_load_2addr_b32 v[10:11], v113 offset0:4 offset1:5
	;; [unrolled: 1-line block ×3, first 2 shown]
	s_wait_dscnt 0x3
	v_add_f32_e32 v2, v2, v3
	s_wait_dscnt 0x2
	s_delay_alu instid0(VALU_DEP_1) | instskip(NEXT) | instid1(VALU_DEP_1)
	v_add_f32_e32 v2, v2, v6
	v_add_f32_e32 v2, v2, v7
	s_wait_dscnt 0x1
	s_delay_alu instid0(VALU_DEP_1) | instskip(NEXT) | instid1(VALU_DEP_1)
	v_add_f32_e32 v2, v2, v10
	;; [unrolled: 4-line block ×3, first 2 shown]
	v_add_f32_e32 v139, v2, v13
.LBB135_31:                             ;   in Loop: Header=BB135_4 Depth=1
	s_or_b32 exec_lo, exec_lo, s18
	v_lshl_add_u64 v[6:7], s[54:55], 2, v[0:1]
	s_and_b32 vcc_lo, exec_lo, s75
	s_mov_b32 s18, -1
	s_barrier_signal -1
	s_delay_alu instid0(VALU_DEP_1)
	v_add_nc_u64_e32 v[2:3], 0x80, v[6:7]
	s_barrier_wait -1
                                        ; implicit-def: $vgpr0_vgpr1
	s_cbranch_vccz .LBB135_41
; %bb.32:                               ;   in Loop: Header=BB135_4 Depth=1
	v_lshl_add_u64 v[0:1], v[60:61], 2, v[6:7]
	v_mov_b32_e32 v9, 0
	s_delay_alu instid0(VALU_DEP_2) | instskip(NEXT) | instid1(VALU_DEP_1)
	v_lshl_add_u64 v[0:1], s[46:47], 2, v[0:1]
	v_add_nc_u64_e32 v[0:1], -4, v[0:1]
	s_delay_alu instid0(VALU_DEP_1) | instskip(NEXT) | instid1(VALU_DEP_2)
	v_dual_mov_b32 v10, 0 :: v_dual_cndmask_b32 v1, v1, v3, s11
	v_cndmask_b32_e64 v0, v0, v2, s11
	s_and_saveexec_b32 s18, s12
	s_cbranch_execz .LBB135_34
; %bb.33:                               ;   in Loop: Header=BB135_4 Depth=1
	flat_load_b32 v9, v[0:1]
.LBB135_34:                             ;   in Loop: Header=BB135_4 Depth=1
	s_wait_xcnt 0x0
	s_or_b32 exec_lo, exec_lo, s18
	s_wait_loadcnt_dscnt 0x0
	ds_store_b32 v8, v9
	s_and_saveexec_b32 s18, s13
	s_cbranch_execz .LBB135_36
; %bb.35:                               ;   in Loop: Header=BB135_4 Depth=1
	v_add_nc_u64_e32 v[10:11], s[54:55], v[0:1]
	flat_load_b32 v10, v[10:11]
.LBB135_36:                             ;   in Loop: Header=BB135_4 Depth=1
	s_wait_xcnt 0x0
	s_or_b32 exec_lo, exec_lo, s18
	v_dual_mov_b32 v9, 0 :: v_dual_mov_b32 v11, 0
	s_wait_loadcnt_dscnt 0x0
	ds_store_b32 v8, v10 offset:1056
	s_and_saveexec_b32 s18, s14
	s_cbranch_execz .LBB135_38
; %bb.37:                               ;   in Loop: Header=BB135_4 Depth=1
	v_add_nc_u64_e32 v[10:11], s[56:57], v[0:1]
	flat_load_b32 v11, v[10:11]
.LBB135_38:                             ;   in Loop: Header=BB135_4 Depth=1
	s_wait_xcnt 0x0
	s_or_b32 exec_lo, exec_lo, s18
	s_wait_loadcnt_dscnt 0x0
	ds_store_b32 v8, v11 offset:2112
	s_and_saveexec_b32 s18, s15
	s_cbranch_execz .LBB135_40
; %bb.39:                               ;   in Loop: Header=BB135_4 Depth=1
	v_add_nc_u64_e32 v[10:11], s[58:59], v[0:1]
	flat_load_b32 v9, v[10:11]
.LBB135_40:                             ;   in Loop: Header=BB135_4 Depth=1
	s_wait_xcnt 0x0
	s_or_b32 exec_lo, exec_lo, s18
	v_lshlrev_b32_e32 v18, 2, v16
	s_mov_b32 s18, 0
	s_wait_loadcnt_dscnt 0x0
	ds_store_b32 v8, v9 offset:3168
	v_add_nc_u64_e32 v[0:1], v[0:1], v[18:19]
	s_delay_alu instid0(VALU_DEP_1) | instskip(NEXT) | instid1(VALU_DEP_1)
	v_lshl_add_u64 v[0:1], s[62:63], 2, v[0:1]
	v_add_nc_u64_e32 v[0:1], 0x84, v[0:1]
	s_delay_alu instid0(VALU_DEP_1)
	v_dual_cndmask_b32 v1, v1, v3, s11 :: v_dual_cndmask_b32 v0, v0, v2, s11
.LBB135_41:                             ;   in Loop: Header=BB135_4 Depth=1
	s_and_b32 vcc_lo, exec_lo, s18
	s_cbranch_vccz .LBB135_43
; %bb.42:                               ;   in Loop: Header=BB135_4 Depth=1
	v_add_nc_u64_e32 v[0:1], s[54:55], v[6:7]
	s_delay_alu instid0(VALU_DEP_1) | instskip(NEXT) | instid1(VALU_DEP_1)
	v_add_nc_u64_e32 v[10:11], s[54:55], v[0:1]
	v_add_nc_u64_e32 v[12:13], s[54:55], v[10:11]
	s_clause 0x3
	flat_load_b32 v6, v[6:7] offset:128
	flat_load_b32 v7, v[0:1] offset:128
	;; [unrolled: 1-line block ×4, first 2 shown]
	v_mov_b64_e32 v[0:1], v[2:3]
	s_wait_loadcnt_dscnt 0x303
	ds_store_b32 v8, v6
	s_wait_loadcnt_dscnt 0x203
	ds_store_b32 v8, v7 offset:1056
	s_wait_loadcnt_dscnt 0x103
	ds_store_b32 v8, v9 offset:2112
	;; [unrolled: 2-line block ×3, first 2 shown]
.LBB135_43:                             ;   in Loop: Header=BB135_4 Depth=1
	s_wait_dscnt 0x0
	s_barrier_signal -1
	s_barrier_wait -1
	s_wait_xcnt 0x0
	s_and_saveexec_b32 s18, s6
	s_cbranch_execnz .LBB135_128
; %bb.44:                               ;   in Loop: Header=BB135_4 Depth=1
	s_or_b32 exec_lo, exec_lo, s18
	s_and_saveexec_b32 s18, s7
	s_cbranch_execnz .LBB135_129
.LBB135_45:                             ;   in Loop: Header=BB135_4 Depth=1
	s_or_b32 exec_lo, exec_lo, s18
	s_and_saveexec_b32 s18, s8
	s_cbranch_execnz .LBB135_130
.LBB135_46:                             ;   in Loop: Header=BB135_4 Depth=1
	s_or_b32 exec_lo, exec_lo, s18
	s_and_saveexec_b32 s18, s9
	s_cbranch_execz .LBB135_48
.LBB135_47:                             ;   in Loop: Header=BB135_4 Depth=1
	ds_load_b32 v2, v126 offset:264
	s_wait_dscnt 0x0
	ds_store_b32 v114, v2 offset:12
.LBB135_48:                             ;   in Loop: Header=BB135_4 Depth=1
	s_or_b32 exec_lo, exec_lo, s18
	s_wait_dscnt 0x0
	s_barrier_signal -1
	s_barrier_wait -1
	ds_load_2addr_b32 v[2:3], v126 offset1:33
	ds_load_b32 v6, v125
	ds_load_b128 v[10:13], v115 offset:128
	ds_load_b32 v15, v126 offset:264
	s_wait_dscnt 0x0
	s_barrier_signal -1
	s_barrier_wait -1
	v_dual_mov_b32 v7, v2 :: v_dual_mov_b32 v14, v3
	s_delay_alu instid0(VALU_DEP_1) | instskip(NEXT) | instid1(VALU_DEP_2)
	v_pk_mul_f32 v[6:7], v[6:7], v[10:11]
	v_pk_mul_f32 v[2:3], v[14:15], v[12:13]
	s_delay_alu instid0(VALU_DEP_2) | instskip(NEXT) | instid1(VALU_DEP_1)
	v_add_f32_e32 v6, 0, v6
	v_add_f32_e32 v6, v6, v7
	s_delay_alu instid0(VALU_DEP_1) | instskip(NEXT) | instid1(VALU_DEP_1)
	v_add_f32_e32 v2, v6, v2
	v_add_f32_e32 v2, v2, v3
	ds_store_b32 v116, v2
	s_wait_dscnt 0x0
	s_barrier_signal -1
	s_barrier_wait -1
	s_and_saveexec_b32 s18, s16
	s_cbranch_execz .LBB135_50
; %bb.49:                               ;   in Loop: Header=BB135_4 Depth=1
	ds_load_2addr_b32 v[2:3], v113 offset1:1
	ds_load_2addr_b32 v[6:7], v113 offset0:2 offset1:3
	ds_load_2addr_b32 v[10:11], v113 offset0:4 offset1:5
	;; [unrolled: 1-line block ×3, first 2 shown]
	s_wait_dscnt 0x3
	v_add_f32_e32 v2, v2, v3
	s_wait_dscnt 0x2
	s_delay_alu instid0(VALU_DEP_1) | instskip(NEXT) | instid1(VALU_DEP_1)
	v_add_f32_e32 v2, v2, v6
	v_add_f32_e32 v2, v2, v7
	s_wait_dscnt 0x1
	s_delay_alu instid0(VALU_DEP_1) | instskip(NEXT) | instid1(VALU_DEP_1)
	v_add_f32_e32 v2, v2, v10
	;; [unrolled: 4-line block ×3, first 2 shown]
	v_add_f32_e32 v139, v2, v13
.LBB135_50:                             ;   in Loop: Header=BB135_4 Depth=1
	s_or_b32 exec_lo, exec_lo, s18
	v_add_nc_u64_e32 v[2:3], s[66:67], v[0:1]
	s_and_b32 vcc_lo, exec_lo, s75
	s_mov_b32 s18, -1
	s_barrier_signal -1
	s_barrier_wait -1
                                        ; implicit-def: $vgpr6_vgpr7
	s_cbranch_vccz .LBB135_60
; %bb.51:                               ;   in Loop: Header=BB135_4 Depth=1
	v_lshl_add_u64 v[6:7], v[60:61], 2, v[0:1]
	v_mov_b32_e32 v9, 0
	s_delay_alu instid0(VALU_DEP_2) | instskip(NEXT) | instid1(VALU_DEP_1)
	v_lshl_add_u64 v[6:7], s[46:47], 2, v[6:7]
	v_add_nc_u64_e32 v[6:7], s[68:69], v[6:7]
	s_delay_alu instid0(VALU_DEP_1) | instskip(NEXT) | instid1(VALU_DEP_2)
	v_dual_mov_b32 v10, 0 :: v_dual_cndmask_b32 v7, v7, v3, s1
	v_cndmask_b32_e64 v6, v6, v2, s1
	s_and_saveexec_b32 s18, s12
	s_cbranch_execz .LBB135_53
; %bb.52:                               ;   in Loop: Header=BB135_4 Depth=1
	flat_load_b32 v9, v[6:7]
.LBB135_53:                             ;   in Loop: Header=BB135_4 Depth=1
	s_wait_xcnt 0x0
	s_or_b32 exec_lo, exec_lo, s18
	s_wait_loadcnt_dscnt 0x0
	ds_store_b32 v8, v9
	s_and_saveexec_b32 s18, s13
	s_cbranch_execz .LBB135_55
; %bb.54:                               ;   in Loop: Header=BB135_4 Depth=1
	v_add_nc_u64_e32 v[10:11], s[54:55], v[6:7]
	flat_load_b32 v10, v[10:11]
.LBB135_55:                             ;   in Loop: Header=BB135_4 Depth=1
	s_wait_xcnt 0x0
	s_or_b32 exec_lo, exec_lo, s18
	v_dual_mov_b32 v9, 0 :: v_dual_mov_b32 v11, 0
	s_wait_loadcnt_dscnt 0x0
	ds_store_b32 v8, v10 offset:1056
	s_and_saveexec_b32 s18, s14
	s_cbranch_execz .LBB135_57
; %bb.56:                               ;   in Loop: Header=BB135_4 Depth=1
	v_add_nc_u64_e32 v[10:11], s[56:57], v[6:7]
	flat_load_b32 v11, v[10:11]
.LBB135_57:                             ;   in Loop: Header=BB135_4 Depth=1
	s_wait_xcnt 0x0
	s_or_b32 exec_lo, exec_lo, s18
	s_wait_loadcnt_dscnt 0x0
	ds_store_b32 v8, v11 offset:2112
	s_and_saveexec_b32 s18, s15
	s_cbranch_execz .LBB135_59
; %bb.58:                               ;   in Loop: Header=BB135_4 Depth=1
	v_add_nc_u64_e32 v[10:11], s[58:59], v[6:7]
	flat_load_b32 v9, v[10:11]
.LBB135_59:                             ;   in Loop: Header=BB135_4 Depth=1
	s_wait_xcnt 0x0
	s_or_b32 exec_lo, exec_lo, s18
	v_lshlrev_b32_e32 v18, 2, v16
	s_mov_b32 s18, 0
	s_wait_loadcnt_dscnt 0x0
	ds_store_b32 v8, v9 offset:3168
	v_add_nc_u64_e32 v[6:7], v[6:7], v[18:19]
	s_delay_alu instid0(VALU_DEP_1) | instskip(NEXT) | instid1(VALU_DEP_1)
	v_lshl_add_u64 v[6:7], s[62:63], 2, v[6:7]
	v_add_nc_u64_e32 v[6:7], 4, v[6:7]
	s_delay_alu instid0(VALU_DEP_1)
	v_dual_cndmask_b32 v7, v7, v3, s1 :: v_dual_cndmask_b32 v6, v6, v2, s1
.LBB135_60:                             ;   in Loop: Header=BB135_4 Depth=1
	s_and_b32 vcc_lo, exec_lo, s18
	s_cbranch_vccz .LBB135_62
; %bb.61:                               ;   in Loop: Header=BB135_4 Depth=1
	v_add_nc_u64_e32 v[6:7], s[54:55], v[0:1]
	s_delay_alu instid0(VALU_DEP_1) | instskip(NEXT) | instid1(VALU_DEP_1)
	v_add_nc_u64_e32 v[10:11], s[54:55], v[6:7]
	v_add_nc_u64_e32 v[12:13], s[54:55], v[10:11]
	s_clause 0x3
	flat_load_b32 v0, v[0:1] offset:-128
	flat_load_b32 v1, v[6:7] offset:-128
	;; [unrolled: 1-line block ×4, first 2 shown]
	v_mov_b64_e32 v[6:7], v[2:3]
	s_wait_loadcnt_dscnt 0x303
	ds_store_b32 v8, v0
	s_wait_loadcnt_dscnt 0x203
	ds_store_b32 v8, v1 offset:1056
	s_wait_loadcnt_dscnt 0x103
	ds_store_b32 v8, v9 offset:2112
	;; [unrolled: 2-line block ×3, first 2 shown]
.LBB135_62:                             ;   in Loop: Header=BB135_4 Depth=1
	v_dual_add_nc_u32 v9, v114, v117 :: v_dual_add_nc_u32 v8, v115, v117
	s_wait_dscnt 0x0
	s_barrier_signal -1
	s_barrier_wait -1
	ds_load_2addr_b32 v[0:1], v27 offset0:8 offset1:16
	ds_load_2addr_b32 v[2:3], v124 offset0:8 offset1:16
	ds_load_b32 v8, v8
	s_wait_xcnt 0x0
	ds_load_b32 v12, v9
	ds_load_b32 v15, v27 offset:96
	ds_load_b32 v65, v124 offset:96
	;; [unrolled: 1-line block ×3, first 2 shown]
	ds_load_b32 v11, v125
	s_wait_dscnt 0x6
	v_dual_mov_b32 v13, v0 :: v_dual_mov_b32 v9, v2
	v_dual_mov_b32 v14, v1 :: v_dual_mov_b32 v64, v3
	s_wait_dscnt 0x4
	s_delay_alu instid0(VALU_DEP_2)
	v_pk_mul_f32 v[12:13], v[12:13], v[8:9]
	ds_load_2addr_b32 v[8:9], v126 offset1:33
	ds_load_b128 v[0:3], v115 offset:128
	s_wait_dscnt 0x4
	v_pk_mul_f32 v[14:15], v[14:15], v[64:65]
	s_wait_dscnt 0x0
	s_barrier_signal -1
	v_add_f32_e32 v12, 0, v12
	s_barrier_wait -1
	s_delay_alu instid0(VALU_DEP_1) | instskip(NEXT) | instid1(VALU_DEP_1)
	v_add_f32_e32 v12, v12, v13
	v_add_f32_e32 v12, v12, v14
	s_delay_alu instid0(VALU_DEP_1)
	v_add_f32_e32 v12, v12, v15
	ds_store_b32 v116, v12
	s_wait_dscnt 0x0
	s_barrier_signal -1
	s_barrier_wait -1
	s_and_saveexec_b32 s18, s16
	s_cbranch_execz .LBB135_64
; %bb.63:                               ;   in Loop: Header=BB135_4 Depth=1
	ds_load_2addr_b32 v[12:13], v113 offset1:1
	ds_load_2addr_b32 v[14:15], v113 offset0:2 offset1:3
	ds_load_2addr_b32 v[64:65], v113 offset0:4 offset1:5
	ds_load_2addr_b32 v[66:67], v113 offset0:6 offset1:7
	s_wait_dscnt 0x3
	v_add_f32_e32 v12, v139, v12
	s_delay_alu instid0(VALU_DEP_1) | instskip(SKIP_1) | instid1(VALU_DEP_1)
	v_add_f32_e32 v12, v12, v13
	s_wait_dscnt 0x2
	v_add_f32_e32 v12, v12, v14
	s_delay_alu instid0(VALU_DEP_1) | instskip(SKIP_1) | instid1(VALU_DEP_1)
	v_add_f32_e32 v12, v12, v15
	;; [unrolled: 4-line block ×3, first 2 shown]
	s_wait_dscnt 0x0
	v_add_f32_e32 v12, v12, v66
	s_delay_alu instid0(VALU_DEP_1)
	v_add_f32_e32 v139, v12, v67
.LBB135_64:                             ;   in Loop: Header=BB135_4 Depth=1
	s_or_b32 exec_lo, exec_lo, s18
	v_fma_f32 v0, v11, v0, 0
	s_barrier_signal -1
	s_barrier_wait -1
	s_delay_alu instid0(VALU_DEP_1) | instskip(NEXT) | instid1(VALU_DEP_1)
	v_fmac_f32_e32 v0, v8, v1
	v_fmac_f32_e32 v0, v9, v2
	s_delay_alu instid0(VALU_DEP_1)
	v_fmac_f32_e32 v0, v10, v3
	ds_store_b32 v116, v0
	s_wait_dscnt 0x0
	s_barrier_signal -1
	s_barrier_wait -1
	s_and_saveexec_b32 s18, s10
	s_cbranch_execz .LBB135_66
; %bb.65:                               ;   in Loop: Header=BB135_4 Depth=1
	ds_load_2addr_b32 v[0:1], v113 offset1:1
	ds_load_2addr_b32 v[2:3], v113 offset0:2 offset1:3
	ds_load_2addr_b32 v[8:9], v113 offset0:4 offset1:5
	;; [unrolled: 1-line block ×3, first 2 shown]
	s_wait_dscnt 0x3
	v_add_f32_e32 v0, v139, v0
	s_delay_alu instid0(VALU_DEP_1) | instskip(SKIP_1) | instid1(VALU_DEP_1)
	v_add_f32_e32 v0, v0, v1
	s_wait_dscnt 0x2
	v_add_f32_e32 v0, v0, v2
	s_delay_alu instid0(VALU_DEP_1) | instskip(SKIP_1) | instid1(VALU_DEP_1)
	v_add_f32_e32 v0, v0, v3
	;; [unrolled: 4-line block ×3, first 2 shown]
	s_wait_dscnt 0x0
	v_add_f32_e32 v0, v0, v10
	s_delay_alu instid0(VALU_DEP_1)
	v_add_f32_e32 v139, v0, v11
.LBB135_66:                             ;   in Loop: Header=BB135_4 Depth=1
	s_or_b32 exec_lo, exec_lo, s18
	s_mul_u64 s[18:19], s[48:49], s[34:35]
	s_and_not1_b32 vcc_lo, exec_lo, s41
	s_lshl_b64 s[18:19], s[18:19], 2
	s_delay_alu instid0(SALU_CYCLE_1)
	s_add_nc_u64 s[18:19], s[50:51], s[18:19]
	s_barrier_signal -1
	s_barrier_wait -1
	s_cbranch_vccnz .LBB135_123
; %bb.67:                               ;   in Loop: Header=BB135_4 Depth=1
	v_lshl_add_u64 v[0:1], s[54:55], 2, v[6:7]
	v_add_nc_u64_e32 v[64:65], v[6:7], v[28:29]
	v_add_nc_u64_e32 v[66:67], v[6:7], v[30:31]
	;; [unrolled: 1-line block ×4, first 2 shown]
	v_lshl_add_u64 v[0:1], v[62:63], 2, v[0:1]
	v_add_nc_u64_e32 v[72:73], v[6:7], v[36:37]
	v_add_nc_u64_e32 v[74:75], v[6:7], v[38:39]
	;; [unrolled: 1-line block ×11, first 2 shown]
	v_lshl_add_u64 v[94:95], s[60:61], 2, v[4:5]
	v_lshl_add_u64 v[96:97], v[58:59], 2, v[0:1]
	s_mov_b32 s72, s78
	s_mov_b32 s79, s44
	s_delay_alu instid0(SALU_CYCLE_1)
	s_cmp_eq_u32 s45, s79
	s_cselect_b32 s80, s74, 0
	s_and_saveexec_b32 s81, s0
	s_cbranch_execz .LBB135_71
.LBB135_68:                             ;   in Loop: Header=BB135_4 Depth=1
	v_cmp_gt_i32_e32 vcc_lo, s80, v110
	s_cmp_eq_u32 s80, 0
	v_mov_b32_e32 v0, 0
	s_cselect_b32 s73, -1, 0
	s_delay_alu instid0(SALU_CYCLE_1) | instskip(NEXT) | instid1(SALU_CYCLE_1)
	s_or_b32 s73, s73, vcc_lo
	s_and_saveexec_b32 s82, s73
	s_cbranch_execz .LBB135_70
; %bb.69:                               ;   in Loop: Header=BB135_4 Depth=1
	s_ashr_i32 s73, s72, 31
	s_delay_alu instid0(SALU_CYCLE_1) | instskip(NEXT) | instid1(SALU_CYCLE_1)
	s_mul_u64 s[84:85], s[42:43], s[72:73]
	v_lshl_add_u64 v[0:1], s[84:85], 2, v[94:95]
	flat_load_b32 v0, v[0:1]
.LBB135_70:                             ;   in Loop: Header=BB135_4 Depth=1
	s_wait_xcnt 0x0
	s_or_b32 exec_lo, exec_lo, s82
	v_add_nc_u32_e32 v1, 0x10c0, v24
	s_wait_loadcnt_dscnt 0x0
	ds_store_b32 v1, v0
.LBB135_71:                             ;   Parent Loop BB135_4 Depth=1
                                        ; =>  This Inner Loop Header: Depth=2
	s_or_b32 exec_lo, exec_lo, s81
	s_cmp_eq_u32 s80, 0
	v_add_nc_u64_e32 v[0:1], v[96:97], v[24:25]
	s_cselect_b32 s73, -1, 0
	s_cmp_lg_u32 s80, 0
	s_mov_b32 s82, -1
	s_cselect_b32 s81, -1, 0
	s_wait_dscnt 0x0
	s_and_b32 vcc_lo, exec_lo, s81
	s_barrier_signal -1
	s_barrier_wait -1
                                        ; implicit-def: $vgpr141
                                        ; implicit-def: $vgpr142
                                        ; implicit-def: $vgpr18
                                        ; implicit-def: $vgpr140
	s_cbranch_vccz .LBB135_81
; %bb.72:                               ;   in Loop: Header=BB135_71 Depth=2
	v_dual_mov_b32 v18, 0 :: v_dual_mov_b32 v140, 0
	s_mov_b32 s82, exec_lo
	v_cmpx_gt_i32_e64 s80, v26
	s_cbranch_execz .LBB135_74
; %bb.73:                               ;   in Loop: Header=BB135_71 Depth=2
	flat_load_b32 v140, v[0:1]
.LBB135_74:                             ;   in Loop: Header=BB135_71 Depth=2
	s_wait_xcnt 0x0
	s_or_b32 exec_lo, exec_lo, s82
	v_or_b32_e32 v2, 1, v26
	s_mov_b32 s82, exec_lo
	s_delay_alu instid0(VALU_DEP_1)
	v_cmpx_gt_i32_e64 s80, v2
	s_cbranch_execz .LBB135_76
; %bb.75:                               ;   in Loop: Header=BB135_71 Depth=2
	v_add_nc_u64_e32 v[2:3], v[68:69], v[24:25]
	flat_load_b32 v18, v[2:3]
.LBB135_76:                             ;   in Loop: Header=BB135_71 Depth=2
	s_wait_xcnt 0x0
	s_or_b32 exec_lo, exec_lo, s82
	v_dual_mov_b32 v141, 0 :: v_dual_bitop2_b32 v2, 2, v26 bitop3:0x54
	v_mov_b32_e32 v142, 0
	s_mov_b32 s82, exec_lo
	s_delay_alu instid0(VALU_DEP_2)
	v_cmpx_gt_i32_e64 s80, v2
	s_cbranch_execz .LBB135_78
; %bb.77:                               ;   in Loop: Header=BB135_71 Depth=2
	v_add_nc_u64_e32 v[2:3], v[64:65], v[24:25]
	flat_load_b32 v142, v[2:3]
.LBB135_78:                             ;   in Loop: Header=BB135_71 Depth=2
	s_wait_xcnt 0x0
	s_or_b32 exec_lo, exec_lo, s82
	v_or_b32_e32 v2, 3, v26
	s_mov_b32 s82, exec_lo
	s_delay_alu instid0(VALU_DEP_1)
	v_cmpx_gt_i32_e64 s80, v2
	s_cbranch_execz .LBB135_80
; %bb.79:                               ;   in Loop: Header=BB135_71 Depth=2
	v_add_nc_u64_e32 v[2:3], v[66:67], v[24:25]
	flat_load_b32 v141, v[2:3]
.LBB135_80:                             ;   in Loop: Header=BB135_71 Depth=2
	s_wait_xcnt 0x0
	s_or_b32 exec_lo, exec_lo, s82
	s_mov_b32 s82, 0
.LBB135_81:                             ;   in Loop: Header=BB135_71 Depth=2
	s_delay_alu instid0(SALU_CYCLE_1)
	s_and_b32 vcc_lo, exec_lo, s82
	s_cbranch_vccz .LBB135_83
; %bb.82:                               ;   in Loop: Header=BB135_71 Depth=2
	v_add_nc_u64_e32 v[2:3], v[68:69], v[24:25]
	v_add_nc_u64_e32 v[4:5], v[64:65], v[24:25]
	;; [unrolled: 1-line block ×3, first 2 shown]
	s_wait_loadcnt_dscnt 0x0
	flat_load_b32 v140, v[0:1]
	flat_load_b32 v18, v[2:3]
	;; [unrolled: 1-line block ×4, first 2 shown]
.LBB135_83:                             ;   in Loop: Header=BB135_71 Depth=2
	s_wait_xcnt 0x1
	ds_load_b32 v4, v127
	ds_load_b128 v[0:3], v128
	v_cndmask_b32_e64 v12, 0, 1, s81
	s_and_not1_b32 vcc_lo, exec_lo, s81
	s_mov_b32 s81, -1
                                        ; implicit-def: $vgpr145
                                        ; implicit-def: $vgpr146
                                        ; implicit-def: $vgpr143
                                        ; implicit-def: $vgpr144
	s_wait_loadcnt_dscnt 0x1
	s_wait_xcnt 0x0
	v_dual_mul_f32 v5, v140, v4 :: v_dual_mul_f32 v6, v18, v4
	v_dual_mul_f32 v7, v142, v4 :: v_dual_mul_f32 v4, v141, v4
	ds_store_2addr_b32 v121, v5, v6 offset1:67
	ds_store_2addr_b32 v121, v7, v4 offset0:134 offset1:201
	s_wait_dscnt 0x0
	s_barrier_signal -1
	s_barrier_wait -1
	ds_load_2addr_b32 v[100:101], v123 offset1:1
	ds_load_2addr_b32 v[98:99], v123 offset0:2 offset1:3
	v_add_nc_u64_e32 v[4:5], v[76:77], v[24:25]
	s_wait_dscnt 0x0
	s_barrier_signal -1
	s_barrier_wait -1
	s_cbranch_vccnz .LBB135_93
; %bb.84:                               ;   in Loop: Header=BB135_71 Depth=2
	v_dual_mov_b32 v143, 0 :: v_dual_add_nc_u32 v6, 16, v26
	v_mov_b32_e32 v144, 0
	s_mov_b32 s81, exec_lo
	s_delay_alu instid0(VALU_DEP_2)
	v_cmpx_gt_i32_e64 s80, v6
	s_cbranch_execz .LBB135_86
; %bb.85:                               ;   in Loop: Header=BB135_71 Depth=2
	flat_load_b32 v144, v[4:5]
.LBB135_86:                             ;   in Loop: Header=BB135_71 Depth=2
	s_wait_xcnt 0x0
	s_or_b32 exec_lo, exec_lo, s81
	s_delay_alu instid0(SALU_CYCLE_1)
	s_mov_b32 s81, exec_lo
	v_cmpx_gt_i32_e64 s80, v129
	s_cbranch_execz .LBB135_88
; %bb.87:                               ;   in Loop: Header=BB135_71 Depth=2
	v_add_nc_u64_e32 v[6:7], v[74:75], v[24:25]
	flat_load_b32 v143, v[6:7]
.LBB135_88:                             ;   in Loop: Header=BB135_71 Depth=2
	s_wait_xcnt 0x0
	s_or_b32 exec_lo, exec_lo, s81
	v_dual_mov_b32 v145, 0 :: v_dual_mov_b32 v146, 0
	s_mov_b32 s81, exec_lo
	v_cmpx_gt_i32_e64 s80, v130
	s_cbranch_execz .LBB135_90
; %bb.89:                               ;   in Loop: Header=BB135_71 Depth=2
	v_add_nc_u64_e32 v[6:7], v[70:71], v[24:25]
	flat_load_b32 v146, v[6:7]
.LBB135_90:                             ;   in Loop: Header=BB135_71 Depth=2
	s_wait_xcnt 0x0
	s_or_b32 exec_lo, exec_lo, s81
	s_delay_alu instid0(SALU_CYCLE_1)
	s_mov_b32 s81, exec_lo
	v_cmpx_gt_i32_e64 s80, v131
	s_cbranch_execz .LBB135_92
; %bb.91:                               ;   in Loop: Header=BB135_71 Depth=2
	v_add_nc_u64_e32 v[6:7], v[72:73], v[24:25]
	flat_load_b32 v145, v[6:7]
.LBB135_92:                             ;   in Loop: Header=BB135_71 Depth=2
	s_wait_xcnt 0x0
	s_or_b32 exec_lo, exec_lo, s81
	s_mov_b32 s81, 0
.LBB135_93:                             ;   in Loop: Header=BB135_71 Depth=2
	s_delay_alu instid0(SALU_CYCLE_1)
	s_and_b32 vcc_lo, exec_lo, s81
	s_cbranch_vccz .LBB135_95
; %bb.94:                               ;   in Loop: Header=BB135_71 Depth=2
	v_add_nc_u64_e32 v[6:7], v[74:75], v[24:25]
	v_add_nc_u64_e32 v[8:9], v[70:71], v[24:25]
	;; [unrolled: 1-line block ×3, first 2 shown]
	s_wait_loadcnt_dscnt 0x0
	flat_load_b32 v144, v[4:5]
	flat_load_b32 v143, v[6:7]
	;; [unrolled: 1-line block ×4, first 2 shown]
.LBB135_95:                             ;   in Loop: Header=BB135_71 Depth=2
	s_wait_xcnt 0x1
	ds_load_b32 v8, v127
	ds_load_b128 v[4:7], v128 offset:64
	v_cmp_ne_u32_e32 vcc_lo, 1, v12
	s_mov_b32 s81, -1
                                        ; implicit-def: $vgpr149
                                        ; implicit-def: $vgpr150
                                        ; implicit-def: $vgpr147
                                        ; implicit-def: $vgpr148
	s_and_b32 vcc_lo, exec_lo, vcc_lo
	s_wait_loadcnt_dscnt 0x1
	s_wait_xcnt 0x0
	v_dual_mul_f32 v9, v144, v8 :: v_dual_mul_f32 v10, v143, v8
	v_dual_mul_f32 v11, v146, v8 :: v_dual_mul_f32 v8, v145, v8
	ds_store_2addr_b32 v121, v9, v10 offset1:67
	ds_store_2addr_b32 v121, v11, v8 offset0:134 offset1:201
	s_wait_dscnt 0x0
	s_barrier_signal -1
	s_barrier_wait -1
	ds_load_2addr_b32 v[104:105], v123 offset1:1
	ds_load_2addr_b32 v[102:103], v123 offset0:2 offset1:3
	v_add_nc_u64_e32 v[8:9], v[84:85], v[24:25]
	s_wait_dscnt 0x0
	s_barrier_signal -1
	s_barrier_wait -1
	s_cbranch_vccnz .LBB135_105
; %bb.96:                               ;   in Loop: Header=BB135_71 Depth=2
	v_dual_mov_b32 v147, 0 :: v_dual_mov_b32 v148, 0
	s_mov_b32 s81, exec_lo
	v_cmpx_gt_i32_e64 s80, v132
	s_cbranch_execz .LBB135_98
; %bb.97:                               ;   in Loop: Header=BB135_71 Depth=2
	flat_load_b32 v148, v[8:9]
.LBB135_98:                             ;   in Loop: Header=BB135_71 Depth=2
	s_wait_xcnt 0x0
	s_or_b32 exec_lo, exec_lo, s81
	s_delay_alu instid0(SALU_CYCLE_1)
	s_mov_b32 s81, exec_lo
	v_cmpx_gt_i32_e64 s80, v133
	s_cbranch_execz .LBB135_100
; %bb.99:                               ;   in Loop: Header=BB135_71 Depth=2
	v_add_nc_u64_e32 v[10:11], v[82:83], v[24:25]
	flat_load_b32 v147, v[10:11]
.LBB135_100:                            ;   in Loop: Header=BB135_71 Depth=2
	s_wait_xcnt 0x0
	s_or_b32 exec_lo, exec_lo, s81
	v_dual_mov_b32 v149, 0 :: v_dual_mov_b32 v150, 0
	s_mov_b32 s81, exec_lo
	v_cmpx_gt_i32_e64 s80, v134
	s_cbranch_execz .LBB135_102
; %bb.101:                              ;   in Loop: Header=BB135_71 Depth=2
	v_add_nc_u64_e32 v[10:11], v[78:79], v[24:25]
	flat_load_b32 v150, v[10:11]
.LBB135_102:                            ;   in Loop: Header=BB135_71 Depth=2
	s_wait_xcnt 0x0
	s_or_b32 exec_lo, exec_lo, s81
	s_delay_alu instid0(SALU_CYCLE_1)
	s_mov_b32 s81, exec_lo
	v_cmpx_gt_i32_e64 s80, v135
	s_cbranch_execz .LBB135_104
; %bb.103:                              ;   in Loop: Header=BB135_71 Depth=2
	v_add_nc_u64_e32 v[10:11], v[80:81], v[24:25]
	flat_load_b32 v149, v[10:11]
.LBB135_104:                            ;   in Loop: Header=BB135_71 Depth=2
	s_wait_xcnt 0x0
	s_or_b32 exec_lo, exec_lo, s81
	s_mov_b32 s81, 0
.LBB135_105:                            ;   in Loop: Header=BB135_71 Depth=2
	s_delay_alu instid0(SALU_CYCLE_1)
	s_and_b32 vcc_lo, exec_lo, s81
	s_cbranch_vccz .LBB135_107
; %bb.106:                              ;   in Loop: Header=BB135_71 Depth=2
	v_add_nc_u64_e32 v[10:11], v[82:83], v[24:25]
	v_add_nc_u64_e32 v[14:15], v[78:79], v[24:25]
	v_add_nc_u64_e32 v[106:107], v[80:81], v[24:25]
	s_wait_loadcnt_dscnt 0x0
	flat_load_b32 v148, v[8:9]
	flat_load_b32 v147, v[10:11]
	;; [unrolled: 1-line block ×4, first 2 shown]
.LBB135_107:                            ;   in Loop: Header=BB135_71 Depth=2
	ds_load_b32 v13, v127
	s_wait_xcnt 0x2
	ds_load_b128 v[8:11], v128 offset:128
	v_cmp_ne_u32_e32 vcc_lo, 1, v12
	s_mov_b32 s81, -1
                                        ; implicit-def: $vgpr153
                                        ; implicit-def: $vgpr154
                                        ; implicit-def: $vgpr151
                                        ; implicit-def: $vgpr152
	s_and_b32 vcc_lo, exec_lo, vcc_lo
	s_wait_loadcnt_dscnt 0x1
	s_wait_xcnt 0x1
	v_dual_mul_f32 v14, v148, v13 :: v_dual_mul_f32 v15, v147, v13
	s_wait_xcnt 0x0
	v_dual_mul_f32 v106, v150, v13 :: v_dual_mul_f32 v13, v149, v13
	ds_store_2addr_b32 v121, v14, v15 offset1:67
	ds_store_2addr_b32 v121, v106, v13 offset0:134 offset1:201
	s_wait_dscnt 0x0
	s_barrier_signal -1
	s_barrier_wait -1
	ds_load_2addr_b32 v[108:109], v123 offset1:1
	ds_load_2addr_b32 v[106:107], v123 offset0:2 offset1:3
	v_add_nc_u64_e32 v[12:13], v[92:93], v[24:25]
	s_wait_dscnt 0x0
	s_barrier_signal -1
	s_barrier_wait -1
	s_cbranch_vccnz .LBB135_117
; %bb.108:                              ;   in Loop: Header=BB135_71 Depth=2
	v_dual_mov_b32 v151, 0 :: v_dual_mov_b32 v152, 0
	s_mov_b32 s81, exec_lo
	v_cmpx_gt_i32_e64 s80, v136
	s_cbranch_execz .LBB135_110
; %bb.109:                              ;   in Loop: Header=BB135_71 Depth=2
	flat_load_b32 v152, v[12:13]
.LBB135_110:                            ;   in Loop: Header=BB135_71 Depth=2
	s_wait_xcnt 0x0
	s_or_b32 exec_lo, exec_lo, s81
	s_delay_alu instid0(SALU_CYCLE_1)
	s_mov_b32 s81, exec_lo
	v_cmpx_gt_i32_e64 s80, v137
	s_cbranch_execz .LBB135_112
; %bb.111:                              ;   in Loop: Header=BB135_71 Depth=2
	v_add_nc_u64_e32 v[14:15], v[90:91], v[24:25]
	flat_load_b32 v151, v[14:15]
.LBB135_112:                            ;   in Loop: Header=BB135_71 Depth=2
	s_wait_xcnt 0x0
	s_or_b32 exec_lo, exec_lo, s81
	v_dual_mov_b32 v153, 0 :: v_dual_mov_b32 v154, 0
	s_mov_b32 s81, exec_lo
	v_cmpx_gt_i32_e64 s80, v17
	s_cbranch_execz .LBB135_114
; %bb.113:                              ;   in Loop: Header=BB135_71 Depth=2
	v_add_nc_u64_e32 v[14:15], v[86:87], v[24:25]
	flat_load_b32 v154, v[14:15]
.LBB135_114:                            ;   in Loop: Header=BB135_71 Depth=2
	s_wait_xcnt 0x0
	s_or_b32 exec_lo, exec_lo, s81
	s_delay_alu instid0(SALU_CYCLE_1)
	s_mov_b32 s81, exec_lo
	v_cmpx_gt_i32_e64 s80, v138
	s_cbranch_execz .LBB135_116
; %bb.115:                              ;   in Loop: Header=BB135_71 Depth=2
	v_add_nc_u64_e32 v[14:15], v[88:89], v[24:25]
	flat_load_b32 v153, v[14:15]
.LBB135_116:                            ;   in Loop: Header=BB135_71 Depth=2
	s_wait_xcnt 0x0
	s_or_b32 exec_lo, exec_lo, s81
	s_mov_b32 s81, 0
.LBB135_117:                            ;   in Loop: Header=BB135_71 Depth=2
	s_delay_alu instid0(SALU_CYCLE_1)
	s_and_b32 vcc_lo, exec_lo, s81
	s_cbranch_vccz .LBB135_119
; %bb.118:                              ;   in Loop: Header=BB135_71 Depth=2
	v_add_nc_u64_e32 v[14:15], v[90:91], v[24:25]
	s_wait_loadcnt_dscnt 0x0
	v_add_nc_u64_e32 v[154:155], v[86:87], v[24:25]
	v_add_nc_u64_e32 v[156:157], v[88:89], v[24:25]
	flat_load_b32 v152, v[12:13]
	flat_load_b32 v151, v[14:15]
	;; [unrolled: 1-line block ×4, first 2 shown]
.LBB135_119:                            ;   in Loop: Header=BB135_71 Depth=2
	s_wait_xcnt 0x1
	ds_load_b32 v155, v127
	ds_load_b128 v[12:15], v128 offset:192
	v_add_f32_e32 v104, 0, v104
	v_add_f32_e32 v108, 0, v108
	v_cmp_gt_i32_e32 vcc_lo, s80, v110
	s_delay_alu instid0(VALU_DEP_3) | instskip(NEXT) | instid1(VALU_DEP_3)
	v_add_f32_e32 v104, v104, v105
	v_add_f32_e32 v108, v108, v109
	s_or_b32 s73, s73, vcc_lo
	s_delay_alu instid0(SALU_CYCLE_1) | instskip(NEXT) | instid1(VALU_DEP_2)
	s_and_b32 s80, s17, s73
	v_add_f32_e32 v102, v104, v102
	s_delay_alu instid0(VALU_DEP_1)
	v_dual_add_f32 v105, v108, v106 :: v_dual_add_f32 v102, v102, v103
	s_wait_loadcnt_dscnt 0x1
	s_wait_xcnt 0x0
	v_dual_mul_f32 v156, v152, v155 :: v_dual_mul_f32 v157, v151, v155
	v_dual_mul_f32 v158, v154, v155 :: v_dual_mul_f32 v155, v153, v155
	ds_store_2addr_b32 v121, v156, v157 offset1:67
	ds_store_2addr_b32 v121, v158, v155 offset0:134 offset1:201
	s_wait_dscnt 0x0
	s_barrier_signal -1
	s_barrier_wait -1
	ds_load_2addr_b32 v[156:157], v123 offset1:1
	ds_load_2addr_b32 v[158:159], v123 offset0:2 offset1:3
	s_wait_dscnt 0x0
	s_barrier_signal -1
	s_barrier_wait -1
	v_add_f32_e32 v155, 0, v156
	v_add_f32_e32 v100, 0, v100
	s_delay_alu instid0(VALU_DEP_1) | instskip(NEXT) | instid1(VALU_DEP_1)
	v_add_f32_e32 v100, v100, v101
	v_dual_add_f32 v101, v155, v157 :: v_dual_add_f32 v98, v100, v98
	s_delay_alu instid0(VALU_DEP_1) | instskip(SKIP_1) | instid1(VALU_DEP_3)
	v_add_f32_e32 v100, v101, v158
	v_add_f32_e32 v101, v105, v107
	;; [unrolled: 1-line block ×3, first 2 shown]
	s_delay_alu instid0(VALU_DEP_3)
	v_add_f32_e32 v99, v100, v159
	ds_store_2addr_b32 v118, v98, v102 offset1:16
	ds_store_2addr_b32 v118, v101, v99 offset0:32 offset1:48
	s_wait_dscnt 0x0
	s_barrier_signal -1
	s_barrier_wait -1
	s_and_saveexec_b32 s73, s80
	s_cbranch_execz .LBB135_121
; %bb.120:                              ;   in Loop: Header=BB135_71 Depth=2
	ds_load_2addr_b32 v[98:99], v119 offset1:1
	ds_load_2addr_b32 v[100:101], v119 offset0:2 offset1:3
	ds_load_2addr_b32 v[102:103], v119 offset0:4 offset1:5
	ds_load_2addr_b32 v[104:105], v119 offset0:6 offset1:7
	s_wait_dscnt 0x3
	v_add_f32_e32 v98, v98, v99
	s_wait_dscnt 0x2
	s_delay_alu instid0(VALU_DEP_1) | instskip(NEXT) | instid1(VALU_DEP_1)
	v_add_f32_e32 v98, v98, v100
	v_add_f32_e32 v100, v98, v101
	ds_load_2addr_b32 v[98:99], v119 offset0:8 offset1:9
	s_wait_dscnt 0x2
	v_add_f32_e32 v100, v100, v102
	s_delay_alu instid0(VALU_DEP_1) | instskip(SKIP_3) | instid1(VALU_DEP_1)
	v_add_f32_e32 v102, v100, v103
	ds_load_2addr_b32 v[100:101], v119 offset0:10 offset1:11
	s_wait_dscnt 0x2
	v_add_f32_e32 v102, v102, v104
	v_add_f32_e32 v104, v102, v105
	ds_load_2addr_b32 v[102:103], v119 offset0:12 offset1:13
	ds_load_b32 v105, v119 offset:56
	s_wait_dscnt 0x3
	v_add_f32_e32 v98, v104, v98
	s_delay_alu instid0(VALU_DEP_1) | instskip(SKIP_3) | instid1(VALU_DEP_1)
	v_add_f32_e32 v98, v98, v99
	ds_load_b32 v99, v120
	s_wait_dscnt 0x3
	v_add_f32_e32 v98, v98, v100
	v_add_f32_e32 v98, v98, v101
	s_wait_dscnt 0x2
	s_delay_alu instid0(VALU_DEP_1) | instskip(NEXT) | instid1(VALU_DEP_1)
	v_add_f32_e32 v98, v98, v102
	v_add_f32_e32 v98, v98, v103
	s_wait_dscnt 0x1
	s_delay_alu instid0(VALU_DEP_1) | instskip(SKIP_1) | instid1(VALU_DEP_1)
	v_add_f32_e32 v98, v98, v105
	s_wait_dscnt 0x0
	v_dual_add_f32 v98, v98, v99 :: v_dual_add_nc_u32 v99, s72, v110
	global_store_b32 v99, v98, s[18:19] scale_offset
.LBB135_121:                            ;   in Loop: Header=BB135_71 Depth=2
	s_wait_xcnt 0x0
	s_or_b32 exec_lo, exec_lo, s73
	v_fmac_f32_e32 v139, v140, v0
	v_add_nc_u64_e32 v[64:65], s[64:65], v[64:65]
	v_add_nc_u64_e32 v[66:67], s[64:65], v[66:67]
	v_add_nc_u64_e32 v[68:69], s[64:65], v[68:69]
	v_add_nc_u64_e32 v[96:97], s[64:65], v[96:97]
	v_fmac_f32_e32 v139, v18, v1
	v_add_nc_u64_e32 v[70:71], s[64:65], v[70:71]
	v_add_nc_u64_e32 v[72:73], s[64:65], v[72:73]
	v_add_nc_u64_e32 v[74:75], s[64:65], v[74:75]
	v_add_nc_u64_e32 v[76:77], s[64:65], v[76:77]
	;; [unrolled: 5-line block ×4, first 2 shown]
	v_fmac_f32_e32 v139, v144, v4
	s_add_co_i32 s73, s79, 1
	s_add_co_i32 s79, s79, 2
	;; [unrolled: 1-line block ×3, first 2 shown]
	s_cmp_ge_u32 s79, s40
	v_fmac_f32_e32 v139, v143, v5
	s_wait_storecnt 0x0
	s_barrier_signal -1
	s_barrier_wait -1
	s_delay_alu instid0(VALU_DEP_1) | instskip(NEXT) | instid1(VALU_DEP_1)
	v_fmac_f32_e32 v139, v146, v6
	v_fmac_f32_e32 v139, v145, v7
	s_delay_alu instid0(VALU_DEP_1) | instskip(NEXT) | instid1(VALU_DEP_1)
	v_fmac_f32_e32 v139, v148, v8
	v_fmac_f32_e32 v139, v147, v9
	;; [unrolled: 3-line block ×5, first 2 shown]
	s_cbranch_scc1 .LBB135_123
; %bb.122:                              ;   in Loop: Header=BB135_71 Depth=2
	s_mov_b32 s79, s73
	s_delay_alu instid0(SALU_CYCLE_1)
	s_cmp_eq_u32 s45, s79
	s_cselect_b32 s80, s74, 0
	s_and_saveexec_b32 s81, s0
	s_cbranch_execnz .LBB135_68
	s_branch .LBB135_71
.LBB135_123:                            ;   in Loop: Header=BB135_4 Depth=1
	ds_store_b32 v122, v139
	s_wait_dscnt 0x0
	s_barrier_signal -1
	s_barrier_wait -1
	s_and_saveexec_b32 s72, s77
	s_cbranch_execz .LBB135_2
; %bb.124:                              ;   in Loop: Header=BB135_4 Depth=1
	ds_load_2addr_b32 v[0:1], v24 offset1:67
	ds_load_2addr_b32 v[2:3], v24 offset0:134 offset1:201
	s_wait_dscnt 0x1
	v_add_f32_e32 v0, v0, v1
	s_wait_dscnt 0x0
	s_delay_alu instid0(VALU_DEP_1) | instskip(NEXT) | instid1(VALU_DEP_1)
	v_add_f32_e32 v0, v0, v2
	v_add_f32_e32 v2, v0, v3
	v_lshl_add_u64 v[0:1], v[20:21], 2, s[18:19]
	global_store_b32 v[0:1], v2, off
	s_branch .LBB135_2
.LBB135_125:                            ;   in Loop: Header=BB135_4 Depth=1
	ds_load_b32 v2, v125
	s_wait_dscnt 0x0
	ds_store_b32 v114, v2
	s_or_b32 exec_lo, exec_lo, s18
	s_and_saveexec_b32 s18, s7
	s_cbranch_execz .LBB135_26
.LBB135_126:                            ;   in Loop: Header=BB135_4 Depth=1
	ds_load_b32 v2, v126
	s_wait_dscnt 0x0
	ds_store_b32 v114, v2 offset:4
	s_or_b32 exec_lo, exec_lo, s18
	s_and_saveexec_b32 s18, s8
	s_cbranch_execz .LBB135_27
.LBB135_127:                            ;   in Loop: Header=BB135_4 Depth=1
	ds_load_b32 v2, v126 offset:132
	s_wait_dscnt 0x0
	ds_store_b32 v114, v2 offset:8
	s_or_b32 exec_lo, exec_lo, s18
	s_and_saveexec_b32 s18, s9
	s_cbranch_execnz .LBB135_28
	s_branch .LBB135_29
.LBB135_128:                            ;   in Loop: Header=BB135_4 Depth=1
	ds_load_b32 v2, v125
	s_wait_dscnt 0x0
	ds_store_b32 v114, v2
	s_or_b32 exec_lo, exec_lo, s18
	s_and_saveexec_b32 s18, s7
	s_cbranch_execz .LBB135_45
.LBB135_129:                            ;   in Loop: Header=BB135_4 Depth=1
	ds_load_b32 v2, v126
	s_wait_dscnt 0x0
	ds_store_b32 v114, v2 offset:4
	s_or_b32 exec_lo, exec_lo, s18
	s_and_saveexec_b32 s18, s8
	s_cbranch_execz .LBB135_46
.LBB135_130:                            ;   in Loop: Header=BB135_4 Depth=1
	ds_load_b32 v2, v126 offset:132
	s_wait_dscnt 0x0
	ds_store_b32 v114, v2 offset:8
	s_or_b32 exec_lo, exec_lo, s18
	s_and_saveexec_b32 s18, s9
	s_cbranch_execnz .LBB135_47
	s_branch .LBB135_48
.LBB135_131:
	s_sendmsg sendmsg(MSG_DEALLOC_VGPRS)
	s_endpgm
	.section	.rodata,"a",@progbits
	.p2align	6, 0x0
	.amdhsa_kernel _ZL26rocblas_hemvn_kernel_upperILb0ELi64ELi4ELi33ELi32ELi16ElPKfPKS1_PfEviT6_lT7_lT5_lS6_lS7_lS5_lT8_i
		.amdhsa_group_segment_fixed_size 4800
		.amdhsa_private_segment_fixed_size 0
		.amdhsa_kernarg_size 376
		.amdhsa_user_sgpr_count 2
		.amdhsa_user_sgpr_dispatch_ptr 0
		.amdhsa_user_sgpr_queue_ptr 0
		.amdhsa_user_sgpr_kernarg_segment_ptr 1
		.amdhsa_user_sgpr_dispatch_id 0
		.amdhsa_user_sgpr_kernarg_preload_length 0
		.amdhsa_user_sgpr_kernarg_preload_offset 0
		.amdhsa_user_sgpr_private_segment_size 0
		.amdhsa_wavefront_size32 1
		.amdhsa_uses_dynamic_stack 0
		.amdhsa_enable_private_segment 0
		.amdhsa_system_sgpr_workgroup_id_x 1
		.amdhsa_system_sgpr_workgroup_id_y 0
		.amdhsa_system_sgpr_workgroup_id_z 1
		.amdhsa_system_sgpr_workgroup_info 0
		.amdhsa_system_vgpr_workitem_id 1
		.amdhsa_next_free_vgpr 160
		.amdhsa_next_free_sgpr 86
		.amdhsa_named_barrier_count 0
		.amdhsa_reserve_vcc 1
		.amdhsa_float_round_mode_32 0
		.amdhsa_float_round_mode_16_64 0
		.amdhsa_float_denorm_mode_32 3
		.amdhsa_float_denorm_mode_16_64 3
		.amdhsa_fp16_overflow 0
		.amdhsa_memory_ordered 1
		.amdhsa_forward_progress 1
		.amdhsa_inst_pref_size 53
		.amdhsa_round_robin_scheduling 0
		.amdhsa_exception_fp_ieee_invalid_op 0
		.amdhsa_exception_fp_denorm_src 0
		.amdhsa_exception_fp_ieee_div_zero 0
		.amdhsa_exception_fp_ieee_overflow 0
		.amdhsa_exception_fp_ieee_underflow 0
		.amdhsa_exception_fp_ieee_inexact 0
		.amdhsa_exception_int_div_zero 0
	.end_amdhsa_kernel
	.section	.text._ZL26rocblas_hemvn_kernel_upperILb0ELi64ELi4ELi33ELi32ELi16ElPKfPKS1_PfEviT6_lT7_lT5_lS6_lS7_lS5_lT8_i,"axG",@progbits,_ZL26rocblas_hemvn_kernel_upperILb0ELi64ELi4ELi33ELi32ELi16ElPKfPKS1_PfEviT6_lT7_lT5_lS6_lS7_lS5_lT8_i,comdat
.Lfunc_end135:
	.size	_ZL26rocblas_hemvn_kernel_upperILb0ELi64ELi4ELi33ELi32ELi16ElPKfPKS1_PfEviT6_lT7_lT5_lS6_lS7_lS5_lT8_i, .Lfunc_end135-_ZL26rocblas_hemvn_kernel_upperILb0ELi64ELi4ELi33ELi32ELi16ElPKfPKS1_PfEviT6_lT7_lT5_lS6_lS7_lS5_lT8_i
                                        ; -- End function
	.set _ZL26rocblas_hemvn_kernel_upperILb0ELi64ELi4ELi33ELi32ELi16ElPKfPKS1_PfEviT6_lT7_lT5_lS6_lS7_lS5_lT8_i.num_vgpr, 160
	.set _ZL26rocblas_hemvn_kernel_upperILb0ELi64ELi4ELi33ELi32ELi16ElPKfPKS1_PfEviT6_lT7_lT5_lS6_lS7_lS5_lT8_i.num_agpr, 0
	.set _ZL26rocblas_hemvn_kernel_upperILb0ELi64ELi4ELi33ELi32ELi16ElPKfPKS1_PfEviT6_lT7_lT5_lS6_lS7_lS5_lT8_i.numbered_sgpr, 86
	.set _ZL26rocblas_hemvn_kernel_upperILb0ELi64ELi4ELi33ELi32ELi16ElPKfPKS1_PfEviT6_lT7_lT5_lS6_lS7_lS5_lT8_i.num_named_barrier, 0
	.set _ZL26rocblas_hemvn_kernel_upperILb0ELi64ELi4ELi33ELi32ELi16ElPKfPKS1_PfEviT6_lT7_lT5_lS6_lS7_lS5_lT8_i.private_seg_size, 0
	.set _ZL26rocblas_hemvn_kernel_upperILb0ELi64ELi4ELi33ELi32ELi16ElPKfPKS1_PfEviT6_lT7_lT5_lS6_lS7_lS5_lT8_i.uses_vcc, 1
	.set _ZL26rocblas_hemvn_kernel_upperILb0ELi64ELi4ELi33ELi32ELi16ElPKfPKS1_PfEviT6_lT7_lT5_lS6_lS7_lS5_lT8_i.uses_flat_scratch, 1
	.set _ZL26rocblas_hemvn_kernel_upperILb0ELi64ELi4ELi33ELi32ELi16ElPKfPKS1_PfEviT6_lT7_lT5_lS6_lS7_lS5_lT8_i.has_dyn_sized_stack, 0
	.set _ZL26rocblas_hemvn_kernel_upperILb0ELi64ELi4ELi33ELi32ELi16ElPKfPKS1_PfEviT6_lT7_lT5_lS6_lS7_lS5_lT8_i.has_recursion, 0
	.set _ZL26rocblas_hemvn_kernel_upperILb0ELi64ELi4ELi33ELi32ELi16ElPKfPKS1_PfEviT6_lT7_lT5_lS6_lS7_lS5_lT8_i.has_indirect_call, 0
	.section	.AMDGPU.csdata,"",@progbits
; Kernel info:
; codeLenInByte = 6720
; TotalNumSgprs: 88
; NumVgprs: 160
; ScratchSize: 0
; MemoryBound: 0
; FloatMode: 240
; IeeeMode: 1
; LDSByteSize: 4800 bytes/workgroup (compile time only)
; SGPRBlocks: 0
; VGPRBlocks: 9
; NumSGPRsForWavesPerEU: 88
; NumVGPRsForWavesPerEU: 160
; NamedBarCnt: 0
; Occupancy: 6
; WaveLimiterHint : 1
; COMPUTE_PGM_RSRC2:SCRATCH_EN: 0
; COMPUTE_PGM_RSRC2:USER_SGPR: 2
; COMPUTE_PGM_RSRC2:TRAP_HANDLER: 0
; COMPUTE_PGM_RSRC2:TGID_X_EN: 1
; COMPUTE_PGM_RSRC2:TGID_Y_EN: 0
; COMPUTE_PGM_RSRC2:TGID_Z_EN: 1
; COMPUTE_PGM_RSRC2:TIDIG_COMP_CNT: 1
	.section	.text._ZL36rocblas_hemvn_kernel_upper_block_sumILi64ElPKfPKPffEviT1_lS5_lT2_lT0_lPT3_i,"axG",@progbits,_ZL36rocblas_hemvn_kernel_upper_block_sumILi64ElPKfPKPffEviT1_lS5_lT2_lT0_lPT3_i,comdat
	.globl	_ZL36rocblas_hemvn_kernel_upper_block_sumILi64ElPKfPKPffEviT1_lS5_lT2_lT0_lPT3_i ; -- Begin function _ZL36rocblas_hemvn_kernel_upper_block_sumILi64ElPKfPKPffEviT1_lS5_lT2_lT0_lPT3_i
	.p2align	8
	.type	_ZL36rocblas_hemvn_kernel_upper_block_sumILi64ElPKfPKPffEviT1_lS5_lT2_lT0_lPT3_i,@function
_ZL36rocblas_hemvn_kernel_upper_block_sumILi64ElPKfPKPffEviT1_lS5_lT2_lT0_lPT3_i: ; @_ZL36rocblas_hemvn_kernel_upper_block_sumILi64ElPKfPKPffEviT1_lS5_lT2_lT0_lPT3_i
; %bb.0:
	s_load_b32 s3, s[0:1], 0x50
	s_bfe_u32 s2, ttmp6, 0x40014
	s_lshr_b32 s4, ttmp7, 16
	s_add_co_i32 s2, s2, 1
	s_bfe_u32 s6, ttmp6, 0x40008
	s_mul_i32 s5, s4, s2
	s_getreg_b32 s2, hwreg(HW_REG_IB_STS2, 6, 4)
	s_add_co_i32 s6, s6, s5
	s_cmp_eq_u32 s2, 0
	s_mov_b32 s13, 0
	s_cselect_b32 s12, s4, s6
	s_wait_kmcnt 0x0
	s_cmp_ge_u32 s12, s3
	s_cbranch_scc1 .LBB136_25
; %bb.1:
	s_bfe_u32 s4, ttmp6, 0x4000c
	s_clause 0x1
	s_load_b128 s[20:23], s[0:1], 0x30
	s_load_b32 s18, s[0:1], 0x0
	s_add_co_i32 s4, s4, 1
	s_and_b32 s5, ttmp6, 15
	s_mul_i32 s4, ttmp9, s4
	s_add_nc_u64 s[16:17], s[0:1], 0x58
	s_add_co_i32 s5, s5, s4
	s_cmp_eq_u32 s2, 0
	v_mov_b32_e32 v10, 0
	s_cselect_b32 s24, ttmp9, s5
	s_delay_alu instid0(SALU_CYCLE_1) | instskip(NEXT) | instid1(VALU_DEP_1)
	v_lshl_or_b32 v2, s24, 6, v0
	v_ashrrev_i32_e32 v3, 31, v2
	s_wait_kmcnt 0x0
	v_cmp_gt_i32_e64 s2, s18, v2
	s_delay_alu instid0(VALU_DEP_2)
	v_mul_u64_e32 v[0:1], s[22:23], v[2:3]
	s_clause 0x2
	s_load_b64 s[22:23], s[0:1], 0x48
	s_load_b64 s[14:15], s[0:1], 0x28
	s_load_b256 s[4:11], s[0:1], 0x8
	s_ashr_i32 s19, s18, 31
	s_cmp_gt_i32 s24, -1
	s_wait_kmcnt 0x0
	v_lshl_add_u64 v[2:3], v[2:3], 2, s[22:23]
	s_cselect_b32 s22, -1, 0
	s_add_co_i32 s23, s24, 1
	s_lshl_b64 s[18:19], s[18:19], 2
	s_lshl_b64 s[20:21], s[20:21], 2
	s_branch .LBB136_4
.LBB136_2:                              ;   in Loop: Header=BB136_4 Depth=1
	s_wait_xcnt 0x0
	s_or_b32 exec_lo, exec_lo, s25
.LBB136_3:                              ;   in Loop: Header=BB136_4 Depth=1
	s_add_co_i32 s12, s12, 0x10000
	s_delay_alu instid0(SALU_CYCLE_1)
	s_cmp_lt_u32 s12, s3
	s_cbranch_scc0 .LBB136_25
.LBB136_4:                              ; =>This Loop Header: Depth=1
                                        ;     Child Loop BB136_16 Depth 2
	s_mul_u64 s[0:1], s[6:7], s[12:13]
	s_wait_xcnt 0x0
	s_mul_u64 s[24:25], s[10:11], s[12:13]
	s_lshl_b64 s[0:1], s[0:1], 2
	s_lshl_b64 s[24:25], s[24:25], 2
	s_add_nc_u64 s[0:1], s[4:5], s[0:1]
	s_add_nc_u64 s[24:25], s[8:9], s[24:25]
	s_clause 0x1
	global_load_b32 v4, v10, s[0:1]
	global_load_b32 v5, v10, s[24:25]
	s_wait_loadcnt 0x1
	v_cmp_eq_f32_e32 vcc_lo, 0, v4
	s_wait_loadcnt 0x0
	s_wait_xcnt 0x1
	v_cmp_eq_f32_e64 s0, 1.0, v5
	s_and_b32 s0, vcc_lo, s0
	s_delay_alu instid0(SALU_CYCLE_1)
	s_and_b32 vcc_lo, exec_lo, s0
	s_cbranch_vccnz .LBB136_3
; %bb.5:                                ;   in Loop: Header=BB136_4 Depth=1
	s_lshl_b64 s[0:1], s[12:13], 3
	v_cmp_neq_f32_e32 vcc_lo, 0, v4
	s_add_nc_u64 s[0:1], s[14:15], s[0:1]
	s_load_b64 s[0:1], s[0:1], 0x0
	s_wait_kmcnt 0x0
	s_wait_xcnt 0x0
	s_add_nc_u64 s[0:1], s[0:1], s[20:21]
	s_cbranch_vccnz .LBB136_9
; %bb.6:                                ;   in Loop: Header=BB136_4 Depth=1
	s_mov_b32 s25, 0
	s_mov_b32 s24, 0
                                        ; implicit-def: $vgpr7
	s_and_saveexec_b32 s26, s2
	s_cbranch_execz .LBB136_10
; %bb.7:                                ;   in Loop: Header=BB136_4 Depth=1
	v_cmp_eq_f32_e32 vcc_lo, 0, v5
	s_cbranch_vccnz .LBB136_11
; %bb.8:                                ;   in Loop: Header=BB136_4 Depth=1
	v_lshl_add_u64 v[6:7], v[0:1], 2, s[0:1]
	flat_load_b32 v6, v[6:7]
	s_wait_loadcnt_dscnt 0x0
	s_wait_xcnt 0x0
	v_mul_f32_e32 v7, v5, v6
	s_branch .LBB136_12
.LBB136_9:                              ;   in Loop: Header=BB136_4 Depth=1
	s_mov_b32 s24, 0
                                        ; implicit-def: $vgpr7
	s_cbranch_execnz .LBB136_13
	s_branch .LBB136_22
.LBB136_10:                             ;   in Loop: Header=BB136_4 Depth=1
	s_or_b32 exec_lo, exec_lo, s26
	s_delay_alu instid0(SALU_CYCLE_1)
	s_and_b32 vcc_lo, exec_lo, s25
	s_cbranch_vccnz .LBB136_13
	s_branch .LBB136_22
.LBB136_11:                             ;   in Loop: Header=BB136_4 Depth=1
	v_mov_b32_e32 v7, 0
.LBB136_12:                             ;   in Loop: Header=BB136_4 Depth=1
	s_mov_b32 s24, exec_lo
	s_or_b32 exec_lo, exec_lo, s26
	s_delay_alu instid0(SALU_CYCLE_1)
	s_and_b32 vcc_lo, exec_lo, s25
	s_cbranch_vccz .LBB136_22
.LBB136_13:                             ;   in Loop: Header=BB136_4 Depth=1
                                        ; implicit-def: $vgpr7
	s_and_saveexec_b32 s25, s2
	s_cbranch_execz .LBB136_21
; %bb.14:                               ;   in Loop: Header=BB136_4 Depth=1
	v_mov_b32_e32 v6, 0
	s_and_not1_b32 vcc_lo, exec_lo, s22
	s_cbranch_vccnz .LBB136_17
; %bb.15:                               ;   in Loop: Header=BB136_4 Depth=1
	s_load_b32 s26, s[16:17], 0x0
	s_mov_b32 s27, s13
	v_mov_b32_e32 v6, 0
	s_wait_kmcnt 0x0
	s_mul_u64 s[26:27], s[18:19], s[26:27]
	s_delay_alu instid0(SALU_CYCLE_1) | instskip(SKIP_1) | instid1(VALU_DEP_1)
	v_mad_nc_u64_u32 v[8:9], s26, s12, v[2:3]
	s_mov_b32 s26, s23
	v_mad_u32 v9, s27, s12, v9
.LBB136_16:                             ;   Parent Loop BB136_4 Depth=1
                                        ; =>  This Inner Loop Header: Depth=2
	global_load_b32 v7, v[8:9], off
	s_wait_xcnt 0x0
	v_add_nc_u64_e32 v[8:9], s[18:19], v[8:9]
	s_add_co_i32 s26, s26, -1
	s_delay_alu instid0(SALU_CYCLE_1)
	s_cmp_eq_u32 s26, 0
	s_wait_loadcnt 0x0
	v_add_f32_e32 v6, v6, v7
	s_cbranch_scc0 .LBB136_16
.LBB136_17:                             ;   in Loop: Header=BB136_4 Depth=1
	v_cmp_eq_f32_e32 vcc_lo, 0, v5
	s_cbranch_vccz .LBB136_24
; %bb.18:                               ;   in Loop: Header=BB136_4 Depth=1
	s_delay_alu instid0(VALU_DEP_2)
	v_mul_f32_e32 v7, v4, v6
	s_cbranch_execnz .LBB136_20
.LBB136_19:                             ;   in Loop: Header=BB136_4 Depth=1
	v_lshl_add_u64 v[8:9], v[0:1], 2, s[0:1]
	flat_load_b32 v7, v[8:9]
	s_wait_loadcnt_dscnt 0x0
	v_pk_mul_f32 v[4:5], v[4:5], v[6:7]
	s_delay_alu instid0(VALU_DEP_1)
	v_add_f32_e32 v7, v4, v5
.LBB136_20:                             ;   in Loop: Header=BB136_4 Depth=1
	s_or_b32 s24, s24, exec_lo
.LBB136_21:                             ;   in Loop: Header=BB136_4 Depth=1
	s_wait_xcnt 0x0
	s_or_b32 exec_lo, exec_lo, s25
.LBB136_22:                             ;   in Loop: Header=BB136_4 Depth=1
	s_and_saveexec_b32 s25, s24
	s_cbranch_execz .LBB136_2
; %bb.23:                               ;   in Loop: Header=BB136_4 Depth=1
	v_lshl_add_u64 v[4:5], v[0:1], 2, s[0:1]
	flat_store_b32 v[4:5], v7
	s_branch .LBB136_2
.LBB136_24:                             ;   in Loop: Header=BB136_4 Depth=1
                                        ; implicit-def: $vgpr7
	s_branch .LBB136_19
.LBB136_25:
	s_endpgm
	.section	.rodata,"a",@progbits
	.p2align	6, 0x0
	.amdhsa_kernel _ZL36rocblas_hemvn_kernel_upper_block_sumILi64ElPKfPKPffEviT1_lS5_lT2_lT0_lPT3_i
		.amdhsa_group_segment_fixed_size 0
		.amdhsa_private_segment_fixed_size 0
		.amdhsa_kernarg_size 344
		.amdhsa_user_sgpr_count 2
		.amdhsa_user_sgpr_dispatch_ptr 0
		.amdhsa_user_sgpr_queue_ptr 0
		.amdhsa_user_sgpr_kernarg_segment_ptr 1
		.amdhsa_user_sgpr_dispatch_id 0
		.amdhsa_user_sgpr_kernarg_preload_length 0
		.amdhsa_user_sgpr_kernarg_preload_offset 0
		.amdhsa_user_sgpr_private_segment_size 0
		.amdhsa_wavefront_size32 1
		.amdhsa_uses_dynamic_stack 0
		.amdhsa_enable_private_segment 0
		.amdhsa_system_sgpr_workgroup_id_x 1
		.amdhsa_system_sgpr_workgroup_id_y 0
		.amdhsa_system_sgpr_workgroup_id_z 1
		.amdhsa_system_sgpr_workgroup_info 0
		.amdhsa_system_vgpr_workitem_id 0
		.amdhsa_next_free_vgpr 11
		.amdhsa_next_free_sgpr 28
		.amdhsa_named_barrier_count 0
		.amdhsa_reserve_vcc 1
		.amdhsa_float_round_mode_32 0
		.amdhsa_float_round_mode_16_64 0
		.amdhsa_float_denorm_mode_32 3
		.amdhsa_float_denorm_mode_16_64 3
		.amdhsa_fp16_overflow 0
		.amdhsa_memory_ordered 1
		.amdhsa_forward_progress 1
		.amdhsa_inst_pref_size 6
		.amdhsa_round_robin_scheduling 0
		.amdhsa_exception_fp_ieee_invalid_op 0
		.amdhsa_exception_fp_denorm_src 0
		.amdhsa_exception_fp_ieee_div_zero 0
		.amdhsa_exception_fp_ieee_overflow 0
		.amdhsa_exception_fp_ieee_underflow 0
		.amdhsa_exception_fp_ieee_inexact 0
		.amdhsa_exception_int_div_zero 0
	.end_amdhsa_kernel
	.section	.text._ZL36rocblas_hemvn_kernel_upper_block_sumILi64ElPKfPKPffEviT1_lS5_lT2_lT0_lPT3_i,"axG",@progbits,_ZL36rocblas_hemvn_kernel_upper_block_sumILi64ElPKfPKPffEviT1_lS5_lT2_lT0_lPT3_i,comdat
.Lfunc_end136:
	.size	_ZL36rocblas_hemvn_kernel_upper_block_sumILi64ElPKfPKPffEviT1_lS5_lT2_lT0_lPT3_i, .Lfunc_end136-_ZL36rocblas_hemvn_kernel_upper_block_sumILi64ElPKfPKPffEviT1_lS5_lT2_lT0_lPT3_i
                                        ; -- End function
	.set _ZL36rocblas_hemvn_kernel_upper_block_sumILi64ElPKfPKPffEviT1_lS5_lT2_lT0_lPT3_i.num_vgpr, 11
	.set _ZL36rocblas_hemvn_kernel_upper_block_sumILi64ElPKfPKPffEviT1_lS5_lT2_lT0_lPT3_i.num_agpr, 0
	.set _ZL36rocblas_hemvn_kernel_upper_block_sumILi64ElPKfPKPffEviT1_lS5_lT2_lT0_lPT3_i.numbered_sgpr, 28
	.set _ZL36rocblas_hemvn_kernel_upper_block_sumILi64ElPKfPKPffEviT1_lS5_lT2_lT0_lPT3_i.num_named_barrier, 0
	.set _ZL36rocblas_hemvn_kernel_upper_block_sumILi64ElPKfPKPffEviT1_lS5_lT2_lT0_lPT3_i.private_seg_size, 0
	.set _ZL36rocblas_hemvn_kernel_upper_block_sumILi64ElPKfPKPffEviT1_lS5_lT2_lT0_lPT3_i.uses_vcc, 1
	.set _ZL36rocblas_hemvn_kernel_upper_block_sumILi64ElPKfPKPffEviT1_lS5_lT2_lT0_lPT3_i.uses_flat_scratch, 0
	.set _ZL36rocblas_hemvn_kernel_upper_block_sumILi64ElPKfPKPffEviT1_lS5_lT2_lT0_lPT3_i.has_dyn_sized_stack, 0
	.set _ZL36rocblas_hemvn_kernel_upper_block_sumILi64ElPKfPKPffEviT1_lS5_lT2_lT0_lPT3_i.has_recursion, 0
	.set _ZL36rocblas_hemvn_kernel_upper_block_sumILi64ElPKfPKPffEviT1_lS5_lT2_lT0_lPT3_i.has_indirect_call, 0
	.section	.AMDGPU.csdata,"",@progbits
; Kernel info:
; codeLenInByte = 736
; TotalNumSgprs: 30
; NumVgprs: 11
; ScratchSize: 0
; MemoryBound: 0
; FloatMode: 240
; IeeeMode: 1
; LDSByteSize: 0 bytes/workgroup (compile time only)
; SGPRBlocks: 0
; VGPRBlocks: 0
; NumSGPRsForWavesPerEU: 30
; NumVGPRsForWavesPerEU: 11
; NamedBarCnt: 0
; Occupancy: 16
; WaveLimiterHint : 1
; COMPUTE_PGM_RSRC2:SCRATCH_EN: 0
; COMPUTE_PGM_RSRC2:USER_SGPR: 2
; COMPUTE_PGM_RSRC2:TRAP_HANDLER: 0
; COMPUTE_PGM_RSRC2:TGID_X_EN: 1
; COMPUTE_PGM_RSRC2:TGID_Y_EN: 0
; COMPUTE_PGM_RSRC2:TGID_Z_EN: 1
; COMPUTE_PGM_RSRC2:TIDIG_COMP_CNT: 0
	.section	.text._ZL26rocblas_hemvn_kernel_upperILb0ELi64ELi4ELi33ELi32ELi16EiPKfPKS1_PfEviT6_lT7_lT5_lS6_lS7_lS5_lT8_i,"axG",@progbits,_ZL26rocblas_hemvn_kernel_upperILb0ELi64ELi4ELi33ELi32ELi16EiPKfPKS1_PfEviT6_lT7_lT5_lS6_lS7_lS5_lT8_i,comdat
	.globl	_ZL26rocblas_hemvn_kernel_upperILb0ELi64ELi4ELi33ELi32ELi16EiPKfPKS1_PfEviT6_lT7_lT5_lS6_lS7_lS5_lT8_i ; -- Begin function _ZL26rocblas_hemvn_kernel_upperILb0ELi64ELi4ELi33ELi32ELi16EiPKfPKS1_PfEviT6_lT7_lT5_lS6_lS7_lS5_lT8_i
	.p2align	8
	.type	_ZL26rocblas_hemvn_kernel_upperILb0ELi64ELi4ELi33ELi32ELi16EiPKfPKS1_PfEviT6_lT7_lT5_lS6_lS7_lS5_lT8_i,@function
_ZL26rocblas_hemvn_kernel_upperILb0ELi64ELi4ELi33ELi32ELi16EiPKfPKS1_PfEviT6_lT7_lT5_lS6_lS7_lS5_lT8_i: ; @_ZL26rocblas_hemvn_kernel_upperILb0ELi64ELi4ELi33ELi32ELi16EiPKfPKS1_PfEviT6_lT7_lT5_lS6_lS7_lS5_lT8_i
; %bb.0:
	s_clause 0x1
	s_load_b64 s[4:5], s[0:1], 0x84
	s_load_b32 s33, s[0:1], 0x70
	s_bfe_u32 s2, ttmp6, 0x40014
	s_lshr_b32 s6, ttmp7, 16
	s_add_co_i32 s2, s2, 1
	s_bfe_u32 s7, ttmp6, 0x40008
	s_mul_i32 s2, s6, s2
	s_getreg_b32 s3, hwreg(HW_REG_IB_STS2, 6, 4)
	s_add_co_i32 s7, s7, s2
	s_mov_b32 s35, 0
	s_wait_kmcnt 0x0
	s_lshr_b32 s2, s4, 16
	s_and_b32 s4, s4, 0xffff
	s_and_b32 s5, s5, 0xffff
	s_mul_i32 s2, s2, s4
	s_cmp_eq_u32 s3, 0
	s_mul_i32 s2, s2, s5
	s_cselect_b32 s34, s6, s7
	s_cmp_lg_u32 s2, 0x100
	s_cselect_b32 s2, -1, 0
	s_cmp_ge_u32 s34, s33
	s_cselect_b32 s4, -1, 0
	s_delay_alu instid0(SALU_CYCLE_1) | instskip(NEXT) | instid1(SALU_CYCLE_1)
	s_or_b32 s2, s2, s4
	s_and_b32 vcc_lo, exec_lo, s2
	s_cbranch_vccnz .LBB137_131
; %bb.1:
	s_clause 0x1
	s_load_b32 s8, s[0:1], 0x0
	s_load_b32 s20, s[0:1], 0x28
	s_add_nc_u64 s[6:7], s[0:1], 0x78
	s_clause 0x2
	s_load_b128 s[28:31], s[0:1], 0x38
	s_load_b32 s24, s[0:1], 0x48
	s_load_b64 s[4:5], s[0:1], 0x68
	s_load_b32 s40, s[6:7], 0x0
	s_bfe_u32 s2, ttmp6, 0x4000c
	v_and_b32_e32 v112, 0x3ff, v0
	s_add_co_i32 s2, s2, 1
	v_bfe_u32 v1, v0, 10, 10
	s_wait_xcnt 0x0
	s_and_b32 s6, ttmp6, 15
	s_mul_i32 s7, ttmp9, s2
	v_dual_mov_b32 v25, 0 :: v_dual_bitop2_b32 v16, 31, v0 bitop3:0x40
	s_add_co_i32 s6, s6, s7
	v_lshl_add_u32 v4, v1, 6, v112
                                        ; implicit-def: $vgpr172 : SGPR spill to VGPR lane
	v_cmp_eq_u32_e64 s2, 0, v1
	v_lshl_add_u32 v124, v1, 4, 0x10c0
	s_mov_b32 s41, s35
	v_mul_u32_u24_e32 v13, 33, v16
	v_lshrrev_b32_e32 v3, 5, v4
	s_wait_kmcnt 0x0
	s_ashr_i32 s9, s8, 31
	s_ashr_i32 s21, s20, 31
	s_cmp_eq_u32 s3, 0
	s_mul_i32 s56, s20, 24
	s_cselect_b32 s42, ttmp9, s6
	s_lshr_b32 s3, s9, 26
	s_lshl_b32 s22, s42, 6
	s_add_co_i32 s3, s8, s3
	v_dual_lshlrev_b32 v113, 2, v112 :: v_dual_add_nc_u32 v18, s22, v112
	s_and_not1_b32 s3, s3, 63
	s_add_co_i32 s6, s40, -1
	s_sub_co_i32 s100, s8, s3
	s_cmp_eq_u32 s42, s6
	v_mul_lo_u32 v20, s24, v18
	s_cselect_b32 s44, s100, 0
	v_mad_u32 v22, s20, v3, v16
	s_cmp_lg_u32 s44, 0
	v_lshlrev_b32_e32 v121, 2, v1
	s_cselect_b32 s101, -1, 0
	s_cmp_eq_u32 s44, 0
	v_mad_u32_u24 v125, 0x430, v1, v113
	s_cselect_b32 s3, -1, 0
	s_ashr_i32 s43, s42, 31
	s_lshl_b32 s58, s20, 5
	s_mul_u64 s[6:7], s[8:9], s[42:43]
	s_ashr_i32 s59, s58, 31
	s_lshl_b64 s[6:7], s[6:7], 2
	v_dual_ashrrev_i32 v23, 31, v22 :: v_dual_ashrrev_i32 v21, 31, v20
	v_add_nc_u32_e32 v2, 8, v3
	s_add_nc_u64 s[48:49], s[4:5], s[6:7]
	v_cmp_gt_i32_e64 s4, s44, v3
	v_dual_lshlrev_b32 v115, 2, v16 :: v_dual_add_nc_u32 v5, 16, v3
	v_dual_add_nc_u32 v6, 24, v3 :: v_dual_lshlrev_b32 v7, 2, v3
	s_delay_alu instid0(VALU_DEP_3)
	v_writelane_b32 v172, s4, 0
	v_cmp_gt_i32_e64 s4, s44, v2
	v_lshlrev_b32_e32 v8, 4, v3
	v_mul_u32_u24_e32 v116, 0x84, v3
	v_mul_u32_u24_e32 v9, 0x210, v3
	v_cmp_eq_u32_e64 s18, 1, v3
	v_writelane_b32 v172, s4, 1
	v_cmp_gt_i32_e64 s4, s44, v5
	v_mul_i32_i24_e32 v122, -12, v3
	v_mad_u32_u24 v140, 0x10c, v1, v113
	v_add_nc_u32_e32 v133, 17, v121
	v_cmp_gt_i32_e32 vcc_lo, s44, v112
	v_writelane_b32 v172, s4, 2
	v_cmp_gt_i32_e64 s4, s44, v6
	v_or_b32_e32 v12, 3, v7
	s_mul_i32 s50, s20, s22
	s_lshl_b32 s52, s20, 3
	s_lshl_b32 s54, s20, 4
	v_writelane_b32 v172, s4, 3
	s_sub_co_i32 s4, s44, 32
	s_add_co_i32 s25, s42, 1
	v_cmp_gt_i32_e64 s15, s4, v2
	v_mad_u32 v2, s20, v121, v112
	v_cmp_gt_i32_e64 s16, s4, v5
	v_and_b32_e32 v5, 15, v0
	v_and_b32_e32 v0, 48, v0
	v_or_b32_e32 v11, 2, v7
	v_cmp_gt_i32_e64 s14, s4, v3
	v_cmp_gt_i32_e64 s17, s4, v6
	v_lshrrev_b32_e32 v6, 2, v4
	v_lshlrev_b32_e32 v0, 2, v0
	s_mul_i32 s4, s24, s22
	s_or_b32 s102, s3, vcc_lo
	v_ashrrev_i32_e32 v3, 31, v2
	s_ashr_i32 s23, s22, 31
	v_mad_u32_u24 v127, 0x10c, v5, v0
	s_ashr_i32 s51, s50, 31
	s_ashr_i32 s45, s44, 31
	v_add_nc_u64_e32 v[0:1], s[58:59], v[2:3]
	s_ashr_i32 s53, s52, 31
	s_ashr_i32 s55, s54, 31
	;; [unrolled: 1-line block ×4, first 2 shown]
	s_cmp_lt_u32 s25, s40
	s_mul_i32 s26, s24, s25
	v_lshlrev_b64_e32 v[0:1], 2, v[0:1]
	v_lshl_or_b32 v117, v16, 7, v115
	v_and_b32_e32 v6, 0x1ffc, v6
	s_mul_u64 s[46:47], s[40:41], s[8:9]
	s_sub_nc_u64 s[60:61], 0, s[4:5]
	s_cselect_b32 s41, -1, 0
	s_lshl_b32 s103, s24, 6
	s_lshl_b32 s4, s20, 1
	s_mul_i32 s6, s20, 3
	s_lshl_b64 s[64:65], s[20:21], 5
	s_lshl_b64 s[24:25], s[20:21], 2
	s_lshl_b32 vcc_hi, s26, 6
	s_lshl_b64 s[26:27], s[20:21], 3
	s_mul_u64 s[76:77], s[20:21], 12
	s_add_nc_u64 s[20:21], s[20:21], s[54:55]
	s_add_nc_u64 s[70:71], s[58:59], s[54:55]
	v_mad_nc_u64_u32 v[34:35], s20, 12, v[0:1]
	v_mad_nc_i64_i32 v[38:39], s54, 12, v[0:1]
	v_cmp_gt_u32_e64 s8, v7, v16
	v_dual_add_nc_u32 v118, v117, v8 :: v_dual_bitop2_b32 v10, 1, v7 bitop3:0x54
	v_cmp_ge_u32_e64 s9, v7, v16
	v_lshl_add_u32 v120, v13, 2, v7
	v_mad_u32_u24 v126, 0x10c, v5, v6
	v_dual_add_nc_u32 v139, 35, v121 :: v_dual_add_nc_u32 v141, v117, v7
	v_add_nc_u32_e32 v142, 0x11c0, v7
	v_lshlrev_b64_e32 v[6:7], 2, v[2:3]
	v_add_nc_u64_e32 v[2:3], s[70:71], v[2:3]
	s_lshl_b64 s[88:89], s[54:55], 3
	s_ashr_i32 s5, s4, 31
	s_ashr_i32 s7, s6, 31
	s_lshl_b64 s[86:87], s[58:59], 2
	s_add_nc_u64 s[78:79], s[76:77], s[88:89]
	s_add_nc_u64 s[66:67], s[26:27], s[86:87]
	s_lshl_b64 s[4:5], s[4:5], 2
	s_add_nc_u64 s[70:71], s[24:25], s[86:87]
	s_lshl_b64 s[6:7], s[6:7], 2
	s_lshl_b64 s[80:81], s[54:55], 2
	v_add_nc_u64_e32 v[36:37], s[78:79], v[0:1]
	s_mul_u64 s[78:79], s[54:55], 12
	v_add_nc_u64_e32 v[30:31], s[76:77], v[0:1]
	s_add_nc_u64 s[72:73], s[86:87], s[4:5]
	s_add_nc_u64 s[74:75], s[86:87], s[6:7]
	v_lshl_add_u64 v[32:33], v[2:3], 2, s[76:77]
	s_add_nc_u64 s[76:77], s[66:67], s[80:81]
	s_add_nc_u64 s[26:27], s[78:79], s[26:27]
	;; [unrolled: 1-line block ×5, first 2 shown]
	v_add_nc_u64_e32 v[40:41], s[26:27], v[0:1]
	v_mad_u32 v35, s21, 12, v35
	v_add_nc_u64_e32 v[42:43], s[24:25], v[38:39]
	s_add_nc_u64 s[90:91], s[86:87], s[24:25]
	s_lshl_b64 s[94:95], s[22:23], 2
	s_clause 0x1
	s_load_b256 s[20:27], s[0:1], 0x8
	s_load_b128 s[36:39], s[0:1], 0x58
	v_cmp_gt_u32_e64 s10, v11, v16
	v_add_nc_u32_e32 v119, 0x11c0, v8
	v_dual_add_nc_u32 v132, 16, v121 :: v_dual_bitop2_b32 v8, 32, v16 bitop3:0x54
	v_dual_ashrrev_i32 v19, 31, v18 :: v_dual_bitop2_b32 v11, 60, v113 bitop3:0x54
	v_cmp_gt_u32_e64 s11, v12, v16
	v_cmp_gt_u32_e64 s12, 32, v4
	s_delay_alu instid0(VALU_DEP_4)
	v_cmp_gt_i32_e64 s13, s44, v8
	v_mul_u32_u24_e32 v8, 0x10c, v5
	v_and_b32_e32 v12, 0x7ff0, v4
	v_cmp_gt_u32_e64 s19, 64, v4
	v_mad_u32_u24 v128, 0x10c, v5, v11
	v_lshlrev_b64_e32 v[4:5], 2, v[22:23]
	v_dual_mov_b32 v17, v25 :: v_dual_add_nc_u32 v114, 0x11c0, v113
	v_mul_u32_u24_e32 v10, 0x84, v10
	v_add_nc_u64_e32 v[44:45], s[4:5], v[38:39]
	v_add_nc_u64_e32 v[48:49], s[6:7], v[38:39]
	v_cmp_gt_i32_e64 s3, s44, v16
	v_sub_nc_u64_e32 v[26:27], 0, v[4:5]
	v_sub_nc_u64_e32 v[28:29], v[6:7], v[4:5]
	;; [unrolled: 1-line block ×3, first 2 shown]
	v_add_nc_u32_e32 v123, 0x10c0, v113
	v_dual_add_nc_u32 v134, 18, v121 :: v_dual_bitop2_b32 v129, 1, v121 bitop3:0x54
	v_dual_add_nc_u32 v135, 19, v121 :: v_dual_bitop2_b32 v130, 2, v121 bitop3:0x54
	;; [unrolled: 1-line block ×3, first 2 shown]
	v_dual_add_nc_u32 v137, 33, v121 :: v_dual_add_nc_u32 v138, 34, v121
	v_dual_add_nc_u32 v143, v8, v12 :: v_dual_add_nc_u32 v144, v115, v9
	;; [unrolled: 1-line block ×5, first 2 shown]
	s_add_co_i32 s43, s40, -2
	s_and_b32 s104, s2, s102
	s_sub_nc_u64 s[62:63], 0, s[44:45]
	s_lshl_b64 s[68:69], s[54:55], 4
	s_add_nc_u64 s[82:83], s[80:81], s[4:5]
	s_add_nc_u64 s[84:85], s[80:81], s[6:7]
	;; [unrolled: 1-line block ×5, first 2 shown]
	s_lshl_b64 s[30:31], s[30:31], 2
	s_wait_kmcnt 0x0
	s_lshl_b64 s[26:27], s[26:27], 2
	s_branch .LBB137_4
.LBB137_2:                              ;   in Loop: Header=BB137_4 Depth=1
	s_wait_xcnt 0x0
	s_or_b32 exec_lo, exec_lo, s4
.LBB137_3:                              ;   in Loop: Header=BB137_4 Depth=1
	s_add_co_i32 s34, s34, 0x10000
	s_delay_alu instid0(SALU_CYCLE_1)
	s_cmp_lt_u32 s34, s33
	s_cbranch_scc0 .LBB137_131
.LBB137_4:                              ; =>This Loop Header: Depth=1
                                        ;     Child Loop BB137_71 Depth 2
	s_mul_u64 s[0:1], s[22:23], s[34:35]
	s_wait_xcnt 0x0
	s_mul_u64 s[4:5], s[38:39], s[34:35]
	s_lshl_b64 s[0:1], s[0:1], 2
	s_lshl_b64 s[4:5], s[4:5], 2
	s_add_nc_u64 s[0:1], s[20:21], s[0:1]
	s_add_nc_u64 s[4:5], s[36:37], s[4:5]
	s_clause 0x1
	global_load_b32 v0, v25, s[0:1]
	global_load_b32 v1, v25, s[4:5]
	s_wait_loadcnt 0x1
	s_wait_xcnt 0x1
	v_cmp_eq_f32_e64 s0, 0, v0
	s_wait_loadcnt 0x0
	v_cmp_eq_f32_e32 vcc_lo, 1.0, v1
	s_and_b32 s1, s0, vcc_lo
	s_delay_alu instid0(SALU_CYCLE_1)
	s_and_b32 vcc_lo, exec_lo, s1
	s_cbranch_vccnz .LBB137_3
; %bb.5:                                ;   in Loop: Header=BB137_4 Depth=1
	s_and_b32 vcc_lo, exec_lo, s0
	s_cbranch_vccz .LBB137_7
; %bb.6:                                ;   in Loop: Header=BB137_4 Depth=1
	s_cbranch_execnz .LBB137_3
	s_branch .LBB137_8
.LBB137_7:                              ;   in Loop: Header=BB137_4 Depth=1
.LBB137_8:                              ;   in Loop: Header=BB137_4 Depth=1
	s_lshl_b64 s[0:1], s[34:35], 3
	s_wait_xcnt 0x0
	s_add_nc_u64 s[4:5], s[28:29], s[0:1]
	s_add_nc_u64 s[0:1], s[24:25], s[0:1]
	s_clause 0x1
	global_load_b64 v[2:3], v25, s[4:5]
	global_load_b64 v[0:1], v25, s[0:1]
	s_wait_loadcnt 0x1
	v_add_nc_u64_e32 v[2:3], s[30:31], v[2:3]
	s_delay_alu instid0(VALU_DEP_1)
	v_lshl_add_u64 v[4:5], v[20:21], 2, v[2:3]
	s_wait_xcnt 0x0
	s_and_saveexec_b32 s0, s2
	s_cbranch_execz .LBB137_12
; %bb.9:                                ;   in Loop: Header=BB137_4 Depth=1
	v_mov_b32_e32 v2, 0
	s_and_saveexec_b32 s1, s102
	s_cbranch_execz .LBB137_11
; %bb.10:                               ;   in Loop: Header=BB137_4 Depth=1
	flat_load_b32 v2, v[4:5]
.LBB137_11:                             ;   in Loop: Header=BB137_4 Depth=1
	s_wait_xcnt 0x0
	s_or_b32 exec_lo, exec_lo, s1
	s_wait_loadcnt_dscnt 0x0
	ds_store_b32 v114, v2
.LBB137_12:                             ;   in Loop: Header=BB137_4 Depth=1
	s_or_b32 exec_lo, exec_lo, s0
	s_wait_loadcnt 0x0
	v_add_nc_u64_e32 v[0:1], s[26:27], v[0:1]
	s_and_b32 vcc_lo, exec_lo, s101
	s_mov_b32 s0, -1
	s_delay_alu instid0(VALU_DEP_1) | instskip(NEXT) | instid1(VALU_DEP_1)
	v_add_nc_u64_e32 v[0:1], s[94:95], v[0:1]
	v_lshl_add_u64 v[0:1], v[22:23], 2, v[0:1]
	s_delay_alu instid0(VALU_DEP_1)
	v_lshl_add_u64 v[2:3], s[50:51], 2, v[0:1]
                                        ; implicit-def: $vgpr0_vgpr1
	s_cbranch_vccz .LBB137_22
; %bb.13:                               ;   in Loop: Header=BB137_4 Depth=1
	s_delay_alu instid0(VALU_DEP_1) | instskip(SKIP_1) | instid1(VALU_DEP_2)
	v_lshl_add_u64 v[0:1], v[46:47], 2, v[2:3]
	v_mov_b32_e32 v7, 0
	v_lshl_add_u64 v[0:1], s[44:45], 2, v[0:1]
	s_delay_alu instid0(VALU_DEP_1) | instskip(NEXT) | instid1(VALU_DEP_1)
	v_add_nc_u64_e32 v[0:1], -4, v[0:1]
	v_dual_mov_b32 v8, 0 :: v_dual_cndmask_b32 v1, v1, v3, s3
	s_delay_alu instid0(VALU_DEP_2) | instskip(SKIP_3) | instid1(SALU_CYCLE_1)
	v_cndmask_b32_e64 v0, v0, v2, s3
	s_mov_b32 s0, exec_lo
	v_readlane_b32 s1, v172, 0
	s_and_b32 s1, s0, s1
	s_mov_b32 exec_lo, s1
	s_cbranch_execz .LBB137_15
; %bb.14:                               ;   in Loop: Header=BB137_4 Depth=1
	flat_load_b32 v7, v[0:1]
.LBB137_15:                             ;   in Loop: Header=BB137_4 Depth=1
	s_wait_xcnt 0x0
	s_or_b32 exec_lo, exec_lo, s0
	v_add_nc_u32_e32 v6, v115, v116
	s_wait_loadcnt_dscnt 0x0
	ds_store_b32 v6, v7
	s_mov_b32 s0, exec_lo
	v_readlane_b32 s1, v172, 1
	s_and_b32 s1, s0, s1
	s_delay_alu instid0(SALU_CYCLE_1)
	s_mov_b32 exec_lo, s1
	s_cbranch_execz .LBB137_17
; %bb.16:                               ;   in Loop: Header=BB137_4 Depth=1
	v_lshl_add_u64 v[8:9], s[52:53], 2, v[0:1]
	flat_load_b32 v8, v[8:9]
.LBB137_17:                             ;   in Loop: Header=BB137_4 Depth=1
	s_wait_xcnt 0x0
	s_or_b32 exec_lo, exec_lo, s0
	v_dual_mov_b32 v7, 0 :: v_dual_mov_b32 v9, 0
	s_wait_loadcnt_dscnt 0x0
	ds_store_b32 v6, v8 offset:1056
	s_mov_b32 s0, exec_lo
	v_readlane_b32 s1, v172, 2
	s_and_b32 s1, s0, s1
	s_delay_alu instid0(SALU_CYCLE_1)
	s_mov_b32 exec_lo, s1
	s_cbranch_execz .LBB137_19
; %bb.18:                               ;   in Loop: Header=BB137_4 Depth=1
	v_lshl_add_u64 v[8:9], s[54:55], 2, v[0:1]
	flat_load_b32 v9, v[8:9]
.LBB137_19:                             ;   in Loop: Header=BB137_4 Depth=1
	s_wait_xcnt 0x0
	s_or_b32 exec_lo, exec_lo, s0
	s_wait_loadcnt_dscnt 0x0
	ds_store_b32 v6, v9 offset:2112
	s_mov_b32 s0, exec_lo
	v_readlane_b32 s1, v172, 3
	s_and_b32 s1, s0, s1
	s_delay_alu instid0(SALU_CYCLE_1)
	s_mov_b32 exec_lo, s1
	s_cbranch_execz .LBB137_21
; %bb.20:                               ;   in Loop: Header=BB137_4 Depth=1
	v_lshl_add_u64 v[8:9], s[56:57], 2, v[0:1]
	flat_load_b32 v7, v[8:9]
.LBB137_21:                             ;   in Loop: Header=BB137_4 Depth=1
	s_wait_xcnt 0x0
	s_or_b32 exec_lo, exec_lo, s0
	v_lshlrev_b32_e32 v24, 2, v16
	s_mov_b32 s0, 0
	s_wait_loadcnt_dscnt 0x0
	ds_store_b32 v6, v7 offset:3168
	v_add_nc_u64_e32 v[0:1], v[0:1], v[24:25]
	s_delay_alu instid0(VALU_DEP_1) | instskip(NEXT) | instid1(VALU_DEP_1)
	v_lshl_add_u64 v[0:1], s[62:63], 2, v[0:1]
	v_add_nc_u64_e32 v[0:1], 4, v[0:1]
	s_delay_alu instid0(VALU_DEP_1)
	v_dual_cndmask_b32 v1, v1, v3, s3 :: v_dual_cndmask_b32 v0, v0, v2, s3
.LBB137_22:                             ;   in Loop: Header=BB137_4 Depth=1
	v_add_nc_u32_e32 v8, v115, v116
	s_and_b32 vcc_lo, exec_lo, s0
	s_cbranch_vccz .LBB137_24
; %bb.23:                               ;   in Loop: Header=BB137_4 Depth=1
	v_lshl_add_u64 v[0:1], s[52:53], 2, v[2:3]
	s_delay_alu instid0(VALU_DEP_1) | instskip(NEXT) | instid1(VALU_DEP_1)
	v_add_nc_u64_e32 v[6:7], s[64:65], v[0:1]
	v_add_nc_u64_e32 v[10:11], s[64:65], v[6:7]
	s_clause 0x3
	flat_load_b32 v9, v[2:3]
	flat_load_b32 v12, v[0:1]
	;; [unrolled: 1-line block ×4, first 2 shown]
	v_mov_b64_e32 v[0:1], v[2:3]
	s_wait_loadcnt_dscnt 0x303
	ds_store_b32 v8, v9
	s_wait_loadcnt_dscnt 0x203
	ds_store_b32 v8, v12 offset:1056
	s_wait_loadcnt_dscnt 0x103
	ds_store_b32 v8, v6 offset:2112
	;; [unrolled: 2-line block ×3, first 2 shown]
.LBB137_24:                             ;   in Loop: Header=BB137_4 Depth=1
	s_wait_dscnt 0x0
	s_barrier_signal -1
	s_barrier_wait -1
	s_wait_xcnt 0x0
	s_and_saveexec_b32 s0, s8
	s_cbranch_execnz .LBB137_125
; %bb.25:                               ;   in Loop: Header=BB137_4 Depth=1
	s_or_b32 exec_lo, exec_lo, s0
	s_and_saveexec_b32 s0, s9
	s_cbranch_execnz .LBB137_126
.LBB137_26:                             ;   in Loop: Header=BB137_4 Depth=1
	s_or_b32 exec_lo, exec_lo, s0
	s_and_saveexec_b32 s0, s10
	s_cbranch_execnz .LBB137_127
.LBB137_27:                             ;   in Loop: Header=BB137_4 Depth=1
	s_or_b32 exec_lo, exec_lo, s0
	s_and_saveexec_b32 s0, s11
	s_cbranch_execz .LBB137_29
.LBB137_28:                             ;   in Loop: Header=BB137_4 Depth=1
	ds_load_b32 v2, v145 offset:264
	s_wait_dscnt 0x0
	ds_store_b32 v118, v2 offset:12
.LBB137_29:                             ;   in Loop: Header=BB137_4 Depth=1
	s_or_b32 exec_lo, exec_lo, s0
	s_wait_dscnt 0x0
	s_barrier_signal -1
	s_barrier_wait -1
	ds_load_2addr_b32 v[2:3], v145 offset1:33
	ds_load_b32 v6, v144
	ds_load_b128 v[10:13], v119
	ds_load_b32 v15, v145 offset:264
	s_wait_dscnt 0x0
	s_barrier_signal -1
	s_barrier_wait -1
	v_dual_mov_b32 v17, 0 :: v_dual_mov_b32 v7, v2
	v_mov_b32_e32 v14, v3
	s_delay_alu instid0(VALU_DEP_2) | instskip(NEXT) | instid1(VALU_DEP_2)
	v_pk_mul_f32 v[6:7], v[6:7], v[10:11]
	v_pk_mul_f32 v[2:3], v[14:15], v[12:13]
	s_delay_alu instid0(VALU_DEP_2) | instskip(NEXT) | instid1(VALU_DEP_1)
	v_add_f32_e32 v6, 0, v6
	v_add_f32_e32 v6, v6, v7
	s_delay_alu instid0(VALU_DEP_1) | instskip(NEXT) | instid1(VALU_DEP_1)
	v_add_f32_e32 v2, v6, v2
	v_add_f32_e32 v2, v2, v3
	ds_store_b32 v120, v2
	s_wait_dscnt 0x0
	s_barrier_signal -1
	s_barrier_wait -1
	s_and_saveexec_b32 s0, s12
	s_cbranch_execz .LBB137_31
; %bb.30:                               ;   in Loop: Header=BB137_4 Depth=1
	ds_load_2addr_b32 v[2:3], v117 offset1:1
	ds_load_2addr_b32 v[6:7], v117 offset0:2 offset1:3
	ds_load_2addr_b32 v[10:11], v117 offset0:4 offset1:5
	;; [unrolled: 1-line block ×3, first 2 shown]
	s_wait_dscnt 0x3
	v_add_f32_e32 v2, v2, v3
	s_wait_dscnt 0x2
	s_delay_alu instid0(VALU_DEP_1) | instskip(NEXT) | instid1(VALU_DEP_1)
	v_add_f32_e32 v2, v2, v6
	v_add_f32_e32 v2, v2, v7
	s_wait_dscnt 0x1
	s_delay_alu instid0(VALU_DEP_1) | instskip(NEXT) | instid1(VALU_DEP_1)
	v_add_f32_e32 v2, v2, v10
	;; [unrolled: 4-line block ×3, first 2 shown]
	v_add_f32_e32 v17, v2, v13
.LBB137_31:                             ;   in Loop: Header=BB137_4 Depth=1
	s_or_b32 exec_lo, exec_lo, s0
	v_lshl_add_u64 v[6:7], s[58:59], 2, v[0:1]
	s_and_b32 vcc_lo, exec_lo, s101
	s_mov_b32 s0, -1
	s_barrier_signal -1
	s_delay_alu instid0(VALU_DEP_1)
	v_add_nc_u64_e32 v[2:3], 0x80, v[6:7]
	s_barrier_wait -1
                                        ; implicit-def: $vgpr0_vgpr1
	s_cbranch_vccz .LBB137_41
; %bb.32:                               ;   in Loop: Header=BB137_4 Depth=1
	v_lshl_add_u64 v[0:1], v[46:47], 2, v[6:7]
	v_mov_b32_e32 v9, 0
	s_delay_alu instid0(VALU_DEP_2) | instskip(NEXT) | instid1(VALU_DEP_1)
	v_lshl_add_u64 v[0:1], s[44:45], 2, v[0:1]
	v_add_nc_u64_e32 v[0:1], -4, v[0:1]
	s_delay_alu instid0(VALU_DEP_1) | instskip(NEXT) | instid1(VALU_DEP_2)
	v_dual_mov_b32 v10, 0 :: v_dual_cndmask_b32 v1, v1, v3, s13
	v_cndmask_b32_e64 v0, v0, v2, s13
	s_and_saveexec_b32 s0, s14
	s_cbranch_execz .LBB137_34
; %bb.33:                               ;   in Loop: Header=BB137_4 Depth=1
	flat_load_b32 v9, v[0:1]
.LBB137_34:                             ;   in Loop: Header=BB137_4 Depth=1
	s_wait_xcnt 0x0
	s_or_b32 exec_lo, exec_lo, s0
	s_wait_loadcnt_dscnt 0x0
	ds_store_b32 v8, v9
	s_and_saveexec_b32 s0, s15
	s_cbranch_execz .LBB137_36
; %bb.35:                               ;   in Loop: Header=BB137_4 Depth=1
	v_lshl_add_u64 v[10:11], s[52:53], 2, v[0:1]
	flat_load_b32 v10, v[10:11]
.LBB137_36:                             ;   in Loop: Header=BB137_4 Depth=1
	s_wait_xcnt 0x0
	s_or_b32 exec_lo, exec_lo, s0
	v_dual_mov_b32 v9, 0 :: v_dual_mov_b32 v11, 0
	s_wait_loadcnt_dscnt 0x0
	ds_store_b32 v8, v10 offset:1056
	s_and_saveexec_b32 s0, s16
	s_cbranch_execz .LBB137_38
; %bb.37:                               ;   in Loop: Header=BB137_4 Depth=1
	v_lshl_add_u64 v[10:11], s[54:55], 2, v[0:1]
	flat_load_b32 v11, v[10:11]
.LBB137_38:                             ;   in Loop: Header=BB137_4 Depth=1
	s_wait_xcnt 0x0
	s_or_b32 exec_lo, exec_lo, s0
	s_wait_loadcnt_dscnt 0x0
	ds_store_b32 v8, v11 offset:2112
	s_and_saveexec_b32 s0, s17
	s_cbranch_execz .LBB137_40
; %bb.39:                               ;   in Loop: Header=BB137_4 Depth=1
	v_lshl_add_u64 v[10:11], s[56:57], 2, v[0:1]
	flat_load_b32 v9, v[10:11]
.LBB137_40:                             ;   in Loop: Header=BB137_4 Depth=1
	s_wait_xcnt 0x0
	s_or_b32 exec_lo, exec_lo, s0
	v_lshlrev_b32_e32 v24, 2, v16
	s_mov_b32 s0, 0
	s_wait_loadcnt_dscnt 0x0
	ds_store_b32 v8, v9 offset:3168
	v_add_nc_u64_e32 v[0:1], v[0:1], v[24:25]
	s_delay_alu instid0(VALU_DEP_1) | instskip(NEXT) | instid1(VALU_DEP_1)
	v_lshl_add_u64 v[0:1], s[62:63], 2, v[0:1]
	v_add_nc_u64_e32 v[0:1], 0x84, v[0:1]
	s_delay_alu instid0(VALU_DEP_1)
	v_dual_cndmask_b32 v1, v1, v3, s13 :: v_dual_cndmask_b32 v0, v0, v2, s13
.LBB137_41:                             ;   in Loop: Header=BB137_4 Depth=1
	s_and_b32 vcc_lo, exec_lo, s0
	s_cbranch_vccz .LBB137_43
; %bb.42:                               ;   in Loop: Header=BB137_4 Depth=1
	v_lshl_add_u64 v[0:1], s[52:53], 2, v[6:7]
	s_delay_alu instid0(VALU_DEP_1) | instskip(NEXT) | instid1(VALU_DEP_1)
	v_add_nc_u64_e32 v[10:11], s[64:65], v[0:1]
	v_add_nc_u64_e32 v[12:13], s[64:65], v[10:11]
	s_clause 0x3
	flat_load_b32 v6, v[6:7] offset:128
	flat_load_b32 v7, v[0:1] offset:128
	;; [unrolled: 1-line block ×4, first 2 shown]
	v_mov_b64_e32 v[0:1], v[2:3]
	s_wait_loadcnt_dscnt 0x303
	ds_store_b32 v8, v6
	s_wait_loadcnt_dscnt 0x203
	ds_store_b32 v8, v7 offset:1056
	s_wait_loadcnt_dscnt 0x103
	ds_store_b32 v8, v9 offset:2112
	;; [unrolled: 2-line block ×3, first 2 shown]
.LBB137_43:                             ;   in Loop: Header=BB137_4 Depth=1
	s_wait_dscnt 0x0
	s_barrier_signal -1
	s_barrier_wait -1
	s_wait_xcnt 0x0
	s_and_saveexec_b32 s0, s8
	s_cbranch_execnz .LBB137_128
; %bb.44:                               ;   in Loop: Header=BB137_4 Depth=1
	s_or_b32 exec_lo, exec_lo, s0
	s_and_saveexec_b32 s0, s9
	s_cbranch_execnz .LBB137_129
.LBB137_45:                             ;   in Loop: Header=BB137_4 Depth=1
	s_or_b32 exec_lo, exec_lo, s0
	s_and_saveexec_b32 s0, s10
	s_cbranch_execnz .LBB137_130
.LBB137_46:                             ;   in Loop: Header=BB137_4 Depth=1
	s_or_b32 exec_lo, exec_lo, s0
	s_and_saveexec_b32 s0, s11
	s_cbranch_execz .LBB137_48
.LBB137_47:                             ;   in Loop: Header=BB137_4 Depth=1
	ds_load_b32 v2, v145 offset:264
	s_wait_dscnt 0x0
	ds_store_b32 v118, v2 offset:12
.LBB137_48:                             ;   in Loop: Header=BB137_4 Depth=1
	s_or_b32 exec_lo, exec_lo, s0
	s_wait_dscnt 0x0
	s_barrier_signal -1
	s_barrier_wait -1
	ds_load_2addr_b32 v[2:3], v145 offset1:33
	ds_load_b32 v6, v144
	ds_load_b128 v[10:13], v119 offset:128
	ds_load_b32 v15, v145 offset:264
	s_wait_dscnt 0x0
	s_barrier_signal -1
	s_barrier_wait -1
	v_dual_mov_b32 v7, v2 :: v_dual_mov_b32 v14, v3
	s_delay_alu instid0(VALU_DEP_1) | instskip(NEXT) | instid1(VALU_DEP_2)
	v_pk_mul_f32 v[6:7], v[6:7], v[10:11]
	v_pk_mul_f32 v[2:3], v[14:15], v[12:13]
	s_delay_alu instid0(VALU_DEP_2) | instskip(NEXT) | instid1(VALU_DEP_1)
	v_add_f32_e32 v6, 0, v6
	v_add_f32_e32 v6, v6, v7
	s_delay_alu instid0(VALU_DEP_1) | instskip(NEXT) | instid1(VALU_DEP_1)
	v_add_f32_e32 v2, v6, v2
	v_add_f32_e32 v2, v2, v3
	ds_store_b32 v120, v2
	s_wait_dscnt 0x0
	s_barrier_signal -1
	s_barrier_wait -1
	s_and_saveexec_b32 s0, s18
	s_cbranch_execz .LBB137_50
; %bb.49:                               ;   in Loop: Header=BB137_4 Depth=1
	ds_load_2addr_b32 v[2:3], v117 offset1:1
	ds_load_2addr_b32 v[6:7], v117 offset0:2 offset1:3
	ds_load_2addr_b32 v[10:11], v117 offset0:4 offset1:5
	;; [unrolled: 1-line block ×3, first 2 shown]
	s_wait_dscnt 0x3
	v_add_f32_e32 v2, v2, v3
	s_wait_dscnt 0x2
	s_delay_alu instid0(VALU_DEP_1) | instskip(NEXT) | instid1(VALU_DEP_1)
	v_add_f32_e32 v2, v2, v6
	v_add_f32_e32 v2, v2, v7
	s_wait_dscnt 0x1
	s_delay_alu instid0(VALU_DEP_1) | instskip(NEXT) | instid1(VALU_DEP_1)
	v_add_f32_e32 v2, v2, v10
	;; [unrolled: 4-line block ×3, first 2 shown]
	v_add_f32_e32 v17, v2, v13
.LBB137_50:                             ;   in Loop: Header=BB137_4 Depth=1
	s_or_b32 exec_lo, exec_lo, s0
	s_mov_b64 s[0:1], 0xffffffffffffff80
	s_and_b32 vcc_lo, exec_lo, s101
	v_add_nc_u64_e32 v[2:3], s[0:1], v[0:1]
	s_mov_b32 s0, -1
	s_barrier_signal -1
	s_barrier_wait -1
                                        ; implicit-def: $vgpr6_vgpr7
	s_cbranch_vccz .LBB137_60
; %bb.51:                               ;   in Loop: Header=BB137_4 Depth=1
	v_lshl_add_u64 v[6:7], v[46:47], 2, v[0:1]
	s_mov_b64 s[0:1], 0xffffffffffffff7c
	v_mov_b32_e32 v9, 0
	s_delay_alu instid0(VALU_DEP_2) | instskip(NEXT) | instid1(VALU_DEP_1)
	v_lshl_add_u64 v[6:7], s[44:45], 2, v[6:7]
	v_add_nc_u64_e32 v[6:7], s[0:1], v[6:7]
	s_delay_alu instid0(VALU_DEP_1) | instskip(NEXT) | instid1(VALU_DEP_2)
	v_dual_mov_b32 v10, 0 :: v_dual_cndmask_b32 v7, v7, v3, s3
	v_cndmask_b32_e64 v6, v6, v2, s3
	s_and_saveexec_b32 s0, s14
	s_cbranch_execz .LBB137_53
; %bb.52:                               ;   in Loop: Header=BB137_4 Depth=1
	flat_load_b32 v9, v[6:7]
.LBB137_53:                             ;   in Loop: Header=BB137_4 Depth=1
	s_wait_xcnt 0x0
	s_or_b32 exec_lo, exec_lo, s0
	s_wait_loadcnt_dscnt 0x0
	ds_store_b32 v8, v9
	s_and_saveexec_b32 s0, s15
	s_cbranch_execz .LBB137_55
; %bb.54:                               ;   in Loop: Header=BB137_4 Depth=1
	v_lshl_add_u64 v[10:11], s[52:53], 2, v[6:7]
	flat_load_b32 v10, v[10:11]
.LBB137_55:                             ;   in Loop: Header=BB137_4 Depth=1
	s_wait_xcnt 0x0
	s_or_b32 exec_lo, exec_lo, s0
	v_dual_mov_b32 v9, 0 :: v_dual_mov_b32 v11, 0
	s_wait_loadcnt_dscnt 0x0
	ds_store_b32 v8, v10 offset:1056
	s_and_saveexec_b32 s0, s16
	s_cbranch_execz .LBB137_57
; %bb.56:                               ;   in Loop: Header=BB137_4 Depth=1
	v_lshl_add_u64 v[10:11], s[54:55], 2, v[6:7]
	flat_load_b32 v11, v[10:11]
.LBB137_57:                             ;   in Loop: Header=BB137_4 Depth=1
	s_wait_xcnt 0x0
	s_or_b32 exec_lo, exec_lo, s0
	s_wait_loadcnt_dscnt 0x0
	ds_store_b32 v8, v11 offset:2112
	s_and_saveexec_b32 s0, s17
	s_cbranch_execz .LBB137_59
; %bb.58:                               ;   in Loop: Header=BB137_4 Depth=1
	v_lshl_add_u64 v[10:11], s[56:57], 2, v[6:7]
	flat_load_b32 v9, v[10:11]
.LBB137_59:                             ;   in Loop: Header=BB137_4 Depth=1
	s_wait_xcnt 0x0
	s_or_b32 exec_lo, exec_lo, s0
	v_lshlrev_b32_e32 v24, 2, v16
	s_mov_b32 s0, 0
	s_wait_loadcnt_dscnt 0x0
	ds_store_b32 v8, v9 offset:3168
	v_add_nc_u64_e32 v[6:7], v[6:7], v[24:25]
	s_delay_alu instid0(VALU_DEP_1) | instskip(NEXT) | instid1(VALU_DEP_1)
	v_lshl_add_u64 v[6:7], s[62:63], 2, v[6:7]
	v_add_nc_u64_e32 v[6:7], 4, v[6:7]
	s_delay_alu instid0(VALU_DEP_1)
	v_dual_cndmask_b32 v7, v7, v3, s3 :: v_dual_cndmask_b32 v6, v6, v2, s3
.LBB137_60:                             ;   in Loop: Header=BB137_4 Depth=1
	s_and_b32 vcc_lo, exec_lo, s0
	s_cbranch_vccz .LBB137_62
; %bb.61:                               ;   in Loop: Header=BB137_4 Depth=1
	v_lshl_add_u64 v[6:7], s[52:53], 2, v[0:1]
	s_delay_alu instid0(VALU_DEP_1) | instskip(NEXT) | instid1(VALU_DEP_1)
	v_add_nc_u64_e32 v[10:11], s[64:65], v[6:7]
	v_add_nc_u64_e32 v[12:13], s[64:65], v[10:11]
	s_clause 0x3
	flat_load_b32 v0, v[0:1] offset:-128
	flat_load_b32 v1, v[6:7] offset:-128
	;; [unrolled: 1-line block ×4, first 2 shown]
	v_mov_b64_e32 v[6:7], v[2:3]
	s_wait_loadcnt_dscnt 0x303
	ds_store_b32 v8, v0
	s_wait_loadcnt_dscnt 0x203
	ds_store_b32 v8, v1 offset:1056
	s_wait_loadcnt_dscnt 0x103
	ds_store_b32 v8, v9 offset:2112
	;; [unrolled: 2-line block ×3, first 2 shown]
.LBB137_62:                             ;   in Loop: Header=BB137_4 Depth=1
	v_dual_add_nc_u32 v9, v118, v122 :: v_dual_add_nc_u32 v8, v119, v122
	s_wait_dscnt 0x0
	s_barrier_signal -1
	s_barrier_wait -1
	ds_load_2addr_b32 v[0:1], v141 offset0:8 offset1:16
	ds_load_2addr_b32 v[2:3], v142 offset0:8 offset1:16
	ds_load_b32 v8, v8
	s_wait_xcnt 0x0
	ds_load_b32 v12, v9
	ds_load_b32 v15, v141 offset:96
	ds_load_b32 v51, v142 offset:96
	;; [unrolled: 1-line block ×3, first 2 shown]
	ds_load_b32 v11, v144
	s_wait_dscnt 0x6
	v_dual_mov_b32 v13, v0 :: v_dual_mov_b32 v9, v2
	v_dual_mov_b32 v14, v1 :: v_dual_mov_b32 v50, v3
	s_wait_dscnt 0x4
	s_delay_alu instid0(VALU_DEP_2)
	v_pk_mul_f32 v[12:13], v[12:13], v[8:9]
	ds_load_2addr_b32 v[8:9], v145 offset1:33
	ds_load_b128 v[0:3], v119 offset:128
	s_wait_dscnt 0x4
	v_pk_mul_f32 v[14:15], v[14:15], v[50:51]
	s_wait_dscnt 0x0
	s_barrier_signal -1
	v_add_f32_e32 v12, 0, v12
	s_barrier_wait -1
	s_delay_alu instid0(VALU_DEP_1) | instskip(NEXT) | instid1(VALU_DEP_1)
	v_add_f32_e32 v12, v12, v13
	v_add_f32_e32 v12, v12, v14
	s_delay_alu instid0(VALU_DEP_1)
	v_add_f32_e32 v12, v12, v15
	ds_store_b32 v120, v12
	s_wait_dscnt 0x0
	s_barrier_signal -1
	s_barrier_wait -1
	s_and_saveexec_b32 s0, s18
	s_cbranch_execz .LBB137_64
; %bb.63:                               ;   in Loop: Header=BB137_4 Depth=1
	ds_load_2addr_b32 v[12:13], v117 offset1:1
	ds_load_2addr_b32 v[14:15], v117 offset0:2 offset1:3
	ds_load_2addr_b32 v[50:51], v117 offset0:4 offset1:5
	;; [unrolled: 1-line block ×3, first 2 shown]
	s_wait_dscnt 0x3
	v_add_f32_e32 v12, v17, v12
	s_delay_alu instid0(VALU_DEP_1) | instskip(SKIP_1) | instid1(VALU_DEP_1)
	v_add_f32_e32 v12, v12, v13
	s_wait_dscnt 0x2
	v_add_f32_e32 v12, v12, v14
	s_delay_alu instid0(VALU_DEP_1) | instskip(SKIP_1) | instid1(VALU_DEP_1)
	v_add_f32_e32 v12, v12, v15
	;; [unrolled: 4-line block ×3, first 2 shown]
	s_wait_dscnt 0x0
	v_add_f32_e32 v12, v12, v52
	s_delay_alu instid0(VALU_DEP_1)
	v_add_f32_e32 v17, v12, v53
.LBB137_64:                             ;   in Loop: Header=BB137_4 Depth=1
	s_or_b32 exec_lo, exec_lo, s0
	v_fma_f32 v0, v11, v0, 0
	s_barrier_signal -1
	s_barrier_wait -1
	s_delay_alu instid0(VALU_DEP_1) | instskip(NEXT) | instid1(VALU_DEP_1)
	v_fmac_f32_e32 v0, v8, v1
	v_fmac_f32_e32 v0, v9, v2
	s_delay_alu instid0(VALU_DEP_1)
	v_fmac_f32_e32 v0, v10, v3
	ds_store_b32 v120, v0
	s_wait_dscnt 0x0
	s_barrier_signal -1
	s_barrier_wait -1
	s_and_saveexec_b32 s0, s12
	s_cbranch_execz .LBB137_66
; %bb.65:                               ;   in Loop: Header=BB137_4 Depth=1
	ds_load_2addr_b32 v[0:1], v117 offset1:1
	ds_load_2addr_b32 v[2:3], v117 offset0:2 offset1:3
	ds_load_2addr_b32 v[8:9], v117 offset0:4 offset1:5
	;; [unrolled: 1-line block ×3, first 2 shown]
	s_wait_dscnt 0x3
	v_add_f32_e32 v0, v17, v0
	s_delay_alu instid0(VALU_DEP_1) | instskip(SKIP_1) | instid1(VALU_DEP_1)
	v_add_f32_e32 v0, v0, v1
	s_wait_dscnt 0x2
	v_add_f32_e32 v0, v0, v2
	s_delay_alu instid0(VALU_DEP_1) | instskip(SKIP_1) | instid1(VALU_DEP_1)
	v_add_f32_e32 v0, v0, v3
	;; [unrolled: 4-line block ×3, first 2 shown]
	s_wait_dscnt 0x0
	v_add_f32_e32 v0, v0, v10
	s_delay_alu instid0(VALU_DEP_1)
	v_add_f32_e32 v17, v0, v11
.LBB137_66:                             ;   in Loop: Header=BB137_4 Depth=1
	s_or_b32 exec_lo, exec_lo, s0
	s_mul_u64 s[0:1], s[46:47], s[34:35]
	s_and_not1_b32 vcc_lo, exec_lo, s41
	s_lshl_b64 s[0:1], s[0:1], 2
	s_delay_alu instid0(SALU_CYCLE_1)
	s_add_nc_u64 s[0:1], s[48:49], s[0:1]
	s_barrier_signal -1
	s_barrier_wait -1
	s_cbranch_vccnz .LBB137_123
; %bb.67:                               ;   in Loop: Header=BB137_4 Depth=1
	v_add_nc_u64_e32 v[52:53], s[66:67], v[6:7]
	v_add_nc_u64_e32 v[54:55], v[6:7], v[30:31]
	;; [unrolled: 1-line block ×23, first 2 shown]
	v_lshl_add_u64 v[50:51], s[60:61], 2, v[4:5]
	v_lshl_add_u64 v[98:99], s[58:59], 2, v[6:7]
	v_mov_b32_e32 v24, v150
	s_mov_b32 s98, vcc_hi
	s_mov_b32 s4, s42
	s_delay_alu instid0(SALU_CYCLE_1)
	s_cmp_eq_u32 s43, s4
	s_cselect_b32 s5, s100, 0
	s_and_saveexec_b32 s6, s2
	s_cbranch_execz .LBB137_71
.LBB137_68:                             ;   in Loop: Header=BB137_4 Depth=1
	v_cmp_gt_i32_e32 vcc_lo, s5, v112
	s_cmp_eq_u32 s5, 0
	v_mov_b32_e32 v0, 0
	s_cselect_b32 s7, -1, 0
	s_delay_alu instid0(SALU_CYCLE_1) | instskip(NEXT) | instid1(SALU_CYCLE_1)
	s_or_b32 s99, s7, vcc_lo
	s_and_saveexec_b32 s7, s99
	s_cbranch_execz .LBB137_70
; %bb.69:                               ;   in Loop: Header=BB137_4 Depth=1
	s_ashr_i32 s99, s98, 31
	s_delay_alu instid0(SALU_CYCLE_1)
	v_lshl_add_u64 v[0:1], s[98:99], 2, v[50:51]
	flat_load_b32 v0, v[0:1]
.LBB137_70:                             ;   in Loop: Header=BB137_4 Depth=1
	s_wait_xcnt 0x0
	s_or_b32 exec_lo, exec_lo, s7
	s_wait_loadcnt_dscnt 0x0
	ds_store_b32 v123, v0
.LBB137_71:                             ;   Parent Loop BB137_4 Depth=1
                                        ; =>  This Inner Loop Header: Depth=2
	s_or_b32 exec_lo, exec_lo, s6
	s_cmp_eq_u32 s5, 0
	v_add_nc_u64_e32 v[0:1], v[98:99], v[28:29]
	s_cselect_b32 s99, -1, 0
	s_cmp_lg_u32 s5, 0
	s_mov_b32 s7, -1
	s_cselect_b32 s6, -1, 0
	s_wait_dscnt 0x0
	s_and_b32 vcc_lo, exec_lo, s6
	s_barrier_signal -1
	s_barrier_wait -1
                                        ; implicit-def: $vgpr153
                                        ; implicit-def: $vgpr154
                                        ; implicit-def: $vgpr151
                                        ; implicit-def: $vgpr152
	s_cbranch_vccz .LBB137_81
; %bb.72:                               ;   in Loop: Header=BB137_71 Depth=2
	v_dual_mov_b32 v151, 0 :: v_dual_mov_b32 v152, 0
	s_mov_b32 s7, exec_lo
	v_cmpx_gt_i32_e64 s5, v121
	s_cbranch_execz .LBB137_74
; %bb.73:                               ;   in Loop: Header=BB137_71 Depth=2
	flat_load_b32 v152, v[0:1]
.LBB137_74:                             ;   in Loop: Header=BB137_71 Depth=2
	s_wait_xcnt 0x0
	s_or_b32 exec_lo, exec_lo, s7
	s_delay_alu instid0(SALU_CYCLE_1)
	s_mov_b32 s7, exec_lo
	v_cmpx_gt_i32_e64 s5, v129
	s_cbranch_execz .LBB137_76
; %bb.75:                               ;   in Loop: Header=BB137_71 Depth=2
	v_add_nc_u64_e32 v[2:3], v[56:57], v[28:29]
	flat_load_b32 v151, v[2:3]
.LBB137_76:                             ;   in Loop: Header=BB137_71 Depth=2
	s_wait_xcnt 0x0
	s_or_b32 exec_lo, exec_lo, s7
	v_dual_mov_b32 v153, 0 :: v_dual_mov_b32 v154, 0
	s_mov_b32 s7, exec_lo
	v_cmpx_gt_i32_e64 s5, v130
	s_cbranch_execz .LBB137_78
; %bb.77:                               ;   in Loop: Header=BB137_71 Depth=2
	v_add_nc_u64_e32 v[2:3], v[58:59], v[28:29]
	flat_load_b32 v154, v[2:3]
.LBB137_78:                             ;   in Loop: Header=BB137_71 Depth=2
	s_wait_xcnt 0x0
	s_or_b32 exec_lo, exec_lo, s7
	s_delay_alu instid0(SALU_CYCLE_1)
	s_mov_b32 s7, exec_lo
	v_cmpx_gt_i32_e64 s5, v131
	s_cbranch_execz .LBB137_80
; %bb.79:                               ;   in Loop: Header=BB137_71 Depth=2
	v_add_nc_u64_e32 v[2:3], v[60:61], v[28:29]
	flat_load_b32 v153, v[2:3]
.LBB137_80:                             ;   in Loop: Header=BB137_71 Depth=2
	s_wait_xcnt 0x0
	s_or_b32 exec_lo, exec_lo, s7
	s_mov_b32 s7, 0
.LBB137_81:                             ;   in Loop: Header=BB137_71 Depth=2
	s_delay_alu instid0(SALU_CYCLE_1)
	s_and_b32 vcc_lo, exec_lo, s7
	s_cbranch_vccz .LBB137_83
; %bb.82:                               ;   in Loop: Header=BB137_71 Depth=2
	v_add_nc_u64_e32 v[2:3], v[56:57], v[28:29]
	v_add_nc_u64_e32 v[4:5], v[52:53], v[28:29]
	;; [unrolled: 1-line block ×3, first 2 shown]
	s_wait_loadcnt_dscnt 0x0
	flat_load_b32 v152, v[0:1]
	flat_load_b32 v151, v[2:3]
	;; [unrolled: 1-line block ×4, first 2 shown]
.LBB137_83:                             ;   in Loop: Header=BB137_71 Depth=2
	s_wait_xcnt 0x1
	ds_load_b32 v4, v114
	ds_load_b128 v[0:3], v124
	v_cndmask_b32_e64 v12, 0, 1, s6
	s_and_not1_b32 vcc_lo, exec_lo, s6
	s_mov_b32 s6, -1
                                        ; implicit-def: $vgpr157
                                        ; implicit-def: $vgpr158
                                        ; implicit-def: $vgpr155
                                        ; implicit-def: $vgpr156
	s_wait_loadcnt_dscnt 0x1
	s_wait_xcnt 0x0
	v_dual_mul_f32 v5, v152, v4 :: v_dual_mul_f32 v6, v151, v4
	v_dual_mul_f32 v7, v154, v4 :: v_dual_mul_f32 v4, v153, v4
	ds_store_2addr_b32 v125, v5, v6 offset1:67
	ds_store_2addr_b32 v125, v7, v4 offset0:134 offset1:201
	s_wait_dscnt 0x0
	s_barrier_signal -1
	s_barrier_wait -1
	ds_load_2addr_b32 v[102:103], v143 offset1:1
	ds_load_2addr_b32 v[100:101], v143 offset0:2 offset1:3
	v_add_nc_u64_e32 v[4:5], v[68:69], v[28:29]
	s_wait_dscnt 0x0
	s_barrier_signal -1
	s_barrier_wait -1
	s_cbranch_vccnz .LBB137_93
; %bb.84:                               ;   in Loop: Header=BB137_71 Depth=2
	v_dual_mov_b32 v155, 0 :: v_dual_mov_b32 v156, 0
	s_mov_b32 s6, exec_lo
	v_cmpx_gt_i32_e64 s5, v132
	s_cbranch_execz .LBB137_86
; %bb.85:                               ;   in Loop: Header=BB137_71 Depth=2
	flat_load_b32 v156, v[4:5]
.LBB137_86:                             ;   in Loop: Header=BB137_71 Depth=2
	s_wait_xcnt 0x0
	s_or_b32 exec_lo, exec_lo, s6
	s_delay_alu instid0(SALU_CYCLE_1)
	s_mov_b32 s6, exec_lo
	v_cmpx_gt_i32_e64 s5, v133
	s_cbranch_execz .LBB137_88
; %bb.87:                               ;   in Loop: Header=BB137_71 Depth=2
	v_add_nc_u64_e32 v[6:7], v[66:67], v[28:29]
	flat_load_b32 v155, v[6:7]
.LBB137_88:                             ;   in Loop: Header=BB137_71 Depth=2
	s_wait_xcnt 0x0
	s_or_b32 exec_lo, exec_lo, s6
	v_dual_mov_b32 v157, 0 :: v_dual_mov_b32 v158, 0
	s_mov_b32 s6, exec_lo
	v_cmpx_gt_i32_e64 s5, v134
	s_cbranch_execz .LBB137_90
; %bb.89:                               ;   in Loop: Header=BB137_71 Depth=2
	v_add_nc_u64_e32 v[6:7], v[70:71], v[28:29]
	flat_load_b32 v158, v[6:7]
.LBB137_90:                             ;   in Loop: Header=BB137_71 Depth=2
	s_wait_xcnt 0x0
	s_or_b32 exec_lo, exec_lo, s6
	s_delay_alu instid0(SALU_CYCLE_1)
	s_mov_b32 s6, exec_lo
	v_cmpx_gt_i32_e64 s5, v135
	s_cbranch_execz .LBB137_92
; %bb.91:                               ;   in Loop: Header=BB137_71 Depth=2
	v_add_nc_u64_e32 v[6:7], v[72:73], v[28:29]
	flat_load_b32 v157, v[6:7]
.LBB137_92:                             ;   in Loop: Header=BB137_71 Depth=2
	s_wait_xcnt 0x0
	s_or_b32 exec_lo, exec_lo, s6
	s_mov_b32 s6, 0
.LBB137_93:                             ;   in Loop: Header=BB137_71 Depth=2
	s_delay_alu instid0(SALU_CYCLE_1)
	s_and_b32 vcc_lo, exec_lo, s6
	s_cbranch_vccz .LBB137_95
; %bb.94:                               ;   in Loop: Header=BB137_71 Depth=2
	v_add_nc_u64_e32 v[6:7], v[66:67], v[28:29]
	v_add_nc_u64_e32 v[8:9], v[62:63], v[28:29]
	v_add_nc_u64_e32 v[10:11], v[64:65], v[26:27]
	s_wait_loadcnt_dscnt 0x0
	flat_load_b32 v156, v[4:5]
	flat_load_b32 v155, v[6:7]
	;; [unrolled: 1-line block ×4, first 2 shown]
.LBB137_95:                             ;   in Loop: Header=BB137_71 Depth=2
	s_wait_xcnt 0x1
	ds_load_b32 v8, v114
	ds_load_b128 v[4:7], v124 offset:64
	v_cmp_ne_u32_e32 vcc_lo, 1, v12
	s_mov_b32 s6, -1
                                        ; implicit-def: $vgpr160
                                        ; implicit-def: $vgpr162
                                        ; implicit-def: $vgpr159
                                        ; implicit-def: $vgpr161
	s_and_b32 vcc_lo, exec_lo, vcc_lo
	s_wait_loadcnt_dscnt 0x1
	s_wait_xcnt 0x0
	v_dual_mul_f32 v9, v156, v8 :: v_dual_mul_f32 v10, v155, v8
	v_dual_mul_f32 v11, v158, v8 :: v_dual_mul_f32 v8, v157, v8
	ds_store_2addr_b32 v125, v9, v10 offset1:67
	ds_store_2addr_b32 v125, v11, v8 offset0:134 offset1:201
	s_wait_dscnt 0x0
	s_barrier_signal -1
	s_barrier_wait -1
	ds_load_2addr_b32 v[106:107], v143 offset1:1
	ds_load_2addr_b32 v[104:105], v143 offset0:2 offset1:3
	v_add_nc_u64_e32 v[8:9], v[80:81], v[28:29]
	s_wait_dscnt 0x0
	s_barrier_signal -1
	s_barrier_wait -1
	s_cbranch_vccnz .LBB137_105
; %bb.96:                               ;   in Loop: Header=BB137_71 Depth=2
	v_dual_mov_b32 v159, 0 :: v_dual_mov_b32 v161, 0
	s_mov_b32 s6, exec_lo
	v_cmpx_gt_i32_e64 s5, v136
	s_cbranch_execz .LBB137_98
; %bb.97:                               ;   in Loop: Header=BB137_71 Depth=2
	flat_load_b32 v161, v[8:9]
.LBB137_98:                             ;   in Loop: Header=BB137_71 Depth=2
	s_wait_xcnt 0x0
	s_or_b32 exec_lo, exec_lo, s6
	s_delay_alu instid0(SALU_CYCLE_1)
	s_mov_b32 s6, exec_lo
	v_cmpx_gt_i32_e64 s5, v137
	s_cbranch_execz .LBB137_100
; %bb.99:                               ;   in Loop: Header=BB137_71 Depth=2
	v_add_nc_u64_e32 v[10:11], v[78:79], v[28:29]
	flat_load_b32 v159, v[10:11]
.LBB137_100:                            ;   in Loop: Header=BB137_71 Depth=2
	s_wait_xcnt 0x0
	s_or_b32 exec_lo, exec_lo, s6
	v_dual_mov_b32 v160, 0 :: v_dual_mov_b32 v162, 0
	s_mov_b32 s6, exec_lo
	v_cmpx_gt_i32_e64 s5, v138
	s_cbranch_execz .LBB137_102
; %bb.101:                              ;   in Loop: Header=BB137_71 Depth=2
	v_add_nc_u64_e32 v[10:11], v[82:83], v[28:29]
	flat_load_b32 v162, v[10:11]
.LBB137_102:                            ;   in Loop: Header=BB137_71 Depth=2
	s_wait_xcnt 0x0
	s_or_b32 exec_lo, exec_lo, s6
	s_delay_alu instid0(SALU_CYCLE_1)
	s_mov_b32 s6, exec_lo
	v_cmpx_gt_i32_e64 s5, v139
	s_cbranch_execz .LBB137_104
; %bb.103:                              ;   in Loop: Header=BB137_71 Depth=2
	v_add_nc_u64_e32 v[10:11], v[84:85], v[28:29]
	flat_load_b32 v160, v[10:11]
.LBB137_104:                            ;   in Loop: Header=BB137_71 Depth=2
	s_wait_xcnt 0x0
	s_or_b32 exec_lo, exec_lo, s6
	s_mov_b32 s6, 0
.LBB137_105:                            ;   in Loop: Header=BB137_71 Depth=2
	s_delay_alu instid0(SALU_CYCLE_1)
	s_and_b32 vcc_lo, exec_lo, s6
	s_cbranch_vccz .LBB137_107
; %bb.106:                              ;   in Loop: Header=BB137_71 Depth=2
	v_add_nc_u64_e32 v[10:11], v[78:79], v[28:29]
	v_add_nc_u64_e32 v[14:15], v[74:75], v[28:29]
	;; [unrolled: 1-line block ×3, first 2 shown]
	s_wait_loadcnt_dscnt 0x0
	flat_load_b32 v161, v[8:9]
	flat_load_b32 v159, v[10:11]
	;; [unrolled: 1-line block ×4, first 2 shown]
.LBB137_107:                            ;   in Loop: Header=BB137_71 Depth=2
	ds_load_b32 v13, v114
	s_wait_xcnt 0x2
	ds_load_b128 v[8:11], v124 offset:128
	v_cmp_ne_u32_e32 vcc_lo, 1, v12
	s_mov_b32 s6, -1
                                        ; implicit-def: $vgpr165
                                        ; implicit-def: $vgpr166
                                        ; implicit-def: $vgpr163
                                        ; implicit-def: $vgpr164
	s_and_b32 vcc_lo, exec_lo, vcc_lo
	s_wait_loadcnt_dscnt 0x1
	s_wait_xcnt 0x1
	v_dual_mul_f32 v14, v161, v13 :: v_dual_mul_f32 v15, v159, v13
	s_wait_xcnt 0x0
	v_dual_mul_f32 v108, v162, v13 :: v_dual_mul_f32 v13, v160, v13
	ds_store_2addr_b32 v125, v14, v15 offset1:67
	ds_store_2addr_b32 v125, v108, v13 offset0:134 offset1:201
	s_wait_dscnt 0x0
	s_barrier_signal -1
	s_barrier_wait -1
	ds_load_2addr_b32 v[110:111], v143 offset1:1
	ds_load_2addr_b32 v[108:109], v143 offset0:2 offset1:3
	v_add_nc_u64_e32 v[12:13], v[92:93], v[26:27]
	s_wait_dscnt 0x0
	s_barrier_signal -1
	s_barrier_wait -1
	s_cbranch_vccnz .LBB137_117
; %bb.108:                              ;   in Loop: Header=BB137_71 Depth=2
	v_dual_mov_b32 v163, 0 :: v_dual_mov_b32 v164, 0
	s_mov_b32 s6, exec_lo
	v_cmpx_gt_i32_e64 s5, v146
	s_cbranch_execz .LBB137_110
; %bb.109:                              ;   in Loop: Header=BB137_71 Depth=2
	flat_load_b32 v164, v[12:13]
.LBB137_110:                            ;   in Loop: Header=BB137_71 Depth=2
	s_wait_xcnt 0x0
	s_or_b32 exec_lo, exec_lo, s6
	s_delay_alu instid0(SALU_CYCLE_1)
	s_mov_b32 s6, exec_lo
	v_cmpx_gt_i32_e64 s5, v147
	s_cbranch_execz .LBB137_112
; %bb.111:                              ;   in Loop: Header=BB137_71 Depth=2
	v_add_nc_u64_e32 v[14:15], v[90:91], v[26:27]
	flat_load_b32 v163, v[14:15]
.LBB137_112:                            ;   in Loop: Header=BB137_71 Depth=2
	s_wait_xcnt 0x0
	s_or_b32 exec_lo, exec_lo, s6
	v_dual_mov_b32 v165, 0 :: v_dual_mov_b32 v166, 0
	s_mov_b32 s6, exec_lo
	v_cmpx_gt_i32_e64 s5, v148
	s_cbranch_execz .LBB137_114
; %bb.113:                              ;   in Loop: Header=BB137_71 Depth=2
	v_add_nc_u64_e32 v[14:15], v[94:95], v[26:27]
	flat_load_b32 v166, v[14:15]
.LBB137_114:                            ;   in Loop: Header=BB137_71 Depth=2
	s_wait_xcnt 0x0
	s_or_b32 exec_lo, exec_lo, s6
	s_delay_alu instid0(SALU_CYCLE_1)
	s_mov_b32 s6, exec_lo
	v_cmpx_gt_i32_e64 s5, v149
	s_cbranch_execz .LBB137_116
; %bb.115:                              ;   in Loop: Header=BB137_71 Depth=2
	v_add_nc_u64_e32 v[14:15], v[96:97], v[26:27]
	flat_load_b32 v165, v[14:15]
.LBB137_116:                            ;   in Loop: Header=BB137_71 Depth=2
	s_wait_xcnt 0x0
	s_or_b32 exec_lo, exec_lo, s6
	s_mov_b32 s6, 0
.LBB137_117:                            ;   in Loop: Header=BB137_71 Depth=2
	s_delay_alu instid0(SALU_CYCLE_1)
	s_and_b32 vcc_lo, exec_lo, s6
	s_cbranch_vccz .LBB137_119
; %bb.118:                              ;   in Loop: Header=BB137_71 Depth=2
	v_add_nc_u64_e32 v[14:15], v[90:91], v[26:27]
	s_wait_loadcnt_dscnt 0x0
	v_add_nc_u64_e32 v[166:167], v[86:87], v[26:27]
	v_add_nc_u64_e32 v[168:169], v[88:89], v[26:27]
	flat_load_b32 v164, v[12:13]
	flat_load_b32 v163, v[14:15]
	;; [unrolled: 1-line block ×4, first 2 shown]
.LBB137_119:                            ;   in Loop: Header=BB137_71 Depth=2
	s_wait_xcnt 0x1
	ds_load_b32 v167, v114
	ds_load_b128 v[12:15], v124 offset:192
	v_cmp_gt_i32_e32 vcc_lo, s5, v112
	s_or_b32 s5, s99, vcc_lo
	s_delay_alu instid0(SALU_CYCLE_1)
	s_and_b32 s6, s19, s5
	s_wait_loadcnt_dscnt 0x1
	s_wait_xcnt 0x0
	v_dual_mul_f32 v168, v164, v167 :: v_dual_mul_f32 v169, v163, v167
	v_dual_mul_f32 v170, v166, v167 :: v_dual_mul_f32 v167, v165, v167
	ds_store_2addr_b32 v125, v168, v169 offset1:67
	ds_store_2addr_b32 v125, v170, v167 offset0:134 offset1:201
	s_wait_dscnt 0x0
	s_barrier_signal -1
	s_barrier_wait -1
	ds_load_2addr_b32 v[168:169], v143 offset1:1
	ds_load_2addr_b32 v[170:171], v143 offset0:2 offset1:3
	v_add_f32_e32 v110, 0, v110
	s_wait_dscnt 0x0
	s_barrier_signal -1
	s_barrier_wait -1
	v_dual_add_f32 v167, 0, v168 :: v_dual_add_f32 v106, 0, v106
	v_dual_add_f32 v110, v110, v111 :: v_dual_add_f32 v102, 0, v102
	s_delay_alu instid0(VALU_DEP_2) | instskip(NEXT) | instid1(VALU_DEP_2)
	v_add_f32_e32 v106, v106, v107
	v_dual_add_f32 v102, v102, v103 :: v_dual_add_f32 v103, v167, v169
	s_delay_alu instid0(VALU_DEP_3) | instskip(NEXT) | instid1(VALU_DEP_3)
	v_add_f32_e32 v107, v110, v108
	v_add_f32_e32 v104, v106, v104
	s_delay_alu instid0(VALU_DEP_3) | instskip(NEXT) | instid1(VALU_DEP_3)
	v_dual_add_f32 v100, v102, v100 :: v_dual_add_f32 v102, v103, v170
	v_add_f32_e32 v103, v107, v109
	s_delay_alu instid0(VALU_DEP_3) | instskip(NEXT) | instid1(VALU_DEP_3)
	v_add_f32_e32 v104, v104, v105
	v_dual_add_f32 v100, v100, v101 :: v_dual_add_f32 v101, v102, v171
	ds_store_2addr_b32 v126, v100, v104 offset1:16
	ds_store_2addr_b32 v126, v103, v101 offset0:32 offset1:48
	s_wait_dscnt 0x0
	s_barrier_signal -1
	s_barrier_wait -1
	s_and_saveexec_b32 s5, s6
	s_cbranch_execz .LBB137_121
; %bb.120:                              ;   in Loop: Header=BB137_71 Depth=2
	ds_load_2addr_b32 v[100:101], v127 offset1:1
	ds_load_2addr_b32 v[102:103], v127 offset0:2 offset1:3
	ds_load_2addr_b32 v[104:105], v127 offset0:4 offset1:5
	;; [unrolled: 1-line block ×3, first 2 shown]
	s_wait_dscnt 0x3
	v_add_f32_e32 v100, v100, v101
	s_wait_dscnt 0x2
	s_delay_alu instid0(VALU_DEP_1) | instskip(NEXT) | instid1(VALU_DEP_1)
	v_add_f32_e32 v100, v100, v102
	v_add_f32_e32 v102, v100, v103
	ds_load_2addr_b32 v[100:101], v127 offset0:8 offset1:9
	s_wait_dscnt 0x2
	v_add_f32_e32 v102, v102, v104
	s_delay_alu instid0(VALU_DEP_1) | instskip(SKIP_3) | instid1(VALU_DEP_1)
	v_add_f32_e32 v104, v102, v105
	ds_load_2addr_b32 v[102:103], v127 offset0:10 offset1:11
	s_wait_dscnt 0x2
	v_add_f32_e32 v104, v104, v106
	v_add_f32_e32 v106, v104, v107
	ds_load_2addr_b32 v[104:105], v127 offset0:12 offset1:13
	ds_load_b32 v107, v127 offset:56
	s_wait_dscnt 0x3
	v_add_f32_e32 v100, v106, v100
	s_delay_alu instid0(VALU_DEP_1) | instskip(SKIP_3) | instid1(VALU_DEP_1)
	v_add_f32_e32 v100, v100, v101
	ds_load_b32 v101, v128
	s_wait_dscnt 0x3
	v_add_f32_e32 v100, v100, v102
	v_add_f32_e32 v100, v100, v103
	s_wait_dscnt 0x2
	s_delay_alu instid0(VALU_DEP_1) | instskip(NEXT) | instid1(VALU_DEP_1)
	v_add_f32_e32 v100, v100, v104
	v_add_f32_e32 v100, v100, v105
	s_wait_dscnt 0x1
	s_delay_alu instid0(VALU_DEP_1) | instskip(SKIP_1) | instid1(VALU_DEP_1)
	v_add_f32_e32 v100, v100, v107
	s_wait_dscnt 0x0
	v_add_f32_e32 v100, v100, v101
	global_store_b32 v24, v100, s[0:1] scale_offset
.LBB137_121:                            ;   in Loop: Header=BB137_71 Depth=2
	s_wait_xcnt 0x0
	s_or_b32 exec_lo, exec_lo, s5
	v_fmac_f32_e32 v17, v152, v0
	v_add_nc_u64_e32 v[52:53], s[68:69], v[52:53]
	v_add_nc_u64_e32 v[54:55], s[68:69], v[54:55]
	;; [unrolled: 1-line block ×4, first 2 shown]
	v_dual_fmac_f32 v17, v151, v1 :: v_dual_add_nc_u32 v24, 64, v24
	v_add_nc_u64_e32 v[58:59], s[68:69], v[58:59]
	v_add_nc_u64_e32 v[60:61], s[68:69], v[60:61]
	;; [unrolled: 1-line block ×3, first 2 shown]
	s_delay_alu instid0(VALU_DEP_4)
	v_fmac_f32_e32 v17, v154, v2
	v_add_nc_u64_e32 v[64:65], s[68:69], v[64:65]
	v_add_nc_u64_e32 v[66:67], s[68:69], v[66:67]
	v_add_nc_u64_e32 v[68:69], s[68:69], v[68:69]
	v_add_nc_u64_e32 v[70:71], s[68:69], v[70:71]
	v_fmac_f32_e32 v17, v153, v3
	v_add_nc_u64_e32 v[72:73], s[68:69], v[72:73]
	v_add_nc_u64_e32 v[74:75], s[68:69], v[74:75]
	v_add_nc_u64_e32 v[76:77], s[68:69], v[76:77]
	v_add_nc_u64_e32 v[78:79], s[68:69], v[78:79]
	;; [unrolled: 5-line block ×4, first 2 shown]
	v_fmac_f32_e32 v17, v158, v6
	v_add_nc_u64_e32 v[96:97], s[68:69], v[96:97]
	s_add_co_i32 s5, s4, 1
	s_add_co_i32 s4, s4, 2
	;; [unrolled: 1-line block ×3, first 2 shown]
	v_fmac_f32_e32 v17, v157, v7
	s_cmp_ge_u32 s4, s40
	s_wait_storecnt 0x0
	s_barrier_signal -1
	s_barrier_wait -1
	v_fmac_f32_e32 v17, v161, v8
	s_delay_alu instid0(VALU_DEP_1) | instskip(NEXT) | instid1(VALU_DEP_1)
	v_fmac_f32_e32 v17, v159, v9
	v_fmac_f32_e32 v17, v162, v10
	s_delay_alu instid0(VALU_DEP_1) | instskip(NEXT) | instid1(VALU_DEP_1)
	v_fmac_f32_e32 v17, v160, v11
	;; [unrolled: 3-line block ×3, first 2 shown]
	v_fmac_f32_e32 v17, v166, v14
	s_delay_alu instid0(VALU_DEP_1)
	v_fmac_f32_e32 v17, v165, v15
	s_cbranch_scc1 .LBB137_123
; %bb.122:                              ;   in Loop: Header=BB137_71 Depth=2
	s_mov_b32 s4, s5
	s_delay_alu instid0(SALU_CYCLE_1)
	s_cmp_eq_u32 s43, s4
	s_cselect_b32 s5, s100, 0
	s_and_saveexec_b32 s6, s2
	s_cbranch_execnz .LBB137_68
	s_branch .LBB137_71
.LBB137_123:                            ;   in Loop: Header=BB137_4 Depth=1
	ds_store_b32 v140, v17
	s_wait_dscnt 0x0
	s_barrier_signal -1
	s_barrier_wait -1
	s_and_saveexec_b32 s4, s104
	s_cbranch_execz .LBB137_2
; %bb.124:                              ;   in Loop: Header=BB137_4 Depth=1
	ds_load_2addr_b32 v[0:1], v113 offset1:67
	ds_load_2addr_b32 v[2:3], v113 offset0:134 offset1:201
	s_wait_dscnt 0x1
	v_add_f32_e32 v0, v0, v1
	s_wait_dscnt 0x0
	s_delay_alu instid0(VALU_DEP_1) | instskip(NEXT) | instid1(VALU_DEP_1)
	v_add_f32_e32 v0, v0, v2
	v_add_f32_e32 v2, v0, v3
	v_lshl_add_u64 v[0:1], v[18:19], 2, s[0:1]
	global_store_b32 v[0:1], v2, off
	s_branch .LBB137_2
.LBB137_125:                            ;   in Loop: Header=BB137_4 Depth=1
	ds_load_b32 v2, v144
	s_wait_dscnt 0x0
	ds_store_b32 v118, v2
	s_or_b32 exec_lo, exec_lo, s0
	s_and_saveexec_b32 s0, s9
	s_cbranch_execz .LBB137_26
.LBB137_126:                            ;   in Loop: Header=BB137_4 Depth=1
	ds_load_b32 v2, v145
	s_wait_dscnt 0x0
	ds_store_b32 v118, v2 offset:4
	s_or_b32 exec_lo, exec_lo, s0
	s_and_saveexec_b32 s0, s10
	s_cbranch_execz .LBB137_27
.LBB137_127:                            ;   in Loop: Header=BB137_4 Depth=1
	ds_load_b32 v2, v145 offset:132
	s_wait_dscnt 0x0
	ds_store_b32 v118, v2 offset:8
	s_or_b32 exec_lo, exec_lo, s0
	s_and_saveexec_b32 s0, s11
	s_cbranch_execnz .LBB137_28
	s_branch .LBB137_29
.LBB137_128:                            ;   in Loop: Header=BB137_4 Depth=1
	ds_load_b32 v2, v144
	s_wait_dscnt 0x0
	ds_store_b32 v118, v2
	s_or_b32 exec_lo, exec_lo, s0
	s_and_saveexec_b32 s0, s9
	s_cbranch_execz .LBB137_45
.LBB137_129:                            ;   in Loop: Header=BB137_4 Depth=1
	ds_load_b32 v2, v145
	s_wait_dscnt 0x0
	ds_store_b32 v118, v2 offset:4
	s_or_b32 exec_lo, exec_lo, s0
	s_and_saveexec_b32 s0, s10
	s_cbranch_execz .LBB137_46
.LBB137_130:                            ;   in Loop: Header=BB137_4 Depth=1
	ds_load_b32 v2, v145 offset:132
	s_wait_dscnt 0x0
	ds_store_b32 v118, v2 offset:8
	s_or_b32 exec_lo, exec_lo, s0
	s_and_saveexec_b32 s0, s11
	s_cbranch_execnz .LBB137_47
	s_branch .LBB137_48
.LBB137_131:
	s_sendmsg sendmsg(MSG_DEALLOC_VGPRS)
	s_endpgm
	.section	.rodata,"a",@progbits
	.p2align	6, 0x0
	.amdhsa_kernel _ZL26rocblas_hemvn_kernel_upperILb0ELi64ELi4ELi33ELi32ELi16EiPKfPKS1_PfEviT6_lT7_lT5_lS6_lS7_lS5_lT8_i
		.amdhsa_group_segment_fixed_size 4800
		.amdhsa_private_segment_fixed_size 0
		.amdhsa_kernarg_size 376
		.amdhsa_user_sgpr_count 2
		.amdhsa_user_sgpr_dispatch_ptr 0
		.amdhsa_user_sgpr_queue_ptr 0
		.amdhsa_user_sgpr_kernarg_segment_ptr 1
		.amdhsa_user_sgpr_dispatch_id 0
		.amdhsa_user_sgpr_kernarg_preload_length 0
		.amdhsa_user_sgpr_kernarg_preload_offset 0
		.amdhsa_user_sgpr_private_segment_size 0
		.amdhsa_wavefront_size32 1
		.amdhsa_uses_dynamic_stack 0
		.amdhsa_enable_private_segment 0
		.amdhsa_system_sgpr_workgroup_id_x 1
		.amdhsa_system_sgpr_workgroup_id_y 0
		.amdhsa_system_sgpr_workgroup_id_z 1
		.amdhsa_system_sgpr_workgroup_info 0
		.amdhsa_system_vgpr_workitem_id 1
		.amdhsa_next_free_vgpr 173
		.amdhsa_next_free_sgpr 105
		.amdhsa_named_barrier_count 0
		.amdhsa_reserve_vcc 1
		.amdhsa_float_round_mode_32 0
		.amdhsa_float_round_mode_16_64 0
		.amdhsa_float_denorm_mode_32 3
		.amdhsa_float_denorm_mode_16_64 3
		.amdhsa_fp16_overflow 0
		.amdhsa_memory_ordered 1
		.amdhsa_forward_progress 1
		.amdhsa_inst_pref_size 55
		.amdhsa_round_robin_scheduling 0
		.amdhsa_exception_fp_ieee_invalid_op 0
		.amdhsa_exception_fp_denorm_src 0
		.amdhsa_exception_fp_ieee_div_zero 0
		.amdhsa_exception_fp_ieee_overflow 0
		.amdhsa_exception_fp_ieee_underflow 0
		.amdhsa_exception_fp_ieee_inexact 0
		.amdhsa_exception_int_div_zero 0
	.end_amdhsa_kernel
	.section	.text._ZL26rocblas_hemvn_kernel_upperILb0ELi64ELi4ELi33ELi32ELi16EiPKfPKS1_PfEviT6_lT7_lT5_lS6_lS7_lS5_lT8_i,"axG",@progbits,_ZL26rocblas_hemvn_kernel_upperILb0ELi64ELi4ELi33ELi32ELi16EiPKfPKS1_PfEviT6_lT7_lT5_lS6_lS7_lS5_lT8_i,comdat
.Lfunc_end137:
	.size	_ZL26rocblas_hemvn_kernel_upperILb0ELi64ELi4ELi33ELi32ELi16EiPKfPKS1_PfEviT6_lT7_lT5_lS6_lS7_lS5_lT8_i, .Lfunc_end137-_ZL26rocblas_hemvn_kernel_upperILb0ELi64ELi4ELi33ELi32ELi16EiPKfPKS1_PfEviT6_lT7_lT5_lS6_lS7_lS5_lT8_i
                                        ; -- End function
	.set _ZL26rocblas_hemvn_kernel_upperILb0ELi64ELi4ELi33ELi32ELi16EiPKfPKS1_PfEviT6_lT7_lT5_lS6_lS7_lS5_lT8_i.num_vgpr, 173
	.set _ZL26rocblas_hemvn_kernel_upperILb0ELi64ELi4ELi33ELi32ELi16EiPKfPKS1_PfEviT6_lT7_lT5_lS6_lS7_lS5_lT8_i.num_agpr, 0
	.set _ZL26rocblas_hemvn_kernel_upperILb0ELi64ELi4ELi33ELi32ELi16EiPKfPKS1_PfEviT6_lT7_lT5_lS6_lS7_lS5_lT8_i.numbered_sgpr, 105
	.set _ZL26rocblas_hemvn_kernel_upperILb0ELi64ELi4ELi33ELi32ELi16EiPKfPKS1_PfEviT6_lT7_lT5_lS6_lS7_lS5_lT8_i.num_named_barrier, 0
	.set _ZL26rocblas_hemvn_kernel_upperILb0ELi64ELi4ELi33ELi32ELi16EiPKfPKS1_PfEviT6_lT7_lT5_lS6_lS7_lS5_lT8_i.private_seg_size, 0
	.set _ZL26rocblas_hemvn_kernel_upperILb0ELi64ELi4ELi33ELi32ELi16EiPKfPKS1_PfEviT6_lT7_lT5_lS6_lS7_lS5_lT8_i.uses_vcc, 1
	.set _ZL26rocblas_hemvn_kernel_upperILb0ELi64ELi4ELi33ELi32ELi16EiPKfPKS1_PfEviT6_lT7_lT5_lS6_lS7_lS5_lT8_i.uses_flat_scratch, 1
	.set _ZL26rocblas_hemvn_kernel_upperILb0ELi64ELi4ELi33ELi32ELi16EiPKfPKS1_PfEviT6_lT7_lT5_lS6_lS7_lS5_lT8_i.has_dyn_sized_stack, 0
	.set _ZL26rocblas_hemvn_kernel_upperILb0ELi64ELi4ELi33ELi32ELi16EiPKfPKS1_PfEviT6_lT7_lT5_lS6_lS7_lS5_lT8_i.has_recursion, 0
	.set _ZL26rocblas_hemvn_kernel_upperILb0ELi64ELi4ELi33ELi32ELi16EiPKfPKS1_PfEviT6_lT7_lT5_lS6_lS7_lS5_lT8_i.has_indirect_call, 0
	.section	.AMDGPU.csdata,"",@progbits
; Kernel info:
; codeLenInByte = 6940
; TotalNumSgprs: 107
; NumVgprs: 173
; ScratchSize: 0
; MemoryBound: 0
; FloatMode: 240
; IeeeMode: 1
; LDSByteSize: 4800 bytes/workgroup (compile time only)
; SGPRBlocks: 0
; VGPRBlocks: 10
; NumSGPRsForWavesPerEU: 107
; NumVGPRsForWavesPerEU: 173
; NamedBarCnt: 0
; Occupancy: 5
; WaveLimiterHint : 1
; COMPUTE_PGM_RSRC2:SCRATCH_EN: 0
; COMPUTE_PGM_RSRC2:USER_SGPR: 2
; COMPUTE_PGM_RSRC2:TRAP_HANDLER: 0
; COMPUTE_PGM_RSRC2:TGID_X_EN: 1
; COMPUTE_PGM_RSRC2:TGID_Y_EN: 0
; COMPUTE_PGM_RSRC2:TGID_Z_EN: 1
; COMPUTE_PGM_RSRC2:TIDIG_COMP_CNT: 1
	.section	.text._ZL36rocblas_hemvn_kernel_upper_block_sumILi64EiPKfPKPffEviT1_lS5_lT2_lT0_lPT3_i,"axG",@progbits,_ZL36rocblas_hemvn_kernel_upper_block_sumILi64EiPKfPKPffEviT1_lS5_lT2_lT0_lPT3_i,comdat
	.globl	_ZL36rocblas_hemvn_kernel_upper_block_sumILi64EiPKfPKPffEviT1_lS5_lT2_lT0_lPT3_i ; -- Begin function _ZL36rocblas_hemvn_kernel_upper_block_sumILi64EiPKfPKPffEviT1_lS5_lT2_lT0_lPT3_i
	.p2align	8
	.type	_ZL36rocblas_hemvn_kernel_upper_block_sumILi64EiPKfPKPffEviT1_lS5_lT2_lT0_lPT3_i,@function
_ZL36rocblas_hemvn_kernel_upper_block_sumILi64EiPKfPKPffEviT1_lS5_lT2_lT0_lPT3_i: ; @_ZL36rocblas_hemvn_kernel_upper_block_sumILi64EiPKfPKPffEviT1_lS5_lT2_lT0_lPT3_i
; %bb.0:
	s_load_b32 s22, s[0:1], 0x50
	s_bfe_u32 s2, ttmp6, 0x40014
	s_lshr_b32 s3, ttmp7, 16
	s_add_co_i32 s2, s2, 1
	s_bfe_u32 s5, ttmp6, 0x40008
	s_mul_i32 s2, s3, s2
	s_getreg_b32 s4, hwreg(HW_REG_IB_STS2, 6, 4)
	s_add_co_i32 s5, s5, s2
	s_cmp_eq_u32 s4, 0
	s_cselect_b32 s2, s3, s5
	s_mov_b32 s3, 0
	s_wait_kmcnt 0x0
	s_cmp_ge_u32 s2, s22
	s_cbranch_scc1 .LBB138_25
; %bb.1:
	s_clause 0x2
	s_load_b32 s16, s[0:1], 0x38
	s_load_b64 s[20:21], s[0:1], 0x48
	s_load_b32 s18, s[0:1], 0x0
	s_bfe_u32 s5, ttmp6, 0x4000c
	s_and_b32 s6, ttmp6, 15
	s_add_co_i32 s5, s5, 1
	v_mov_b32_e32 v10, 0
	s_mul_i32 s5, ttmp9, s5
	s_delay_alu instid0(SALU_CYCLE_1)
	s_add_co_i32 s6, s6, s5
	s_cmp_eq_u32 s4, 0
	s_cselect_b32 s24, ttmp9, s6
	s_clause 0x1
	s_load_b128 s[12:15], s[0:1], 0x28
	s_load_b256 s[4:11], s[0:1], 0x8
	v_lshl_or_b32 v2, s24, 6, v0
	s_delay_alu instid0(VALU_DEP_1)
	v_ashrrev_i32_e32 v3, 31, v2
	s_wait_kmcnt 0x0
	v_mul_lo_u32 v0, s16, v2
	s_add_nc_u64 s[16:17], s[0:1], 0x58
	v_cmp_gt_i32_e64 s0, s18, v2
	s_ashr_i32 s19, s18, 31
	v_lshl_add_u64 v[2:3], v[2:3], 2, s[20:21]
	s_cmp_gt_i32 s24, -1
	s_cselect_b32 s23, -1, 0
	s_add_co_i32 s24, s24, 1
	s_lshl_b64 s[18:19], s[18:19], 2
	v_ashrrev_i32_e32 v1, 31, v0
	s_lshl_b64 s[14:15], s[14:15], 2
	s_branch .LBB138_4
.LBB138_2:                              ;   in Loop: Header=BB138_4 Depth=1
	s_wait_xcnt 0x0
	s_or_b32 exec_lo, exec_lo, s25
.LBB138_3:                              ;   in Loop: Header=BB138_4 Depth=1
	s_add_co_i32 s2, s2, 0x10000
	s_delay_alu instid0(SALU_CYCLE_1)
	s_cmp_lt_u32 s2, s22
	s_cbranch_scc0 .LBB138_25
.LBB138_4:                              ; =>This Loop Header: Depth=1
                                        ;     Child Loop BB138_16 Depth 2
	s_wait_xcnt 0x1
	s_mul_u64 s[20:21], s[6:7], s[2:3]
	s_wait_xcnt 0x0
	s_mul_u64 s[26:27], s[10:11], s[2:3]
	s_lshl_b64 s[20:21], s[20:21], 2
	s_lshl_b64 s[26:27], s[26:27], 2
	s_add_nc_u64 s[20:21], s[4:5], s[20:21]
	s_add_nc_u64 s[26:27], s[8:9], s[26:27]
	s_clause 0x1
	global_load_b32 v4, v10, s[20:21]
	global_load_b32 v5, v10, s[26:27]
	s_wait_loadcnt 0x1
	v_cmp_eq_f32_e32 vcc_lo, 0, v4
	s_wait_loadcnt 0x0
	v_cmp_eq_f32_e64 s1, 1.0, v5
	s_and_b32 s1, vcc_lo, s1
	s_delay_alu instid0(SALU_CYCLE_1)
	s_and_b32 vcc_lo, exec_lo, s1
	s_cbranch_vccnz .LBB138_3
; %bb.5:                                ;   in Loop: Header=BB138_4 Depth=1
	s_wait_xcnt 0x1
	s_lshl_b64 s[20:21], s[2:3], 3
	v_cmp_neq_f32_e32 vcc_lo, 0, v4
	s_add_nc_u64 s[20:21], s[12:13], s[20:21]
	s_load_b64 s[20:21], s[20:21], 0x0
	s_wait_kmcnt 0x0
	s_wait_xcnt 0x0
	s_add_nc_u64 s[20:21], s[20:21], s[14:15]
	s_cbranch_vccnz .LBB138_9
; %bb.6:                                ;   in Loop: Header=BB138_4 Depth=1
	s_mov_b32 s25, 0
	s_mov_b32 s1, 0
                                        ; implicit-def: $vgpr7
	s_and_saveexec_b32 s26, s0
	s_cbranch_execz .LBB138_10
; %bb.7:                                ;   in Loop: Header=BB138_4 Depth=1
	v_cmp_eq_f32_e32 vcc_lo, 0, v5
	s_cbranch_vccnz .LBB138_11
; %bb.8:                                ;   in Loop: Header=BB138_4 Depth=1
	v_lshl_add_u64 v[6:7], v[0:1], 2, s[20:21]
	flat_load_b32 v6, v[6:7]
	s_wait_loadcnt_dscnt 0x0
	s_wait_xcnt 0x0
	v_mul_f32_e32 v7, v5, v6
	s_branch .LBB138_12
.LBB138_9:                              ;   in Loop: Header=BB138_4 Depth=1
	s_mov_b32 s1, 0
                                        ; implicit-def: $vgpr7
	s_cbranch_execnz .LBB138_13
	s_branch .LBB138_22
.LBB138_10:                             ;   in Loop: Header=BB138_4 Depth=1
	s_or_b32 exec_lo, exec_lo, s26
	s_delay_alu instid0(SALU_CYCLE_1)
	s_and_b32 vcc_lo, exec_lo, s25
	s_cbranch_vccnz .LBB138_13
	s_branch .LBB138_22
.LBB138_11:                             ;   in Loop: Header=BB138_4 Depth=1
	v_mov_b32_e32 v7, 0
.LBB138_12:                             ;   in Loop: Header=BB138_4 Depth=1
	s_mov_b32 s1, exec_lo
	s_or_b32 exec_lo, exec_lo, s26
	s_delay_alu instid0(SALU_CYCLE_1)
	s_and_b32 vcc_lo, exec_lo, s25
	s_cbranch_vccz .LBB138_22
.LBB138_13:                             ;   in Loop: Header=BB138_4 Depth=1
                                        ; implicit-def: $vgpr7
	s_and_saveexec_b32 s25, s0
	s_cbranch_execz .LBB138_21
; %bb.14:                               ;   in Loop: Header=BB138_4 Depth=1
	v_mov_b32_e32 v6, 0
	s_and_not1_b32 vcc_lo, exec_lo, s23
	s_cbranch_vccnz .LBB138_17
; %bb.15:                               ;   in Loop: Header=BB138_4 Depth=1
	s_load_b32 s26, s[16:17], 0x0
	s_mov_b32 s27, s3
	v_mov_b32_e32 v6, 0
	s_wait_kmcnt 0x0
	s_mul_u64 s[26:27], s[18:19], s[26:27]
	s_delay_alu instid0(SALU_CYCLE_1) | instskip(SKIP_1) | instid1(VALU_DEP_1)
	v_mad_nc_u64_u32 v[8:9], s26, s2, v[2:3]
	s_mov_b32 s26, s24
	v_mad_u32 v9, s27, s2, v9
.LBB138_16:                             ;   Parent Loop BB138_4 Depth=1
                                        ; =>  This Inner Loop Header: Depth=2
	global_load_b32 v7, v[8:9], off
	s_wait_xcnt 0x0
	v_add_nc_u64_e32 v[8:9], s[18:19], v[8:9]
	s_add_co_i32 s26, s26, -1
	s_delay_alu instid0(SALU_CYCLE_1)
	s_cmp_eq_u32 s26, 0
	s_wait_loadcnt 0x0
	v_add_f32_e32 v6, v6, v7
	s_cbranch_scc0 .LBB138_16
.LBB138_17:                             ;   in Loop: Header=BB138_4 Depth=1
	v_cmp_eq_f32_e32 vcc_lo, 0, v5
	s_cbranch_vccz .LBB138_24
; %bb.18:                               ;   in Loop: Header=BB138_4 Depth=1
	s_delay_alu instid0(VALU_DEP_2)
	v_mul_f32_e32 v7, v4, v6
	s_cbranch_execnz .LBB138_20
.LBB138_19:                             ;   in Loop: Header=BB138_4 Depth=1
	v_lshl_add_u64 v[8:9], v[0:1], 2, s[20:21]
	flat_load_b32 v7, v[8:9]
	s_wait_loadcnt_dscnt 0x0
	v_pk_mul_f32 v[4:5], v[4:5], v[6:7]
	s_delay_alu instid0(VALU_DEP_1)
	v_add_f32_e32 v7, v4, v5
.LBB138_20:                             ;   in Loop: Header=BB138_4 Depth=1
	s_or_b32 s1, s1, exec_lo
.LBB138_21:                             ;   in Loop: Header=BB138_4 Depth=1
	s_wait_xcnt 0x0
	s_or_b32 exec_lo, exec_lo, s25
.LBB138_22:                             ;   in Loop: Header=BB138_4 Depth=1
	s_and_saveexec_b32 s25, s1
	s_cbranch_execz .LBB138_2
; %bb.23:                               ;   in Loop: Header=BB138_4 Depth=1
	v_lshl_add_u64 v[4:5], v[0:1], 2, s[20:21]
	flat_store_b32 v[4:5], v7
	s_branch .LBB138_2
.LBB138_24:                             ;   in Loop: Header=BB138_4 Depth=1
                                        ; implicit-def: $vgpr7
	s_branch .LBB138_19
.LBB138_25:
	s_endpgm
	.section	.rodata,"a",@progbits
	.p2align	6, 0x0
	.amdhsa_kernel _ZL36rocblas_hemvn_kernel_upper_block_sumILi64EiPKfPKPffEviT1_lS5_lT2_lT0_lPT3_i
		.amdhsa_group_segment_fixed_size 0
		.amdhsa_private_segment_fixed_size 0
		.amdhsa_kernarg_size 344
		.amdhsa_user_sgpr_count 2
		.amdhsa_user_sgpr_dispatch_ptr 0
		.amdhsa_user_sgpr_queue_ptr 0
		.amdhsa_user_sgpr_kernarg_segment_ptr 1
		.amdhsa_user_sgpr_dispatch_id 0
		.amdhsa_user_sgpr_kernarg_preload_length 0
		.amdhsa_user_sgpr_kernarg_preload_offset 0
		.amdhsa_user_sgpr_private_segment_size 0
		.amdhsa_wavefront_size32 1
		.amdhsa_uses_dynamic_stack 0
		.amdhsa_enable_private_segment 0
		.amdhsa_system_sgpr_workgroup_id_x 1
		.amdhsa_system_sgpr_workgroup_id_y 0
		.amdhsa_system_sgpr_workgroup_id_z 1
		.amdhsa_system_sgpr_workgroup_info 0
		.amdhsa_system_vgpr_workitem_id 0
		.amdhsa_next_free_vgpr 11
		.amdhsa_next_free_sgpr 28
		.amdhsa_named_barrier_count 0
		.amdhsa_reserve_vcc 1
		.amdhsa_float_round_mode_32 0
		.amdhsa_float_round_mode_16_64 0
		.amdhsa_float_denorm_mode_32 3
		.amdhsa_float_denorm_mode_16_64 3
		.amdhsa_fp16_overflow 0
		.amdhsa_memory_ordered 1
		.amdhsa_forward_progress 1
		.amdhsa_inst_pref_size 6
		.amdhsa_round_robin_scheduling 0
		.amdhsa_exception_fp_ieee_invalid_op 0
		.amdhsa_exception_fp_denorm_src 0
		.amdhsa_exception_fp_ieee_div_zero 0
		.amdhsa_exception_fp_ieee_overflow 0
		.amdhsa_exception_fp_ieee_underflow 0
		.amdhsa_exception_fp_ieee_inexact 0
		.amdhsa_exception_int_div_zero 0
	.end_amdhsa_kernel
	.section	.text._ZL36rocblas_hemvn_kernel_upper_block_sumILi64EiPKfPKPffEviT1_lS5_lT2_lT0_lPT3_i,"axG",@progbits,_ZL36rocblas_hemvn_kernel_upper_block_sumILi64EiPKfPKPffEviT1_lS5_lT2_lT0_lPT3_i,comdat
.Lfunc_end138:
	.size	_ZL36rocblas_hemvn_kernel_upper_block_sumILi64EiPKfPKPffEviT1_lS5_lT2_lT0_lPT3_i, .Lfunc_end138-_ZL36rocblas_hemvn_kernel_upper_block_sumILi64EiPKfPKPffEviT1_lS5_lT2_lT0_lPT3_i
                                        ; -- End function
	.set _ZL36rocblas_hemvn_kernel_upper_block_sumILi64EiPKfPKPffEviT1_lS5_lT2_lT0_lPT3_i.num_vgpr, 11
	.set _ZL36rocblas_hemvn_kernel_upper_block_sumILi64EiPKfPKPffEviT1_lS5_lT2_lT0_lPT3_i.num_agpr, 0
	.set _ZL36rocblas_hemvn_kernel_upper_block_sumILi64EiPKfPKPffEviT1_lS5_lT2_lT0_lPT3_i.numbered_sgpr, 28
	.set _ZL36rocblas_hemvn_kernel_upper_block_sumILi64EiPKfPKPffEviT1_lS5_lT2_lT0_lPT3_i.num_named_barrier, 0
	.set _ZL36rocblas_hemvn_kernel_upper_block_sumILi64EiPKfPKPffEviT1_lS5_lT2_lT0_lPT3_i.private_seg_size, 0
	.set _ZL36rocblas_hemvn_kernel_upper_block_sumILi64EiPKfPKPffEviT1_lS5_lT2_lT0_lPT3_i.uses_vcc, 1
	.set _ZL36rocblas_hemvn_kernel_upper_block_sumILi64EiPKfPKPffEviT1_lS5_lT2_lT0_lPT3_i.uses_flat_scratch, 0
	.set _ZL36rocblas_hemvn_kernel_upper_block_sumILi64EiPKfPKPffEviT1_lS5_lT2_lT0_lPT3_i.has_dyn_sized_stack, 0
	.set _ZL36rocblas_hemvn_kernel_upper_block_sumILi64EiPKfPKPffEviT1_lS5_lT2_lT0_lPT3_i.has_recursion, 0
	.set _ZL36rocblas_hemvn_kernel_upper_block_sumILi64EiPKfPKPffEviT1_lS5_lT2_lT0_lPT3_i.has_indirect_call, 0
	.section	.AMDGPU.csdata,"",@progbits
; Kernel info:
; codeLenInByte = 744
; TotalNumSgprs: 30
; NumVgprs: 11
; ScratchSize: 0
; MemoryBound: 0
; FloatMode: 240
; IeeeMode: 1
; LDSByteSize: 0 bytes/workgroup (compile time only)
; SGPRBlocks: 0
; VGPRBlocks: 0
; NumSGPRsForWavesPerEU: 30
; NumVGPRsForWavesPerEU: 11
; NamedBarCnt: 0
; Occupancy: 16
; WaveLimiterHint : 1
; COMPUTE_PGM_RSRC2:SCRATCH_EN: 0
; COMPUTE_PGM_RSRC2:USER_SGPR: 2
; COMPUTE_PGM_RSRC2:TRAP_HANDLER: 0
; COMPUTE_PGM_RSRC2:TGID_X_EN: 1
; COMPUTE_PGM_RSRC2:TGID_Y_EN: 0
; COMPUTE_PGM_RSRC2:TGID_Z_EN: 1
; COMPUTE_PGM_RSRC2:TIDIG_COMP_CNT: 0
	.section	.text._ZL26rocblas_hemvn_kernel_upperILb0ELi64ELi4ELi33ELi32ELi16ElfPKPKfPfEviT6_lT7_lT5_lS6_lS7_lS5_lT8_i,"axG",@progbits,_ZL26rocblas_hemvn_kernel_upperILb0ELi64ELi4ELi33ELi32ELi16ElfPKPKfPfEviT6_lT7_lT5_lS6_lS7_lS5_lT8_i,comdat
	.globl	_ZL26rocblas_hemvn_kernel_upperILb0ELi64ELi4ELi33ELi32ELi16ElfPKPKfPfEviT6_lT7_lT5_lS6_lS7_lS5_lT8_i ; -- Begin function _ZL26rocblas_hemvn_kernel_upperILb0ELi64ELi4ELi33ELi32ELi16ElfPKPKfPfEviT6_lT7_lT5_lS6_lS7_lS5_lT8_i
	.p2align	8
	.type	_ZL26rocblas_hemvn_kernel_upperILb0ELi64ELi4ELi33ELi32ELi16ElfPKPKfPfEviT6_lT7_lT5_lS6_lS7_lS5_lT8_i,@function
_ZL26rocblas_hemvn_kernel_upperILb0ELi64ELi4ELi33ELi32ELi16ElfPKPKfPfEviT6_lT7_lT5_lS6_lS7_lS5_lT8_i: ; @_ZL26rocblas_hemvn_kernel_upperILb0ELi64ELi4ELi33ELi32ELi16ElfPKPKfPfEviT6_lT7_lT5_lS6_lS7_lS5_lT8_i
; %bb.0:
	s_clause 0x1
	s_load_b64 s[2:3], s[0:1], 0x7c
	s_load_b32 s33, s[0:1], 0x68
	s_bfe_u32 s4, ttmp6, 0x40014
	s_lshr_b32 s5, ttmp7, 16
	s_add_co_i32 s4, s4, 1
	s_bfe_u32 s6, ttmp6, 0x40008
	s_mul_i32 s7, s5, s4
	s_getreg_b32 s4, hwreg(HW_REG_IB_STS2, 6, 4)
	s_add_co_i32 s6, s6, s7
	s_mov_b32 s19, 0
	s_wait_kmcnt 0x0
	s_lshr_b32 s7, s2, 16
	s_and_b32 s2, s2, 0xffff
	s_and_b32 s3, s3, 0xffff
	s_mul_i32 s2, s7, s2
	s_cmp_eq_u32 s4, 0
	s_mul_i32 s2, s2, s3
	s_cselect_b32 s18, s5, s6
	s_cmp_lg_u32 s2, 0x100
	s_cselect_b32 s2, -1, 0
	s_cmp_ge_u32 s18, s33
	s_cselect_b32 s3, -1, 0
	s_delay_alu instid0(SALU_CYCLE_1) | instskip(NEXT) | instid1(SALU_CYCLE_1)
	s_or_b32 s2, s2, s3
	s_and_b32 vcc_lo, exec_lo, s2
	s_cbranch_vccnz .LBB139_131
; %bb.1:
	s_clause 0x2
	s_load_b64 s[2:3], s[0:1], 0x0
	s_load_b128 s[20:23], s[0:1], 0x10
	s_load_b32 s8, s[0:1], 0x50
	s_bfe_u32 s5, ttmp6, 0x4000c
	s_and_b32 s9, ttmp6, 15
	s_add_co_i32 s5, s5, 1
	s_add_nc_u64 s[6:7], s[0:1], 0x70
	s_mul_i32 s5, ttmp9, s5
	s_clause 0x1
	s_load_b64 s[54:55], s[0:1], 0x20
	s_load_b128 s[24:27], s[0:1], 0x30
	s_add_co_i32 s9, s9, s5
	s_cmp_eq_u32 s4, 0
	s_load_b32 s28, s[6:7], 0x0
	s_cselect_b32 s30, ttmp9, s9
	s_clause 0x1
	s_load_b64 s[4:5], s[0:1], 0x60
	s_load_b64 s[34:35], s[0:1], 0x40
	v_and_b32_e32 v110, 0x3ff, v0
	v_bfe_u32 v1, v0, 10, 10
	v_dual_mov_b32 v19, 0 :: v_dual_bitop2_b32 v16, 31, v0 bitop3:0x40
	s_mov_b32 s29, s19
	v_and_b32_e32 v63, 15, v0
	s_wait_kmcnt 0x0
	s_cmp_eq_f32 s3, 0
	v_lshl_add_u32 v21, v1, 6, v110
	v_dual_mov_b32 v17, v19 :: v_dual_lshlrev_b32 v111, 2, v16
	s_cselect_b32 s66, -1, 0
	s_cmp_neq_f32 s3, 0
	s_delay_alu instid0(VALU_DEP_2)
	v_lshrrev_b32_e32 v40, 5, v21
	v_mul_u32_u24_e32 v6, 33, v16
	v_lshrrev_b32_e32 v64, 2, v21
	s_cselect_b32 s1, -1, 0
	s_cmp_neq_f32 s8, 1.0
	v_dual_add_nc_u32 v59, 24, v40 :: v_dual_lshlrev_b32 v60, 2, v40
	v_lshlrev_b32_e32 v4, 4, v40
	s_cselect_b32 s6, -1, 0
	s_lshl_b32 s60, s30, 6
	s_delay_alu instid0(SALU_CYCLE_1)
	v_dual_lshlrev_b32 v20, 2, v110 :: v_dual_add_nc_u32 v24, s60, v110
	s_ashr_i32 s3, s2, 31
	v_lshlrev_b32_e32 v18, 4, v1
	s_lshr_b32 s7, s3, 26
	v_or_b32_e32 v5, 3, v60
	v_ashrrev_i32_e32 v25, 31, v24
	s_add_co_i32 s7, s2, s7
	v_add_nc_u64_e32 v[26:27], 0x108, v[18:19]
	s_and_not1_b32 s7, s7, 63
	s_add_co_i32 s8, s28, -1
	s_or_b32 s67, s1, s6
	s_sub_co_i32 s68, s2, s7
	v_cmp_gt_u32_e64 s9, v5, v16
	v_or_b32_e32 v5, 32, v16
	v_mul_u64_e32 v[42:43], s[54:55], v[26:27]
	v_add_nc_u64_e32 v[26:27], 0x10c, v[18:19]
	v_lshl_or_b32 v113, v16, 7, v111
	s_cmp_eq_u32 s30, s8
	v_mad_nc_u64_u32 v[22:23], s54, v40, v[16:17]
	s_cselect_b32 s36, s68, 0
	v_dual_add_nc_u32 v41, 8, v40 :: v_dual_add_nc_u32 v58, 16, v40
	v_cmp_gt_i32_e64 s11, s36, v5
	v_mul_u64_e32 v[44:45], s[54:55], v[26:27]
	v_dual_lshlrev_b32 v26, 2, v1 :: v_dual_add_nc_u32 v114, v113, v4
	v_mov_b32_e32 v27, v19
	v_add_nc_u32_e32 v115, 0x11c0, v4
	v_add_nc_u64_e32 v[4:5], 0x8c, v[18:19]
	v_mad_u32 v23, s55, v40, v23
	s_cmp_lg_u32 s36, 0
	s_mul_u64 s[38:39], s[28:29], s[2:3]
	s_cselect_b32 s69, -1, 0
	s_cmp_eq_u32 s36, 0
	v_add_nc_u64_e32 v[30:31], 0x100, v[18:19]
	v_mul_u64_e32 v[4:5], s[54:55], v[4:5]
	s_cselect_b32 s1, -1, 0
	s_ashr_i32 s31, s30, 31
	s_sub_co_i32 s15, s36, 32
	s_mul_u64 s[2:3], s[2:3], s[30:31]
	v_cmp_gt_i32_e64 s12, s15, v40
	s_lshl_b64 s[2:3], s[2:3], 2
	v_cmp_gt_i32_e64 s13, s15, v41
	s_add_nc_u64 s[40:41], s[4:5], s[2:3]
	v_cmp_gt_i32_e64 s4, s36, v58
	v_cmp_gt_i32_e64 s5, s36, v59
	;; [unrolled: 1-line block ×4, first 2 shown]
	v_lshlrev_b64_e32 v[58:59], 2, v[22:23]
	v_or_b32_e32 v2, 1, v60
	v_mul_u64_e32 v[48:49], s[54:55], v[30:31]
	v_lshl_add_u32 v116, v6, 2, v60
	v_add_nc_u64_e32 v[6:7], 0x84, v[18:19]
	v_add_nc_u64_e32 v[8:9], 0xc8, v[18:19]
	v_mul_u32_u24_e32 v62, 0x84, v2
	v_add_nc_u64_e32 v[10:11], 0xcc, v[18:19]
	v_add_nc_u64_e32 v[12:13], 0xc4, v[18:19]
	;; [unrolled: 1-line block ×8, first 2 shown]
	v_mul_u64_e32 v[6:7], s[54:55], v[6:7]
	v_mul_u64_e32 v[8:9], s[54:55], v[8:9]
	v_mul_u64_e32 v[10:11], s[54:55], v[10:11]
	v_mul_u64_e32 v[12:13], s[54:55], v[12:13]
	v_sub_nc_u64_e32 v[30:31], v[4:5], v[58:59]
	v_and_b32_e32 v5, 0x7ff0, v21
	v_or_b32_e32 v3, 2, v60
	v_mul_u64_e32 v[14:15], s[54:55], v[14:15]
	v_mul_u64_e32 v[46:47], s[54:55], v[28:29]
	;; [unrolled: 1-line block ×4, first 2 shown]
	v_cmp_gt_u32_e64 s8, v3, v16
	v_add_nc_u64_e32 v[2:3], 0x88, v[18:19]
	v_mul_u64_e32 v[54:55], s[54:55], v[36:37]
	v_mul_u64_e32 v[56:57], s[54:55], v[38:39]
	v_cmp_gt_i32_e64 s2, s36, v40
	v_mul_u32_u24_e32 v112, 0x84, v40
	v_cmp_gt_i32_e64 s3, s36, v41
	v_mul_u32_u24_e32 v61, 0x210, v40
	v_mul_u64_e32 v[2:3], s[54:55], v[2:3]
	v_cmp_eq_u32_e64 s16, 1, v40
	v_mul_i32_i24_e32 v117, -12, v40
	v_sub_nc_u64_e32 v[42:43], v[42:43], v[58:59]
	v_sub_nc_u64_e32 v[44:45], v[44:45], v[58:59]
	;; [unrolled: 1-line block ×3, first 2 shown]
	v_cmp_gt_i32_e32 vcc_lo, s36, v110
	v_and_b32_e32 v0, 48, v0
	s_add_co_i32 s17, s30, 1
	s_ashr_i32 s61, s60, 31
	s_ashr_i32 s37, s36, 31
	s_or_b32 s29, s1, vcc_lo
	s_lshl_b64 s[44:45], s[54:55], 5
	v_sub_nc_u64_e32 v[32:33], v[6:7], v[58:59]
	v_sub_nc_u64_e32 v[34:35], v[8:9], v[58:59]
	;; [unrolled: 1-line block ×4, first 2 shown]
	s_lshl_b64 s[46:47], s[54:55], 6
	v_cmp_gt_u32_e64 s10, 32, v21
	s_cmp_lt_u32 s17, s28
	v_sub_nc_u64_e32 v[40:41], v[14:15], v[58:59]
	v_sub_nc_u64_e32 v[46:47], v[46:47], v[58:59]
	;; [unrolled: 1-line block ×4, first 2 shown]
	v_dual_add_nc_u32 v125, v111, v61 :: v_dual_bitop2_b32 v4, 60, v20 bitop3:0x54
	v_sub_nc_u64_e32 v[54:55], v[54:55], v[58:59]
	v_sub_nc_u64_e32 v[56:57], v[56:57], v[58:59]
	v_cmp_gt_u32_e64 s17, 64, v21
	v_dual_mov_b32 v21, v19 :: v_dual_lshlrev_b32 v0, 2, v0
	v_cmp_eq_u32_e64 s0, 0, v1
	v_sub_nc_u64_e32 v[28:29], v[2:3], v[58:59]
	v_mul_u64_e32 v[58:59], s[54:55], v[26:27]
	v_and_b32_e32 v3, 0x1ffc, v64
	v_mul_u32_u24_e32 v2, 0x10c, v63
	v_cmp_gt_u32_e64 s6, v60, v16
	v_cmp_ge_u32_e64 s7, v60, v16
	v_mad_u32_u24 v119, 0x10c, v63, v0
	v_mad_u32_u24 v118, 0x10c, v63, v3
	;; [unrolled: 1-line block ×3, first 2 shown]
	v_add_nc_u32_e32 v27, v113, v60
	v_add_nc_u32_e32 v124, 0x11c0, v60
	;; [unrolled: 1-line block ×3, first 2 shown]
	v_sub_nc_u64_e32 v[60:61], 0, v[16:17]
	v_sub_nc_u64_e32 v[62:63], 0, v[22:23]
	v_cmp_gt_i32_e64 s1, s36, v16
	v_mad_u32_u24 v121, 0x430, v1, v20
	v_mad_u32_u24 v122, 0x10c, v1, v20
	v_add_nc_u32_e32 v123, v2, v5
	v_add_nc_u32_e32 v127, 0x11c0, v20
	;; [unrolled: 1-line block ×3, first 2 shown]
	v_dual_add_nc_u32 v129, 17, v26 :: v_dual_add_nc_u32 v130, 18, v26
	v_dual_add_nc_u32 v131, 19, v26 :: v_dual_add_nc_u32 v132, 32, v26
	;; [unrolled: 1-line block ×5, first 2 shown]
	v_add_nc_u32_e32 v138, 51, v26
	s_mul_u64 s[50:51], s[34:35], s[60:61]
	s_mul_u64 s[42:43], s[54:55], s[60:61]
	;; [unrolled: 1-line block ×3, first 2 shown]
	s_sub_nc_u64 s[50:51], 0, s[50:51]
	s_cselect_b32 s31, -1, 0
	s_add_co_i32 s70, s28, -2
	s_and_b32 s71, s0, s29
	s_sub_nc_u64 s[52:53], 0, s[36:37]
	s_add_co_i32 s72, s60, 64
	s_lshl_b64 s[54:55], s[54:55], 8
	s_mov_b64 s[56:57], 0xffffffffffffff80
	s_mov_b64 s[58:59], 0xffffffffffffff7c
	s_lshl_b64 s[26:27], s[26:27], 2
	s_lshl_b64 s[22:23], s[22:23], 2
	;; [unrolled: 1-line block ×3, first 2 shown]
	s_branch .LBB139_4
.LBB139_2:                              ;   in Loop: Header=BB139_4 Depth=1
	s_wait_xcnt 0x0
	s_or_b32 exec_lo, exec_lo, s64
.LBB139_3:                              ;   in Loop: Header=BB139_4 Depth=1
	s_add_co_i32 s18, s18, 0x10000
	s_delay_alu instid0(SALU_CYCLE_1)
	s_cmp_lt_u32 s18, s33
	s_cbranch_scc0 .LBB139_131
.LBB139_4:                              ; =>This Loop Header: Depth=1
                                        ;     Child Loop BB139_71 Depth 2
	s_and_not1_b32 vcc_lo, exec_lo, s67
	s_cbranch_vccnz .LBB139_3
; %bb.5:                                ;   in Loop: Header=BB139_4 Depth=1
	s_and_b32 vcc_lo, exec_lo, s66
	s_cbranch_vccz .LBB139_7
; %bb.6:                                ;   in Loop: Header=BB139_4 Depth=1
	s_cbranch_execnz .LBB139_3
	s_branch .LBB139_8
.LBB139_7:                              ;   in Loop: Header=BB139_4 Depth=1
.LBB139_8:                              ;   in Loop: Header=BB139_4 Depth=1
	v_mov_b32_e32 v0, s18
	v_mul_u64_e32 v[4:5], s[34:35], v[24:25]
	s_clause 0x1
	global_load_b64 v[2:3], v0, s[24:25] scale_offset
	global_load_b64 v[0:1], v0, s[20:21] scale_offset
	s_wait_loadcnt 0x1
	v_add_nc_u64_e32 v[2:3], s[26:27], v[2:3]
	s_delay_alu instid0(VALU_DEP_1)
	v_lshl_add_u64 v[4:5], v[4:5], 2, v[2:3]
	s_wait_xcnt 0x0
	s_and_saveexec_b32 s62, s0
	s_cbranch_execz .LBB139_12
; %bb.9:                                ;   in Loop: Header=BB139_4 Depth=1
	v_mov_b32_e32 v2, 0
	s_and_saveexec_b32 s63, s29
	s_cbranch_execz .LBB139_11
; %bb.10:                               ;   in Loop: Header=BB139_4 Depth=1
	flat_load_b32 v2, v[4:5]
.LBB139_11:                             ;   in Loop: Header=BB139_4 Depth=1
	s_wait_xcnt 0x0
	s_or_b32 exec_lo, exec_lo, s63
	s_wait_loadcnt_dscnt 0x0
	ds_store_b32 v127, v2
.LBB139_12:                             ;   in Loop: Header=BB139_4 Depth=1
	s_or_b32 exec_lo, exec_lo, s62
	s_wait_loadcnt 0x0
	v_add_nc_u64_e32 v[0:1], s[22:23], v[0:1]
	s_and_b32 vcc_lo, exec_lo, s69
	s_mov_b32 s62, -1
	s_delay_alu instid0(VALU_DEP_1) | instskip(NEXT) | instid1(VALU_DEP_1)
	v_add_nc_u64_e32 v[0:1], s[60:61], v[0:1]
	v_lshl_add_u64 v[0:1], v[22:23], 2, v[0:1]
	s_delay_alu instid0(VALU_DEP_1)
	v_lshl_add_u64 v[2:3], s[42:43], 2, v[0:1]
                                        ; implicit-def: $vgpr0_vgpr1
	s_cbranch_vccz .LBB139_22
; %bb.13:                               ;   in Loop: Header=BB139_4 Depth=1
	s_delay_alu instid0(VALU_DEP_1) | instskip(SKIP_1) | instid1(VALU_DEP_2)
	v_lshl_add_u64 v[0:1], v[60:61], 2, v[2:3]
	v_mov_b32_e32 v7, 0
	v_lshl_add_u64 v[0:1], s[36:37], 2, v[0:1]
	s_delay_alu instid0(VALU_DEP_1) | instskip(NEXT) | instid1(VALU_DEP_1)
	v_add_nc_u64_e32 v[0:1], -4, v[0:1]
	v_dual_mov_b32 v8, 0 :: v_dual_cndmask_b32 v1, v1, v3, s1
	s_delay_alu instid0(VALU_DEP_2)
	v_cndmask_b32_e64 v0, v0, v2, s1
	s_and_saveexec_b32 s62, s2
	s_cbranch_execz .LBB139_15
; %bb.14:                               ;   in Loop: Header=BB139_4 Depth=1
	flat_load_b32 v7, v[0:1]
.LBB139_15:                             ;   in Loop: Header=BB139_4 Depth=1
	s_wait_xcnt 0x0
	s_or_b32 exec_lo, exec_lo, s62
	v_add_nc_u32_e32 v6, v111, v112
	s_wait_loadcnt_dscnt 0x0
	ds_store_b32 v6, v7
	s_and_saveexec_b32 s62, s3
	s_cbranch_execz .LBB139_17
; %bb.16:                               ;   in Loop: Header=BB139_4 Depth=1
	v_add_nc_u64_e32 v[8:9], s[44:45], v[0:1]
	flat_load_b32 v8, v[8:9]
.LBB139_17:                             ;   in Loop: Header=BB139_4 Depth=1
	s_wait_xcnt 0x0
	s_or_b32 exec_lo, exec_lo, s62
	v_dual_mov_b32 v7, 0 :: v_dual_mov_b32 v9, 0
	s_wait_loadcnt_dscnt 0x0
	ds_store_b32 v6, v8 offset:1056
	s_and_saveexec_b32 s62, s4
	s_cbranch_execz .LBB139_19
; %bb.18:                               ;   in Loop: Header=BB139_4 Depth=1
	v_add_nc_u64_e32 v[8:9], s[46:47], v[0:1]
	flat_load_b32 v9, v[8:9]
.LBB139_19:                             ;   in Loop: Header=BB139_4 Depth=1
	s_wait_xcnt 0x0
	s_or_b32 exec_lo, exec_lo, s62
	s_wait_loadcnt_dscnt 0x0
	ds_store_b32 v6, v9 offset:2112
	s_and_saveexec_b32 s62, s5
	s_cbranch_execz .LBB139_21
; %bb.20:                               ;   in Loop: Header=BB139_4 Depth=1
	v_add_nc_u64_e32 v[8:9], s[48:49], v[0:1]
	flat_load_b32 v7, v[8:9]
.LBB139_21:                             ;   in Loop: Header=BB139_4 Depth=1
	s_wait_xcnt 0x0
	s_or_b32 exec_lo, exec_lo, s62
	v_lshlrev_b32_e32 v18, 2, v16
	s_mov_b32 s62, 0
	s_wait_loadcnt_dscnt 0x0
	ds_store_b32 v6, v7 offset:3168
	v_add_nc_u64_e32 v[0:1], v[0:1], v[18:19]
	s_delay_alu instid0(VALU_DEP_1) | instskip(NEXT) | instid1(VALU_DEP_1)
	v_lshl_add_u64 v[0:1], s[52:53], 2, v[0:1]
	v_add_nc_u64_e32 v[0:1], 4, v[0:1]
	s_delay_alu instid0(VALU_DEP_1)
	v_dual_cndmask_b32 v1, v1, v3, s1 :: v_dual_cndmask_b32 v0, v0, v2, s1
.LBB139_22:                             ;   in Loop: Header=BB139_4 Depth=1
	v_add_nc_u32_e32 v8, v111, v112
	s_and_b32 vcc_lo, exec_lo, s62
	s_cbranch_vccz .LBB139_24
; %bb.23:                               ;   in Loop: Header=BB139_4 Depth=1
	v_add_nc_u64_e32 v[0:1], s[44:45], v[2:3]
	s_delay_alu instid0(VALU_DEP_1) | instskip(NEXT) | instid1(VALU_DEP_1)
	v_add_nc_u64_e32 v[6:7], s[44:45], v[0:1]
	v_add_nc_u64_e32 v[10:11], s[44:45], v[6:7]
	s_clause 0x3
	flat_load_b32 v9, v[2:3]
	flat_load_b32 v12, v[0:1]
	;; [unrolled: 1-line block ×4, first 2 shown]
	v_mov_b64_e32 v[0:1], v[2:3]
	s_wait_loadcnt_dscnt 0x303
	ds_store_b32 v8, v9
	s_wait_loadcnt_dscnt 0x203
	ds_store_b32 v8, v12 offset:1056
	s_wait_loadcnt_dscnt 0x103
	ds_store_b32 v8, v6 offset:2112
	;; [unrolled: 2-line block ×3, first 2 shown]
.LBB139_24:                             ;   in Loop: Header=BB139_4 Depth=1
	s_wait_dscnt 0x0
	s_barrier_signal -1
	s_barrier_wait -1
	s_wait_xcnt 0x0
	s_and_saveexec_b32 s62, s6
	s_cbranch_execnz .LBB139_125
; %bb.25:                               ;   in Loop: Header=BB139_4 Depth=1
	s_or_b32 exec_lo, exec_lo, s62
	s_and_saveexec_b32 s62, s7
	s_cbranch_execnz .LBB139_126
.LBB139_26:                             ;   in Loop: Header=BB139_4 Depth=1
	s_or_b32 exec_lo, exec_lo, s62
	s_and_saveexec_b32 s62, s8
	s_cbranch_execnz .LBB139_127
.LBB139_27:                             ;   in Loop: Header=BB139_4 Depth=1
	s_or_b32 exec_lo, exec_lo, s62
	s_and_saveexec_b32 s62, s9
	s_cbranch_execz .LBB139_29
.LBB139_28:                             ;   in Loop: Header=BB139_4 Depth=1
	ds_load_b32 v2, v126 offset:264
	s_wait_dscnt 0x0
	ds_store_b32 v114, v2 offset:12
.LBB139_29:                             ;   in Loop: Header=BB139_4 Depth=1
	s_or_b32 exec_lo, exec_lo, s62
	s_wait_dscnt 0x0
	s_barrier_signal -1
	s_barrier_wait -1
	ds_load_2addr_b32 v[2:3], v126 offset1:33
	ds_load_b32 v6, v125
	ds_load_b128 v[10:13], v115
	ds_load_b32 v15, v126 offset:264
	s_wait_dscnt 0x0
	s_barrier_signal -1
	s_barrier_wait -1
	v_dual_mov_b32 v139, 0 :: v_dual_mov_b32 v7, v2
	v_mov_b32_e32 v14, v3
	s_delay_alu instid0(VALU_DEP_2) | instskip(NEXT) | instid1(VALU_DEP_2)
	v_pk_mul_f32 v[6:7], v[6:7], v[10:11]
	v_pk_mul_f32 v[2:3], v[14:15], v[12:13]
	s_delay_alu instid0(VALU_DEP_2) | instskip(NEXT) | instid1(VALU_DEP_1)
	v_add_f32_e32 v6, 0, v6
	v_add_f32_e32 v6, v6, v7
	s_delay_alu instid0(VALU_DEP_1) | instskip(NEXT) | instid1(VALU_DEP_1)
	v_add_f32_e32 v2, v6, v2
	v_add_f32_e32 v2, v2, v3
	ds_store_b32 v116, v2
	s_wait_dscnt 0x0
	s_barrier_signal -1
	s_barrier_wait -1
	s_and_saveexec_b32 s62, s10
	s_cbranch_execz .LBB139_31
; %bb.30:                               ;   in Loop: Header=BB139_4 Depth=1
	ds_load_2addr_b32 v[2:3], v113 offset1:1
	ds_load_2addr_b32 v[6:7], v113 offset0:2 offset1:3
	ds_load_2addr_b32 v[10:11], v113 offset0:4 offset1:5
	;; [unrolled: 1-line block ×3, first 2 shown]
	s_wait_dscnt 0x3
	v_add_f32_e32 v2, v2, v3
	s_wait_dscnt 0x2
	s_delay_alu instid0(VALU_DEP_1) | instskip(NEXT) | instid1(VALU_DEP_1)
	v_add_f32_e32 v2, v2, v6
	v_add_f32_e32 v2, v2, v7
	s_wait_dscnt 0x1
	s_delay_alu instid0(VALU_DEP_1) | instskip(NEXT) | instid1(VALU_DEP_1)
	v_add_f32_e32 v2, v2, v10
	v_add_f32_e32 v2, v2, v11
	s_wait_dscnt 0x0
	s_delay_alu instid0(VALU_DEP_1) | instskip(NEXT) | instid1(VALU_DEP_1)
	v_add_f32_e32 v2, v2, v12
	v_add_f32_e32 v139, v2, v13
.LBB139_31:                             ;   in Loop: Header=BB139_4 Depth=1
	s_or_b32 exec_lo, exec_lo, s62
	v_lshl_add_u64 v[6:7], s[44:45], 2, v[0:1]
	s_and_b32 vcc_lo, exec_lo, s69
	s_mov_b32 s62, -1
	s_barrier_signal -1
	s_delay_alu instid0(VALU_DEP_1)
	v_add_nc_u64_e32 v[2:3], 0x80, v[6:7]
	s_barrier_wait -1
                                        ; implicit-def: $vgpr0_vgpr1
	s_cbranch_vccz .LBB139_41
; %bb.32:                               ;   in Loop: Header=BB139_4 Depth=1
	v_lshl_add_u64 v[0:1], v[60:61], 2, v[6:7]
	v_mov_b32_e32 v9, 0
	s_delay_alu instid0(VALU_DEP_2) | instskip(NEXT) | instid1(VALU_DEP_1)
	v_lshl_add_u64 v[0:1], s[36:37], 2, v[0:1]
	v_add_nc_u64_e32 v[0:1], -4, v[0:1]
	s_delay_alu instid0(VALU_DEP_1) | instskip(NEXT) | instid1(VALU_DEP_2)
	v_dual_mov_b32 v10, 0 :: v_dual_cndmask_b32 v1, v1, v3, s11
	v_cndmask_b32_e64 v0, v0, v2, s11
	s_and_saveexec_b32 s62, s12
	s_cbranch_execz .LBB139_34
; %bb.33:                               ;   in Loop: Header=BB139_4 Depth=1
	flat_load_b32 v9, v[0:1]
.LBB139_34:                             ;   in Loop: Header=BB139_4 Depth=1
	s_wait_xcnt 0x0
	s_or_b32 exec_lo, exec_lo, s62
	s_wait_loadcnt_dscnt 0x0
	ds_store_b32 v8, v9
	s_and_saveexec_b32 s62, s13
	s_cbranch_execz .LBB139_36
; %bb.35:                               ;   in Loop: Header=BB139_4 Depth=1
	v_add_nc_u64_e32 v[10:11], s[44:45], v[0:1]
	flat_load_b32 v10, v[10:11]
.LBB139_36:                             ;   in Loop: Header=BB139_4 Depth=1
	s_wait_xcnt 0x0
	s_or_b32 exec_lo, exec_lo, s62
	v_dual_mov_b32 v9, 0 :: v_dual_mov_b32 v11, 0
	s_wait_loadcnt_dscnt 0x0
	ds_store_b32 v8, v10 offset:1056
	s_and_saveexec_b32 s62, s14
	s_cbranch_execz .LBB139_38
; %bb.37:                               ;   in Loop: Header=BB139_4 Depth=1
	v_add_nc_u64_e32 v[10:11], s[46:47], v[0:1]
	flat_load_b32 v11, v[10:11]
.LBB139_38:                             ;   in Loop: Header=BB139_4 Depth=1
	s_wait_xcnt 0x0
	s_or_b32 exec_lo, exec_lo, s62
	s_wait_loadcnt_dscnt 0x0
	ds_store_b32 v8, v11 offset:2112
	s_and_saveexec_b32 s62, s15
	s_cbranch_execz .LBB139_40
; %bb.39:                               ;   in Loop: Header=BB139_4 Depth=1
	v_add_nc_u64_e32 v[10:11], s[48:49], v[0:1]
	flat_load_b32 v9, v[10:11]
.LBB139_40:                             ;   in Loop: Header=BB139_4 Depth=1
	s_wait_xcnt 0x0
	s_or_b32 exec_lo, exec_lo, s62
	v_lshlrev_b32_e32 v18, 2, v16
	s_mov_b32 s62, 0
	s_wait_loadcnt_dscnt 0x0
	ds_store_b32 v8, v9 offset:3168
	v_add_nc_u64_e32 v[0:1], v[0:1], v[18:19]
	s_delay_alu instid0(VALU_DEP_1) | instskip(NEXT) | instid1(VALU_DEP_1)
	v_lshl_add_u64 v[0:1], s[52:53], 2, v[0:1]
	v_add_nc_u64_e32 v[0:1], 0x84, v[0:1]
	s_delay_alu instid0(VALU_DEP_1)
	v_dual_cndmask_b32 v1, v1, v3, s11 :: v_dual_cndmask_b32 v0, v0, v2, s11
.LBB139_41:                             ;   in Loop: Header=BB139_4 Depth=1
	s_and_b32 vcc_lo, exec_lo, s62
	s_cbranch_vccz .LBB139_43
; %bb.42:                               ;   in Loop: Header=BB139_4 Depth=1
	v_add_nc_u64_e32 v[0:1], s[44:45], v[6:7]
	s_delay_alu instid0(VALU_DEP_1) | instskip(NEXT) | instid1(VALU_DEP_1)
	v_add_nc_u64_e32 v[10:11], s[44:45], v[0:1]
	v_add_nc_u64_e32 v[12:13], s[44:45], v[10:11]
	s_clause 0x3
	flat_load_b32 v6, v[6:7] offset:128
	flat_load_b32 v7, v[0:1] offset:128
	;; [unrolled: 1-line block ×4, first 2 shown]
	v_mov_b64_e32 v[0:1], v[2:3]
	s_wait_loadcnt_dscnt 0x303
	ds_store_b32 v8, v6
	s_wait_loadcnt_dscnt 0x203
	ds_store_b32 v8, v7 offset:1056
	s_wait_loadcnt_dscnt 0x103
	ds_store_b32 v8, v9 offset:2112
	;; [unrolled: 2-line block ×3, first 2 shown]
.LBB139_43:                             ;   in Loop: Header=BB139_4 Depth=1
	s_wait_dscnt 0x0
	s_barrier_signal -1
	s_barrier_wait -1
	s_wait_xcnt 0x0
	s_and_saveexec_b32 s62, s6
	s_cbranch_execnz .LBB139_128
; %bb.44:                               ;   in Loop: Header=BB139_4 Depth=1
	s_or_b32 exec_lo, exec_lo, s62
	s_and_saveexec_b32 s62, s7
	s_cbranch_execnz .LBB139_129
.LBB139_45:                             ;   in Loop: Header=BB139_4 Depth=1
	s_or_b32 exec_lo, exec_lo, s62
	s_and_saveexec_b32 s62, s8
	s_cbranch_execnz .LBB139_130
.LBB139_46:                             ;   in Loop: Header=BB139_4 Depth=1
	s_or_b32 exec_lo, exec_lo, s62
	s_and_saveexec_b32 s62, s9
	s_cbranch_execz .LBB139_48
.LBB139_47:                             ;   in Loop: Header=BB139_4 Depth=1
	ds_load_b32 v2, v126 offset:264
	s_wait_dscnt 0x0
	ds_store_b32 v114, v2 offset:12
.LBB139_48:                             ;   in Loop: Header=BB139_4 Depth=1
	s_or_b32 exec_lo, exec_lo, s62
	s_wait_dscnt 0x0
	s_barrier_signal -1
	s_barrier_wait -1
	ds_load_2addr_b32 v[2:3], v126 offset1:33
	ds_load_b32 v6, v125
	ds_load_b128 v[10:13], v115 offset:128
	ds_load_b32 v15, v126 offset:264
	s_wait_dscnt 0x0
	s_barrier_signal -1
	s_barrier_wait -1
	v_dual_mov_b32 v7, v2 :: v_dual_mov_b32 v14, v3
	s_delay_alu instid0(VALU_DEP_1) | instskip(NEXT) | instid1(VALU_DEP_2)
	v_pk_mul_f32 v[6:7], v[6:7], v[10:11]
	v_pk_mul_f32 v[2:3], v[14:15], v[12:13]
	s_delay_alu instid0(VALU_DEP_2) | instskip(NEXT) | instid1(VALU_DEP_1)
	v_add_f32_e32 v6, 0, v6
	v_add_f32_e32 v6, v6, v7
	s_delay_alu instid0(VALU_DEP_1) | instskip(NEXT) | instid1(VALU_DEP_1)
	v_add_f32_e32 v2, v6, v2
	v_add_f32_e32 v2, v2, v3
	ds_store_b32 v116, v2
	s_wait_dscnt 0x0
	s_barrier_signal -1
	s_barrier_wait -1
	s_and_saveexec_b32 s62, s16
	s_cbranch_execz .LBB139_50
; %bb.49:                               ;   in Loop: Header=BB139_4 Depth=1
	ds_load_2addr_b32 v[2:3], v113 offset1:1
	ds_load_2addr_b32 v[6:7], v113 offset0:2 offset1:3
	ds_load_2addr_b32 v[10:11], v113 offset0:4 offset1:5
	;; [unrolled: 1-line block ×3, first 2 shown]
	s_wait_dscnt 0x3
	v_add_f32_e32 v2, v2, v3
	s_wait_dscnt 0x2
	s_delay_alu instid0(VALU_DEP_1) | instskip(NEXT) | instid1(VALU_DEP_1)
	v_add_f32_e32 v2, v2, v6
	v_add_f32_e32 v2, v2, v7
	s_wait_dscnt 0x1
	s_delay_alu instid0(VALU_DEP_1) | instskip(NEXT) | instid1(VALU_DEP_1)
	v_add_f32_e32 v2, v2, v10
	;; [unrolled: 4-line block ×3, first 2 shown]
	v_add_f32_e32 v139, v2, v13
.LBB139_50:                             ;   in Loop: Header=BB139_4 Depth=1
	s_or_b32 exec_lo, exec_lo, s62
	v_add_nc_u64_e32 v[2:3], s[56:57], v[0:1]
	s_and_b32 vcc_lo, exec_lo, s69
	s_mov_b32 s62, -1
	s_barrier_signal -1
	s_barrier_wait -1
                                        ; implicit-def: $vgpr6_vgpr7
	s_cbranch_vccz .LBB139_60
; %bb.51:                               ;   in Loop: Header=BB139_4 Depth=1
	v_lshl_add_u64 v[6:7], v[60:61], 2, v[0:1]
	v_mov_b32_e32 v9, 0
	s_delay_alu instid0(VALU_DEP_2) | instskip(NEXT) | instid1(VALU_DEP_1)
	v_lshl_add_u64 v[6:7], s[36:37], 2, v[6:7]
	v_add_nc_u64_e32 v[6:7], s[58:59], v[6:7]
	s_delay_alu instid0(VALU_DEP_1) | instskip(NEXT) | instid1(VALU_DEP_2)
	v_dual_mov_b32 v10, 0 :: v_dual_cndmask_b32 v7, v7, v3, s1
	v_cndmask_b32_e64 v6, v6, v2, s1
	s_and_saveexec_b32 s62, s12
	s_cbranch_execz .LBB139_53
; %bb.52:                               ;   in Loop: Header=BB139_4 Depth=1
	flat_load_b32 v9, v[6:7]
.LBB139_53:                             ;   in Loop: Header=BB139_4 Depth=1
	s_wait_xcnt 0x0
	s_or_b32 exec_lo, exec_lo, s62
	s_wait_loadcnt_dscnt 0x0
	ds_store_b32 v8, v9
	s_and_saveexec_b32 s62, s13
	s_cbranch_execz .LBB139_55
; %bb.54:                               ;   in Loop: Header=BB139_4 Depth=1
	v_add_nc_u64_e32 v[10:11], s[44:45], v[6:7]
	flat_load_b32 v10, v[10:11]
.LBB139_55:                             ;   in Loop: Header=BB139_4 Depth=1
	s_wait_xcnt 0x0
	s_or_b32 exec_lo, exec_lo, s62
	v_dual_mov_b32 v9, 0 :: v_dual_mov_b32 v11, 0
	s_wait_loadcnt_dscnt 0x0
	ds_store_b32 v8, v10 offset:1056
	s_and_saveexec_b32 s62, s14
	s_cbranch_execz .LBB139_57
; %bb.56:                               ;   in Loop: Header=BB139_4 Depth=1
	v_add_nc_u64_e32 v[10:11], s[46:47], v[6:7]
	flat_load_b32 v11, v[10:11]
.LBB139_57:                             ;   in Loop: Header=BB139_4 Depth=1
	s_wait_xcnt 0x0
	s_or_b32 exec_lo, exec_lo, s62
	s_wait_loadcnt_dscnt 0x0
	ds_store_b32 v8, v11 offset:2112
	s_and_saveexec_b32 s62, s15
	s_cbranch_execz .LBB139_59
; %bb.58:                               ;   in Loop: Header=BB139_4 Depth=1
	v_add_nc_u64_e32 v[10:11], s[48:49], v[6:7]
	flat_load_b32 v9, v[10:11]
.LBB139_59:                             ;   in Loop: Header=BB139_4 Depth=1
	s_wait_xcnt 0x0
	s_or_b32 exec_lo, exec_lo, s62
	v_lshlrev_b32_e32 v18, 2, v16
	s_mov_b32 s62, 0
	s_wait_loadcnt_dscnt 0x0
	ds_store_b32 v8, v9 offset:3168
	v_add_nc_u64_e32 v[6:7], v[6:7], v[18:19]
	s_delay_alu instid0(VALU_DEP_1) | instskip(NEXT) | instid1(VALU_DEP_1)
	v_lshl_add_u64 v[6:7], s[52:53], 2, v[6:7]
	v_add_nc_u64_e32 v[6:7], 4, v[6:7]
	s_delay_alu instid0(VALU_DEP_1)
	v_dual_cndmask_b32 v7, v7, v3, s1 :: v_dual_cndmask_b32 v6, v6, v2, s1
.LBB139_60:                             ;   in Loop: Header=BB139_4 Depth=1
	s_and_b32 vcc_lo, exec_lo, s62
	s_cbranch_vccz .LBB139_62
; %bb.61:                               ;   in Loop: Header=BB139_4 Depth=1
	v_add_nc_u64_e32 v[6:7], s[44:45], v[0:1]
	s_delay_alu instid0(VALU_DEP_1) | instskip(NEXT) | instid1(VALU_DEP_1)
	v_add_nc_u64_e32 v[10:11], s[44:45], v[6:7]
	v_add_nc_u64_e32 v[12:13], s[44:45], v[10:11]
	s_clause 0x3
	flat_load_b32 v0, v[0:1] offset:-128
	flat_load_b32 v1, v[6:7] offset:-128
	flat_load_b32 v9, v[10:11] offset:-128
	flat_load_b32 v10, v[12:13] offset:-128
	v_mov_b64_e32 v[6:7], v[2:3]
	s_wait_loadcnt_dscnt 0x303
	ds_store_b32 v8, v0
	s_wait_loadcnt_dscnt 0x203
	ds_store_b32 v8, v1 offset:1056
	s_wait_loadcnt_dscnt 0x103
	ds_store_b32 v8, v9 offset:2112
	;; [unrolled: 2-line block ×3, first 2 shown]
.LBB139_62:                             ;   in Loop: Header=BB139_4 Depth=1
	v_dual_add_nc_u32 v9, v114, v117 :: v_dual_add_nc_u32 v8, v115, v117
	s_wait_dscnt 0x0
	s_barrier_signal -1
	s_barrier_wait -1
	ds_load_2addr_b32 v[0:1], v27 offset0:8 offset1:16
	ds_load_2addr_b32 v[2:3], v124 offset0:8 offset1:16
	ds_load_b32 v8, v8
	s_wait_xcnt 0x0
	ds_load_b32 v12, v9
	ds_load_b32 v15, v27 offset:96
	ds_load_b32 v65, v124 offset:96
	;; [unrolled: 1-line block ×3, first 2 shown]
	ds_load_b32 v11, v125
	s_wait_dscnt 0x6
	v_dual_mov_b32 v13, v0 :: v_dual_mov_b32 v9, v2
	v_dual_mov_b32 v14, v1 :: v_dual_mov_b32 v64, v3
	s_wait_dscnt 0x4
	s_delay_alu instid0(VALU_DEP_2)
	v_pk_mul_f32 v[12:13], v[12:13], v[8:9]
	ds_load_2addr_b32 v[8:9], v126 offset1:33
	ds_load_b128 v[0:3], v115 offset:128
	s_wait_dscnt 0x4
	v_pk_mul_f32 v[14:15], v[14:15], v[64:65]
	s_wait_dscnt 0x0
	s_barrier_signal -1
	v_add_f32_e32 v12, 0, v12
	s_barrier_wait -1
	s_delay_alu instid0(VALU_DEP_1) | instskip(NEXT) | instid1(VALU_DEP_1)
	v_add_f32_e32 v12, v12, v13
	v_add_f32_e32 v12, v12, v14
	s_delay_alu instid0(VALU_DEP_1)
	v_add_f32_e32 v12, v12, v15
	ds_store_b32 v116, v12
	s_wait_dscnt 0x0
	s_barrier_signal -1
	s_barrier_wait -1
	s_and_saveexec_b32 s62, s16
	s_cbranch_execz .LBB139_64
; %bb.63:                               ;   in Loop: Header=BB139_4 Depth=1
	ds_load_2addr_b32 v[12:13], v113 offset1:1
	ds_load_2addr_b32 v[14:15], v113 offset0:2 offset1:3
	ds_load_2addr_b32 v[64:65], v113 offset0:4 offset1:5
	;; [unrolled: 1-line block ×3, first 2 shown]
	s_wait_dscnt 0x3
	v_add_f32_e32 v12, v139, v12
	s_delay_alu instid0(VALU_DEP_1) | instskip(SKIP_1) | instid1(VALU_DEP_1)
	v_add_f32_e32 v12, v12, v13
	s_wait_dscnt 0x2
	v_add_f32_e32 v12, v12, v14
	s_delay_alu instid0(VALU_DEP_1) | instskip(SKIP_1) | instid1(VALU_DEP_1)
	v_add_f32_e32 v12, v12, v15
	;; [unrolled: 4-line block ×3, first 2 shown]
	s_wait_dscnt 0x0
	v_add_f32_e32 v12, v12, v66
	s_delay_alu instid0(VALU_DEP_1)
	v_add_f32_e32 v139, v12, v67
.LBB139_64:                             ;   in Loop: Header=BB139_4 Depth=1
	s_or_b32 exec_lo, exec_lo, s62
	v_fma_f32 v0, v11, v0, 0
	s_barrier_signal -1
	s_barrier_wait -1
	s_delay_alu instid0(VALU_DEP_1) | instskip(NEXT) | instid1(VALU_DEP_1)
	v_fmac_f32_e32 v0, v8, v1
	v_fmac_f32_e32 v0, v9, v2
	s_delay_alu instid0(VALU_DEP_1)
	v_fmac_f32_e32 v0, v10, v3
	ds_store_b32 v116, v0
	s_wait_dscnt 0x0
	s_barrier_signal -1
	s_barrier_wait -1
	s_and_saveexec_b32 s62, s10
	s_cbranch_execz .LBB139_66
; %bb.65:                               ;   in Loop: Header=BB139_4 Depth=1
	ds_load_2addr_b32 v[0:1], v113 offset1:1
	ds_load_2addr_b32 v[2:3], v113 offset0:2 offset1:3
	ds_load_2addr_b32 v[8:9], v113 offset0:4 offset1:5
	ds_load_2addr_b32 v[10:11], v113 offset0:6 offset1:7
	s_wait_dscnt 0x3
	v_add_f32_e32 v0, v139, v0
	s_delay_alu instid0(VALU_DEP_1) | instskip(SKIP_1) | instid1(VALU_DEP_1)
	v_add_f32_e32 v0, v0, v1
	s_wait_dscnt 0x2
	v_add_f32_e32 v0, v0, v2
	s_delay_alu instid0(VALU_DEP_1) | instskip(SKIP_1) | instid1(VALU_DEP_1)
	v_add_f32_e32 v0, v0, v3
	;; [unrolled: 4-line block ×3, first 2 shown]
	s_wait_dscnt 0x0
	v_add_f32_e32 v0, v0, v10
	s_delay_alu instid0(VALU_DEP_1)
	v_add_f32_e32 v139, v0, v11
.LBB139_66:                             ;   in Loop: Header=BB139_4 Depth=1
	s_or_b32 exec_lo, exec_lo, s62
	s_mul_u64 s[62:63], s[38:39], s[18:19]
	s_and_not1_b32 vcc_lo, exec_lo, s31
	s_lshl_b64 s[62:63], s[62:63], 2
	s_delay_alu instid0(SALU_CYCLE_1)
	s_add_nc_u64 s[62:63], s[40:41], s[62:63]
	s_barrier_signal -1
	s_barrier_wait -1
	s_cbranch_vccnz .LBB139_123
; %bb.67:                               ;   in Loop: Header=BB139_4 Depth=1
	v_lshl_add_u64 v[0:1], s[44:45], 2, v[6:7]
	v_add_nc_u64_e32 v[64:65], v[6:7], v[28:29]
	v_add_nc_u64_e32 v[66:67], v[6:7], v[30:31]
	;; [unrolled: 1-line block ×4, first 2 shown]
	v_lshl_add_u64 v[0:1], v[62:63], 2, v[0:1]
	v_add_nc_u64_e32 v[72:73], v[6:7], v[36:37]
	v_add_nc_u64_e32 v[74:75], v[6:7], v[38:39]
	;; [unrolled: 1-line block ×11, first 2 shown]
	v_lshl_add_u64 v[94:95], s[50:51], 2, v[4:5]
	v_lshl_add_u64 v[96:97], v[58:59], 2, v[0:1]
	s_mov_b32 s64, s72
	s_mov_b32 s73, s30
	s_delay_alu instid0(SALU_CYCLE_1)
	s_cmp_eq_u32 s70, s73
	s_cselect_b32 s74, s68, 0
	s_and_saveexec_b32 s75, s0
	s_cbranch_execz .LBB139_71
.LBB139_68:                             ;   in Loop: Header=BB139_4 Depth=1
	v_cmp_gt_i32_e32 vcc_lo, s74, v110
	s_cmp_eq_u32 s74, 0
	v_mov_b32_e32 v0, 0
	s_cselect_b32 s65, -1, 0
	s_delay_alu instid0(SALU_CYCLE_1) | instskip(NEXT) | instid1(SALU_CYCLE_1)
	s_or_b32 s65, s65, vcc_lo
	s_and_saveexec_b32 s76, s65
	s_cbranch_execz .LBB139_70
; %bb.69:                               ;   in Loop: Header=BB139_4 Depth=1
	s_ashr_i32 s65, s64, 31
	s_delay_alu instid0(SALU_CYCLE_1) | instskip(NEXT) | instid1(SALU_CYCLE_1)
	s_mul_u64 s[78:79], s[34:35], s[64:65]
	v_lshl_add_u64 v[0:1], s[78:79], 2, v[94:95]
	flat_load_b32 v0, v[0:1]
.LBB139_70:                             ;   in Loop: Header=BB139_4 Depth=1
	s_wait_xcnt 0x0
	s_or_b32 exec_lo, exec_lo, s76
	v_add_nc_u32_e32 v1, 0x10c0, v20
	s_wait_loadcnt_dscnt 0x0
	ds_store_b32 v1, v0
.LBB139_71:                             ;   Parent Loop BB139_4 Depth=1
                                        ; =>  This Inner Loop Header: Depth=2
	s_or_b32 exec_lo, exec_lo, s75
	s_cmp_eq_u32 s74, 0
	v_add_nc_u64_e32 v[0:1], v[96:97], v[20:21]
	s_cselect_b32 s65, -1, 0
	s_cmp_lg_u32 s74, 0
	s_mov_b32 s76, -1
	s_cselect_b32 s75, -1, 0
	s_wait_dscnt 0x0
	s_and_b32 vcc_lo, exec_lo, s75
	s_barrier_signal -1
	s_barrier_wait -1
                                        ; implicit-def: $vgpr141
                                        ; implicit-def: $vgpr142
                                        ; implicit-def: $vgpr18
                                        ; implicit-def: $vgpr140
	s_cbranch_vccz .LBB139_81
; %bb.72:                               ;   in Loop: Header=BB139_71 Depth=2
	v_dual_mov_b32 v18, 0 :: v_dual_mov_b32 v140, 0
	s_mov_b32 s76, exec_lo
	v_cmpx_gt_i32_e64 s74, v26
	s_cbranch_execz .LBB139_74
; %bb.73:                               ;   in Loop: Header=BB139_71 Depth=2
	flat_load_b32 v140, v[0:1]
.LBB139_74:                             ;   in Loop: Header=BB139_71 Depth=2
	s_wait_xcnt 0x0
	s_or_b32 exec_lo, exec_lo, s76
	v_or_b32_e32 v2, 1, v26
	s_mov_b32 s76, exec_lo
	s_delay_alu instid0(VALU_DEP_1)
	v_cmpx_gt_i32_e64 s74, v2
	s_cbranch_execz .LBB139_76
; %bb.75:                               ;   in Loop: Header=BB139_71 Depth=2
	v_add_nc_u64_e32 v[2:3], v[68:69], v[20:21]
	flat_load_b32 v18, v[2:3]
.LBB139_76:                             ;   in Loop: Header=BB139_71 Depth=2
	s_wait_xcnt 0x0
	s_or_b32 exec_lo, exec_lo, s76
	v_dual_mov_b32 v141, 0 :: v_dual_bitop2_b32 v2, 2, v26 bitop3:0x54
	v_mov_b32_e32 v142, 0
	s_mov_b32 s76, exec_lo
	s_delay_alu instid0(VALU_DEP_2)
	v_cmpx_gt_i32_e64 s74, v2
	s_cbranch_execz .LBB139_78
; %bb.77:                               ;   in Loop: Header=BB139_71 Depth=2
	v_add_nc_u64_e32 v[2:3], v[64:65], v[20:21]
	flat_load_b32 v142, v[2:3]
.LBB139_78:                             ;   in Loop: Header=BB139_71 Depth=2
	s_wait_xcnt 0x0
	s_or_b32 exec_lo, exec_lo, s76
	v_or_b32_e32 v2, 3, v26
	s_mov_b32 s76, exec_lo
	s_delay_alu instid0(VALU_DEP_1)
	v_cmpx_gt_i32_e64 s74, v2
	s_cbranch_execz .LBB139_80
; %bb.79:                               ;   in Loop: Header=BB139_71 Depth=2
	v_add_nc_u64_e32 v[2:3], v[66:67], v[20:21]
	flat_load_b32 v141, v[2:3]
.LBB139_80:                             ;   in Loop: Header=BB139_71 Depth=2
	s_wait_xcnt 0x0
	s_or_b32 exec_lo, exec_lo, s76
	s_mov_b32 s76, 0
.LBB139_81:                             ;   in Loop: Header=BB139_71 Depth=2
	s_delay_alu instid0(SALU_CYCLE_1)
	s_and_b32 vcc_lo, exec_lo, s76
	s_cbranch_vccz .LBB139_83
; %bb.82:                               ;   in Loop: Header=BB139_71 Depth=2
	v_add_nc_u64_e32 v[2:3], v[68:69], v[20:21]
	v_add_nc_u64_e32 v[4:5], v[64:65], v[20:21]
	;; [unrolled: 1-line block ×3, first 2 shown]
	s_wait_loadcnt_dscnt 0x0
	flat_load_b32 v140, v[0:1]
	flat_load_b32 v18, v[2:3]
	;; [unrolled: 1-line block ×4, first 2 shown]
.LBB139_83:                             ;   in Loop: Header=BB139_71 Depth=2
	s_wait_xcnt 0x1
	ds_load_b32 v4, v127
	ds_load_b128 v[0:3], v128
	v_cndmask_b32_e64 v12, 0, 1, s75
	s_and_not1_b32 vcc_lo, exec_lo, s75
	s_mov_b32 s75, -1
                                        ; implicit-def: $vgpr145
                                        ; implicit-def: $vgpr146
                                        ; implicit-def: $vgpr143
                                        ; implicit-def: $vgpr144
	s_wait_loadcnt_dscnt 0x1
	s_wait_xcnt 0x0
	v_dual_mul_f32 v5, v140, v4 :: v_dual_mul_f32 v6, v18, v4
	v_dual_mul_f32 v7, v142, v4 :: v_dual_mul_f32 v4, v141, v4
	ds_store_2addr_b32 v121, v5, v6 offset1:67
	ds_store_2addr_b32 v121, v7, v4 offset0:134 offset1:201
	s_wait_dscnt 0x0
	s_barrier_signal -1
	s_barrier_wait -1
	ds_load_2addr_b32 v[100:101], v123 offset1:1
	ds_load_2addr_b32 v[98:99], v123 offset0:2 offset1:3
	v_add_nc_u64_e32 v[4:5], v[76:77], v[20:21]
	s_wait_dscnt 0x0
	s_barrier_signal -1
	s_barrier_wait -1
	s_cbranch_vccnz .LBB139_93
; %bb.84:                               ;   in Loop: Header=BB139_71 Depth=2
	v_dual_mov_b32 v143, 0 :: v_dual_add_nc_u32 v6, 16, v26
	v_mov_b32_e32 v144, 0
	s_mov_b32 s75, exec_lo
	s_delay_alu instid0(VALU_DEP_2)
	v_cmpx_gt_i32_e64 s74, v6
	s_cbranch_execz .LBB139_86
; %bb.85:                               ;   in Loop: Header=BB139_71 Depth=2
	flat_load_b32 v144, v[4:5]
.LBB139_86:                             ;   in Loop: Header=BB139_71 Depth=2
	s_wait_xcnt 0x0
	s_or_b32 exec_lo, exec_lo, s75
	s_delay_alu instid0(SALU_CYCLE_1)
	s_mov_b32 s75, exec_lo
	v_cmpx_gt_i32_e64 s74, v129
	s_cbranch_execz .LBB139_88
; %bb.87:                               ;   in Loop: Header=BB139_71 Depth=2
	v_add_nc_u64_e32 v[6:7], v[74:75], v[20:21]
	flat_load_b32 v143, v[6:7]
.LBB139_88:                             ;   in Loop: Header=BB139_71 Depth=2
	s_wait_xcnt 0x0
	s_or_b32 exec_lo, exec_lo, s75
	v_dual_mov_b32 v145, 0 :: v_dual_mov_b32 v146, 0
	s_mov_b32 s75, exec_lo
	v_cmpx_gt_i32_e64 s74, v130
	s_cbranch_execz .LBB139_90
; %bb.89:                               ;   in Loop: Header=BB139_71 Depth=2
	v_add_nc_u64_e32 v[6:7], v[70:71], v[20:21]
	flat_load_b32 v146, v[6:7]
.LBB139_90:                             ;   in Loop: Header=BB139_71 Depth=2
	s_wait_xcnt 0x0
	s_or_b32 exec_lo, exec_lo, s75
	s_delay_alu instid0(SALU_CYCLE_1)
	s_mov_b32 s75, exec_lo
	v_cmpx_gt_i32_e64 s74, v131
	s_cbranch_execz .LBB139_92
; %bb.91:                               ;   in Loop: Header=BB139_71 Depth=2
	v_add_nc_u64_e32 v[6:7], v[72:73], v[20:21]
	flat_load_b32 v145, v[6:7]
.LBB139_92:                             ;   in Loop: Header=BB139_71 Depth=2
	s_wait_xcnt 0x0
	s_or_b32 exec_lo, exec_lo, s75
	s_mov_b32 s75, 0
.LBB139_93:                             ;   in Loop: Header=BB139_71 Depth=2
	s_delay_alu instid0(SALU_CYCLE_1)
	s_and_b32 vcc_lo, exec_lo, s75
	s_cbranch_vccz .LBB139_95
; %bb.94:                               ;   in Loop: Header=BB139_71 Depth=2
	v_add_nc_u64_e32 v[6:7], v[74:75], v[20:21]
	v_add_nc_u64_e32 v[8:9], v[70:71], v[20:21]
	;; [unrolled: 1-line block ×3, first 2 shown]
	s_wait_loadcnt_dscnt 0x0
	flat_load_b32 v144, v[4:5]
	flat_load_b32 v143, v[6:7]
	;; [unrolled: 1-line block ×4, first 2 shown]
.LBB139_95:                             ;   in Loop: Header=BB139_71 Depth=2
	s_wait_xcnt 0x1
	ds_load_b32 v8, v127
	ds_load_b128 v[4:7], v128 offset:64
	v_cmp_ne_u32_e32 vcc_lo, 1, v12
	s_mov_b32 s75, -1
                                        ; implicit-def: $vgpr149
                                        ; implicit-def: $vgpr150
                                        ; implicit-def: $vgpr147
                                        ; implicit-def: $vgpr148
	s_and_b32 vcc_lo, exec_lo, vcc_lo
	s_wait_loadcnt_dscnt 0x1
	s_wait_xcnt 0x0
	v_dual_mul_f32 v9, v144, v8 :: v_dual_mul_f32 v10, v143, v8
	v_dual_mul_f32 v11, v146, v8 :: v_dual_mul_f32 v8, v145, v8
	ds_store_2addr_b32 v121, v9, v10 offset1:67
	ds_store_2addr_b32 v121, v11, v8 offset0:134 offset1:201
	s_wait_dscnt 0x0
	s_barrier_signal -1
	s_barrier_wait -1
	ds_load_2addr_b32 v[104:105], v123 offset1:1
	ds_load_2addr_b32 v[102:103], v123 offset0:2 offset1:3
	v_add_nc_u64_e32 v[8:9], v[84:85], v[20:21]
	s_wait_dscnt 0x0
	s_barrier_signal -1
	s_barrier_wait -1
	s_cbranch_vccnz .LBB139_105
; %bb.96:                               ;   in Loop: Header=BB139_71 Depth=2
	v_dual_mov_b32 v147, 0 :: v_dual_mov_b32 v148, 0
	s_mov_b32 s75, exec_lo
	v_cmpx_gt_i32_e64 s74, v132
	s_cbranch_execz .LBB139_98
; %bb.97:                               ;   in Loop: Header=BB139_71 Depth=2
	flat_load_b32 v148, v[8:9]
.LBB139_98:                             ;   in Loop: Header=BB139_71 Depth=2
	s_wait_xcnt 0x0
	s_or_b32 exec_lo, exec_lo, s75
	s_delay_alu instid0(SALU_CYCLE_1)
	s_mov_b32 s75, exec_lo
	v_cmpx_gt_i32_e64 s74, v133
	s_cbranch_execz .LBB139_100
; %bb.99:                               ;   in Loop: Header=BB139_71 Depth=2
	v_add_nc_u64_e32 v[10:11], v[82:83], v[20:21]
	flat_load_b32 v147, v[10:11]
.LBB139_100:                            ;   in Loop: Header=BB139_71 Depth=2
	s_wait_xcnt 0x0
	s_or_b32 exec_lo, exec_lo, s75
	v_dual_mov_b32 v149, 0 :: v_dual_mov_b32 v150, 0
	s_mov_b32 s75, exec_lo
	v_cmpx_gt_i32_e64 s74, v134
	s_cbranch_execz .LBB139_102
; %bb.101:                              ;   in Loop: Header=BB139_71 Depth=2
	v_add_nc_u64_e32 v[10:11], v[78:79], v[20:21]
	flat_load_b32 v150, v[10:11]
.LBB139_102:                            ;   in Loop: Header=BB139_71 Depth=2
	s_wait_xcnt 0x0
	s_or_b32 exec_lo, exec_lo, s75
	s_delay_alu instid0(SALU_CYCLE_1)
	s_mov_b32 s75, exec_lo
	v_cmpx_gt_i32_e64 s74, v135
	s_cbranch_execz .LBB139_104
; %bb.103:                              ;   in Loop: Header=BB139_71 Depth=2
	v_add_nc_u64_e32 v[10:11], v[80:81], v[20:21]
	flat_load_b32 v149, v[10:11]
.LBB139_104:                            ;   in Loop: Header=BB139_71 Depth=2
	s_wait_xcnt 0x0
	s_or_b32 exec_lo, exec_lo, s75
	s_mov_b32 s75, 0
.LBB139_105:                            ;   in Loop: Header=BB139_71 Depth=2
	s_delay_alu instid0(SALU_CYCLE_1)
	s_and_b32 vcc_lo, exec_lo, s75
	s_cbranch_vccz .LBB139_107
; %bb.106:                              ;   in Loop: Header=BB139_71 Depth=2
	v_add_nc_u64_e32 v[10:11], v[82:83], v[20:21]
	v_add_nc_u64_e32 v[14:15], v[78:79], v[20:21]
	v_add_nc_u64_e32 v[106:107], v[80:81], v[20:21]
	s_wait_loadcnt_dscnt 0x0
	flat_load_b32 v148, v[8:9]
	flat_load_b32 v147, v[10:11]
	flat_load_b32 v150, v[14:15]
	flat_load_b32 v149, v[106:107]
.LBB139_107:                            ;   in Loop: Header=BB139_71 Depth=2
	ds_load_b32 v13, v127
	s_wait_xcnt 0x2
	ds_load_b128 v[8:11], v128 offset:128
	v_cmp_ne_u32_e32 vcc_lo, 1, v12
	s_mov_b32 s75, -1
                                        ; implicit-def: $vgpr153
                                        ; implicit-def: $vgpr154
                                        ; implicit-def: $vgpr151
                                        ; implicit-def: $vgpr152
	s_and_b32 vcc_lo, exec_lo, vcc_lo
	s_wait_loadcnt_dscnt 0x1
	s_wait_xcnt 0x1
	v_dual_mul_f32 v14, v148, v13 :: v_dual_mul_f32 v15, v147, v13
	s_wait_xcnt 0x0
	v_dual_mul_f32 v106, v150, v13 :: v_dual_mul_f32 v13, v149, v13
	ds_store_2addr_b32 v121, v14, v15 offset1:67
	ds_store_2addr_b32 v121, v106, v13 offset0:134 offset1:201
	s_wait_dscnt 0x0
	s_barrier_signal -1
	s_barrier_wait -1
	ds_load_2addr_b32 v[108:109], v123 offset1:1
	ds_load_2addr_b32 v[106:107], v123 offset0:2 offset1:3
	v_add_nc_u64_e32 v[12:13], v[92:93], v[20:21]
	s_wait_dscnt 0x0
	s_barrier_signal -1
	s_barrier_wait -1
	s_cbranch_vccnz .LBB139_117
; %bb.108:                              ;   in Loop: Header=BB139_71 Depth=2
	v_dual_mov_b32 v151, 0 :: v_dual_mov_b32 v152, 0
	s_mov_b32 s75, exec_lo
	v_cmpx_gt_i32_e64 s74, v136
	s_cbranch_execz .LBB139_110
; %bb.109:                              ;   in Loop: Header=BB139_71 Depth=2
	flat_load_b32 v152, v[12:13]
.LBB139_110:                            ;   in Loop: Header=BB139_71 Depth=2
	s_wait_xcnt 0x0
	s_or_b32 exec_lo, exec_lo, s75
	s_delay_alu instid0(SALU_CYCLE_1)
	s_mov_b32 s75, exec_lo
	v_cmpx_gt_i32_e64 s74, v137
	s_cbranch_execz .LBB139_112
; %bb.111:                              ;   in Loop: Header=BB139_71 Depth=2
	v_add_nc_u64_e32 v[14:15], v[90:91], v[20:21]
	flat_load_b32 v151, v[14:15]
.LBB139_112:                            ;   in Loop: Header=BB139_71 Depth=2
	s_wait_xcnt 0x0
	s_or_b32 exec_lo, exec_lo, s75
	v_dual_mov_b32 v153, 0 :: v_dual_mov_b32 v154, 0
	s_mov_b32 s75, exec_lo
	v_cmpx_gt_i32_e64 s74, v17
	s_cbranch_execz .LBB139_114
; %bb.113:                              ;   in Loop: Header=BB139_71 Depth=2
	v_add_nc_u64_e32 v[14:15], v[86:87], v[20:21]
	flat_load_b32 v154, v[14:15]
.LBB139_114:                            ;   in Loop: Header=BB139_71 Depth=2
	s_wait_xcnt 0x0
	s_or_b32 exec_lo, exec_lo, s75
	s_delay_alu instid0(SALU_CYCLE_1)
	s_mov_b32 s75, exec_lo
	v_cmpx_gt_i32_e64 s74, v138
	s_cbranch_execz .LBB139_116
; %bb.115:                              ;   in Loop: Header=BB139_71 Depth=2
	v_add_nc_u64_e32 v[14:15], v[88:89], v[20:21]
	flat_load_b32 v153, v[14:15]
.LBB139_116:                            ;   in Loop: Header=BB139_71 Depth=2
	s_wait_xcnt 0x0
	s_or_b32 exec_lo, exec_lo, s75
	s_mov_b32 s75, 0
.LBB139_117:                            ;   in Loop: Header=BB139_71 Depth=2
	s_delay_alu instid0(SALU_CYCLE_1)
	s_and_b32 vcc_lo, exec_lo, s75
	s_cbranch_vccz .LBB139_119
; %bb.118:                              ;   in Loop: Header=BB139_71 Depth=2
	v_add_nc_u64_e32 v[14:15], v[90:91], v[20:21]
	s_wait_loadcnt_dscnt 0x0
	v_add_nc_u64_e32 v[154:155], v[86:87], v[20:21]
	v_add_nc_u64_e32 v[156:157], v[88:89], v[20:21]
	flat_load_b32 v152, v[12:13]
	flat_load_b32 v151, v[14:15]
	;; [unrolled: 1-line block ×4, first 2 shown]
.LBB139_119:                            ;   in Loop: Header=BB139_71 Depth=2
	s_wait_xcnt 0x1
	ds_load_b32 v155, v127
	ds_load_b128 v[12:15], v128 offset:192
	v_add_f32_e32 v104, 0, v104
	v_add_f32_e32 v108, 0, v108
	v_cmp_gt_i32_e32 vcc_lo, s74, v110
	s_delay_alu instid0(VALU_DEP_3) | instskip(NEXT) | instid1(VALU_DEP_3)
	v_add_f32_e32 v104, v104, v105
	v_add_f32_e32 v108, v108, v109
	s_or_b32 s65, s65, vcc_lo
	s_delay_alu instid0(SALU_CYCLE_1) | instskip(NEXT) | instid1(VALU_DEP_2)
	s_and_b32 s74, s17, s65
	v_add_f32_e32 v102, v104, v102
	s_delay_alu instid0(VALU_DEP_1)
	v_dual_add_f32 v105, v108, v106 :: v_dual_add_f32 v102, v102, v103
	s_wait_loadcnt_dscnt 0x1
	s_wait_xcnt 0x0
	v_dual_mul_f32 v156, v152, v155 :: v_dual_mul_f32 v157, v151, v155
	v_dual_mul_f32 v158, v154, v155 :: v_dual_mul_f32 v155, v153, v155
	ds_store_2addr_b32 v121, v156, v157 offset1:67
	ds_store_2addr_b32 v121, v158, v155 offset0:134 offset1:201
	s_wait_dscnt 0x0
	s_barrier_signal -1
	s_barrier_wait -1
	ds_load_2addr_b32 v[156:157], v123 offset1:1
	ds_load_2addr_b32 v[158:159], v123 offset0:2 offset1:3
	s_wait_dscnt 0x0
	s_barrier_signal -1
	s_barrier_wait -1
	v_add_f32_e32 v155, 0, v156
	v_add_f32_e32 v100, 0, v100
	s_delay_alu instid0(VALU_DEP_1) | instskip(NEXT) | instid1(VALU_DEP_1)
	v_add_f32_e32 v100, v100, v101
	v_dual_add_f32 v101, v155, v157 :: v_dual_add_f32 v98, v100, v98
	s_delay_alu instid0(VALU_DEP_1) | instskip(SKIP_1) | instid1(VALU_DEP_3)
	v_add_f32_e32 v100, v101, v158
	v_add_f32_e32 v101, v105, v107
	;; [unrolled: 1-line block ×3, first 2 shown]
	s_delay_alu instid0(VALU_DEP_3)
	v_add_f32_e32 v99, v100, v159
	ds_store_2addr_b32 v118, v98, v102 offset1:16
	ds_store_2addr_b32 v118, v101, v99 offset0:32 offset1:48
	s_wait_dscnt 0x0
	s_barrier_signal -1
	s_barrier_wait -1
	s_and_saveexec_b32 s65, s74
	s_cbranch_execz .LBB139_121
; %bb.120:                              ;   in Loop: Header=BB139_71 Depth=2
	ds_load_2addr_b32 v[98:99], v119 offset1:1
	ds_load_2addr_b32 v[100:101], v119 offset0:2 offset1:3
	ds_load_2addr_b32 v[102:103], v119 offset0:4 offset1:5
	;; [unrolled: 1-line block ×3, first 2 shown]
	s_wait_dscnt 0x3
	v_add_f32_e32 v98, v98, v99
	s_wait_dscnt 0x2
	s_delay_alu instid0(VALU_DEP_1) | instskip(NEXT) | instid1(VALU_DEP_1)
	v_add_f32_e32 v98, v98, v100
	v_add_f32_e32 v100, v98, v101
	ds_load_2addr_b32 v[98:99], v119 offset0:8 offset1:9
	s_wait_dscnt 0x2
	v_add_f32_e32 v100, v100, v102
	s_delay_alu instid0(VALU_DEP_1) | instskip(SKIP_3) | instid1(VALU_DEP_1)
	v_add_f32_e32 v102, v100, v103
	ds_load_2addr_b32 v[100:101], v119 offset0:10 offset1:11
	s_wait_dscnt 0x2
	v_add_f32_e32 v102, v102, v104
	v_add_f32_e32 v104, v102, v105
	ds_load_2addr_b32 v[102:103], v119 offset0:12 offset1:13
	ds_load_b32 v105, v119 offset:56
	s_wait_dscnt 0x3
	v_add_f32_e32 v98, v104, v98
	s_delay_alu instid0(VALU_DEP_1) | instskip(SKIP_3) | instid1(VALU_DEP_1)
	v_add_f32_e32 v98, v98, v99
	ds_load_b32 v99, v120
	s_wait_dscnt 0x3
	v_add_f32_e32 v98, v98, v100
	v_add_f32_e32 v98, v98, v101
	s_wait_dscnt 0x2
	s_delay_alu instid0(VALU_DEP_1) | instskip(NEXT) | instid1(VALU_DEP_1)
	v_add_f32_e32 v98, v98, v102
	v_add_f32_e32 v98, v98, v103
	s_wait_dscnt 0x1
	s_delay_alu instid0(VALU_DEP_1) | instskip(SKIP_1) | instid1(VALU_DEP_1)
	v_add_f32_e32 v98, v98, v105
	s_wait_dscnt 0x0
	v_dual_add_f32 v98, v98, v99 :: v_dual_add_nc_u32 v99, s64, v110
	global_store_b32 v99, v98, s[62:63] scale_offset
.LBB139_121:                            ;   in Loop: Header=BB139_71 Depth=2
	s_wait_xcnt 0x0
	s_or_b32 exec_lo, exec_lo, s65
	v_fmac_f32_e32 v139, v140, v0
	v_add_nc_u64_e32 v[64:65], s[54:55], v[64:65]
	v_add_nc_u64_e32 v[66:67], s[54:55], v[66:67]
	v_add_nc_u64_e32 v[68:69], s[54:55], v[68:69]
	v_add_nc_u64_e32 v[96:97], s[54:55], v[96:97]
	v_fmac_f32_e32 v139, v18, v1
	v_add_nc_u64_e32 v[70:71], s[54:55], v[70:71]
	v_add_nc_u64_e32 v[72:73], s[54:55], v[72:73]
	v_add_nc_u64_e32 v[74:75], s[54:55], v[74:75]
	v_add_nc_u64_e32 v[76:77], s[54:55], v[76:77]
	;; [unrolled: 5-line block ×4, first 2 shown]
	v_fmac_f32_e32 v139, v144, v4
	s_add_co_i32 s65, s73, 1
	s_add_co_i32 s73, s73, 2
	s_add_co_i32 s64, s64, 64
	s_cmp_ge_u32 s73, s28
	v_fmac_f32_e32 v139, v143, v5
	s_wait_storecnt 0x0
	s_barrier_signal -1
	s_barrier_wait -1
	s_delay_alu instid0(VALU_DEP_1) | instskip(NEXT) | instid1(VALU_DEP_1)
	v_fmac_f32_e32 v139, v146, v6
	v_fmac_f32_e32 v139, v145, v7
	s_delay_alu instid0(VALU_DEP_1) | instskip(NEXT) | instid1(VALU_DEP_1)
	v_fmac_f32_e32 v139, v148, v8
	v_fmac_f32_e32 v139, v147, v9
	;; [unrolled: 3-line block ×5, first 2 shown]
	s_cbranch_scc1 .LBB139_123
; %bb.122:                              ;   in Loop: Header=BB139_71 Depth=2
	s_mov_b32 s73, s65
	s_delay_alu instid0(SALU_CYCLE_1)
	s_cmp_eq_u32 s70, s73
	s_cselect_b32 s74, s68, 0
	s_and_saveexec_b32 s75, s0
	s_cbranch_execnz .LBB139_68
	s_branch .LBB139_71
.LBB139_123:                            ;   in Loop: Header=BB139_4 Depth=1
	ds_store_b32 v122, v139
	s_wait_dscnt 0x0
	s_barrier_signal -1
	s_barrier_wait -1
	s_and_saveexec_b32 s64, s71
	s_cbranch_execz .LBB139_2
; %bb.124:                              ;   in Loop: Header=BB139_4 Depth=1
	ds_load_2addr_b32 v[0:1], v20 offset1:67
	ds_load_2addr_b32 v[2:3], v20 offset0:134 offset1:201
	s_wait_dscnt 0x1
	v_add_f32_e32 v0, v0, v1
	s_wait_dscnt 0x0
	s_delay_alu instid0(VALU_DEP_1) | instskip(NEXT) | instid1(VALU_DEP_1)
	v_add_f32_e32 v0, v0, v2
	v_add_f32_e32 v2, v0, v3
	v_lshl_add_u64 v[0:1], v[24:25], 2, s[62:63]
	global_store_b32 v[0:1], v2, off
	s_branch .LBB139_2
.LBB139_125:                            ;   in Loop: Header=BB139_4 Depth=1
	ds_load_b32 v2, v125
	s_wait_dscnt 0x0
	ds_store_b32 v114, v2
	s_or_b32 exec_lo, exec_lo, s62
	s_and_saveexec_b32 s62, s7
	s_cbranch_execz .LBB139_26
.LBB139_126:                            ;   in Loop: Header=BB139_4 Depth=1
	ds_load_b32 v2, v126
	s_wait_dscnt 0x0
	ds_store_b32 v114, v2 offset:4
	s_or_b32 exec_lo, exec_lo, s62
	s_and_saveexec_b32 s62, s8
	s_cbranch_execz .LBB139_27
.LBB139_127:                            ;   in Loop: Header=BB139_4 Depth=1
	ds_load_b32 v2, v126 offset:132
	s_wait_dscnt 0x0
	ds_store_b32 v114, v2 offset:8
	s_or_b32 exec_lo, exec_lo, s62
	s_and_saveexec_b32 s62, s9
	s_cbranch_execnz .LBB139_28
	s_branch .LBB139_29
.LBB139_128:                            ;   in Loop: Header=BB139_4 Depth=1
	ds_load_b32 v2, v125
	s_wait_dscnt 0x0
	ds_store_b32 v114, v2
	s_or_b32 exec_lo, exec_lo, s62
	s_and_saveexec_b32 s62, s7
	s_cbranch_execz .LBB139_45
.LBB139_129:                            ;   in Loop: Header=BB139_4 Depth=1
	ds_load_b32 v2, v126
	s_wait_dscnt 0x0
	ds_store_b32 v114, v2 offset:4
	s_or_b32 exec_lo, exec_lo, s62
	s_and_saveexec_b32 s62, s8
	s_cbranch_execz .LBB139_46
.LBB139_130:                            ;   in Loop: Header=BB139_4 Depth=1
	ds_load_b32 v2, v126 offset:132
	s_wait_dscnt 0x0
	ds_store_b32 v114, v2 offset:8
	s_or_b32 exec_lo, exec_lo, s62
	s_and_saveexec_b32 s62, s9
	s_cbranch_execnz .LBB139_47
	s_branch .LBB139_48
.LBB139_131:
	s_sendmsg sendmsg(MSG_DEALLOC_VGPRS)
	s_endpgm
	.section	.rodata,"a",@progbits
	.p2align	6, 0x0
	.amdhsa_kernel _ZL26rocblas_hemvn_kernel_upperILb0ELi64ELi4ELi33ELi32ELi16ElfPKPKfPfEviT6_lT7_lT5_lS6_lS7_lS5_lT8_i
		.amdhsa_group_segment_fixed_size 4800
		.amdhsa_private_segment_fixed_size 0
		.amdhsa_kernarg_size 368
		.amdhsa_user_sgpr_count 2
		.amdhsa_user_sgpr_dispatch_ptr 0
		.amdhsa_user_sgpr_queue_ptr 0
		.amdhsa_user_sgpr_kernarg_segment_ptr 1
		.amdhsa_user_sgpr_dispatch_id 0
		.amdhsa_user_sgpr_kernarg_preload_length 0
		.amdhsa_user_sgpr_kernarg_preload_offset 0
		.amdhsa_user_sgpr_private_segment_size 0
		.amdhsa_wavefront_size32 1
		.amdhsa_uses_dynamic_stack 0
		.amdhsa_enable_private_segment 0
		.amdhsa_system_sgpr_workgroup_id_x 1
		.amdhsa_system_sgpr_workgroup_id_y 0
		.amdhsa_system_sgpr_workgroup_id_z 1
		.amdhsa_system_sgpr_workgroup_info 0
		.amdhsa_system_vgpr_workitem_id 1
		.amdhsa_next_free_vgpr 160
		.amdhsa_next_free_sgpr 80
		.amdhsa_named_barrier_count 0
		.amdhsa_reserve_vcc 1
		.amdhsa_float_round_mode_32 0
		.amdhsa_float_round_mode_16_64 0
		.amdhsa_float_denorm_mode_32 3
		.amdhsa_float_denorm_mode_16_64 3
		.amdhsa_fp16_overflow 0
		.amdhsa_memory_ordered 1
		.amdhsa_forward_progress 1
		.amdhsa_inst_pref_size 52
		.amdhsa_round_robin_scheduling 0
		.amdhsa_exception_fp_ieee_invalid_op 0
		.amdhsa_exception_fp_denorm_src 0
		.amdhsa_exception_fp_ieee_div_zero 0
		.amdhsa_exception_fp_ieee_overflow 0
		.amdhsa_exception_fp_ieee_underflow 0
		.amdhsa_exception_fp_ieee_inexact 0
		.amdhsa_exception_int_div_zero 0
	.end_amdhsa_kernel
	.section	.text._ZL26rocblas_hemvn_kernel_upperILb0ELi64ELi4ELi33ELi32ELi16ElfPKPKfPfEviT6_lT7_lT5_lS6_lS7_lS5_lT8_i,"axG",@progbits,_ZL26rocblas_hemvn_kernel_upperILb0ELi64ELi4ELi33ELi32ELi16ElfPKPKfPfEviT6_lT7_lT5_lS6_lS7_lS5_lT8_i,comdat
.Lfunc_end139:
	.size	_ZL26rocblas_hemvn_kernel_upperILb0ELi64ELi4ELi33ELi32ELi16ElfPKPKfPfEviT6_lT7_lT5_lS6_lS7_lS5_lT8_i, .Lfunc_end139-_ZL26rocblas_hemvn_kernel_upperILb0ELi64ELi4ELi33ELi32ELi16ElfPKPKfPfEviT6_lT7_lT5_lS6_lS7_lS5_lT8_i
                                        ; -- End function
	.set _ZL26rocblas_hemvn_kernel_upperILb0ELi64ELi4ELi33ELi32ELi16ElfPKPKfPfEviT6_lT7_lT5_lS6_lS7_lS5_lT8_i.num_vgpr, 160
	.set _ZL26rocblas_hemvn_kernel_upperILb0ELi64ELi4ELi33ELi32ELi16ElfPKPKfPfEviT6_lT7_lT5_lS6_lS7_lS5_lT8_i.num_agpr, 0
	.set _ZL26rocblas_hemvn_kernel_upperILb0ELi64ELi4ELi33ELi32ELi16ElfPKPKfPfEviT6_lT7_lT5_lS6_lS7_lS5_lT8_i.numbered_sgpr, 80
	.set _ZL26rocblas_hemvn_kernel_upperILb0ELi64ELi4ELi33ELi32ELi16ElfPKPKfPfEviT6_lT7_lT5_lS6_lS7_lS5_lT8_i.num_named_barrier, 0
	.set _ZL26rocblas_hemvn_kernel_upperILb0ELi64ELi4ELi33ELi32ELi16ElfPKPKfPfEviT6_lT7_lT5_lS6_lS7_lS5_lT8_i.private_seg_size, 0
	.set _ZL26rocblas_hemvn_kernel_upperILb0ELi64ELi4ELi33ELi32ELi16ElfPKPKfPfEviT6_lT7_lT5_lS6_lS7_lS5_lT8_i.uses_vcc, 1
	.set _ZL26rocblas_hemvn_kernel_upperILb0ELi64ELi4ELi33ELi32ELi16ElfPKPKfPfEviT6_lT7_lT5_lS6_lS7_lS5_lT8_i.uses_flat_scratch, 1
	.set _ZL26rocblas_hemvn_kernel_upperILb0ELi64ELi4ELi33ELi32ELi16ElfPKPKfPfEviT6_lT7_lT5_lS6_lS7_lS5_lT8_i.has_dyn_sized_stack, 0
	.set _ZL26rocblas_hemvn_kernel_upperILb0ELi64ELi4ELi33ELi32ELi16ElfPKPKfPfEviT6_lT7_lT5_lS6_lS7_lS5_lT8_i.has_recursion, 0
	.set _ZL26rocblas_hemvn_kernel_upperILb0ELi64ELi4ELi33ELi32ELi16ElfPKPKfPfEviT6_lT7_lT5_lS6_lS7_lS5_lT8_i.has_indirect_call, 0
	.section	.AMDGPU.csdata,"",@progbits
; Kernel info:
; codeLenInByte = 6632
; TotalNumSgprs: 82
; NumVgprs: 160
; ScratchSize: 0
; MemoryBound: 0
; FloatMode: 240
; IeeeMode: 1
; LDSByteSize: 4800 bytes/workgroup (compile time only)
; SGPRBlocks: 0
; VGPRBlocks: 9
; NumSGPRsForWavesPerEU: 82
; NumVGPRsForWavesPerEU: 160
; NamedBarCnt: 0
; Occupancy: 6
; WaveLimiterHint : 1
; COMPUTE_PGM_RSRC2:SCRATCH_EN: 0
; COMPUTE_PGM_RSRC2:USER_SGPR: 2
; COMPUTE_PGM_RSRC2:TRAP_HANDLER: 0
; COMPUTE_PGM_RSRC2:TGID_X_EN: 1
; COMPUTE_PGM_RSRC2:TGID_Y_EN: 0
; COMPUTE_PGM_RSRC2:TGID_Z_EN: 1
; COMPUTE_PGM_RSRC2:TIDIG_COMP_CNT: 1
	.section	.text._ZL36rocblas_hemvn_kernel_upper_block_sumILi64ElfPKPffEviT1_lS3_lT2_lT0_lPT3_i,"axG",@progbits,_ZL36rocblas_hemvn_kernel_upper_block_sumILi64ElfPKPffEviT1_lS3_lT2_lT0_lPT3_i,comdat
	.globl	_ZL36rocblas_hemvn_kernel_upper_block_sumILi64ElfPKPffEviT1_lS3_lT2_lT0_lPT3_i ; -- Begin function _ZL36rocblas_hemvn_kernel_upper_block_sumILi64ElfPKPffEviT1_lS3_lT2_lT0_lPT3_i
	.p2align	8
	.type	_ZL36rocblas_hemvn_kernel_upper_block_sumILi64ElfPKPffEviT1_lS3_lT2_lT0_lPT3_i,@function
_ZL36rocblas_hemvn_kernel_upper_block_sumILi64ElfPKPffEviT1_lS3_lT2_lT0_lPT3_i: ; @_ZL36rocblas_hemvn_kernel_upper_block_sumILi64ElfPKPffEviT1_lS3_lT2_lT0_lPT3_i
; %bb.0:
	s_load_b32 s3, s[0:1], 0x48
	s_bfe_u32 s2, ttmp6, 0x40014
	s_lshr_b32 s4, ttmp7, 16
	s_add_co_i32 s2, s2, 1
	s_bfe_u32 s6, ttmp6, 0x40008
	s_mul_i32 s5, s4, s2
	s_getreg_b32 s2, hwreg(HW_REG_IB_STS2, 6, 4)
	s_add_co_i32 s6, s6, s5
	s_cmp_eq_u32 s2, 0
	s_mov_b32 s5, 0
	s_cselect_b32 s4, s4, s6
	s_wait_kmcnt 0x0
	s_cmp_ge_u32 s4, s3
	s_cbranch_scc1 .LBB140_25
; %bb.1:
	s_clause 0x2
	s_load_b64 s[6:7], s[0:1], 0x0
	s_load_b32 s9, s[0:1], 0x10
	s_load_b128 s[24:27], s[0:1], 0x28
	s_wait_kmcnt 0x0
	s_cmp_eq_f32 s7, 0
	s_mov_b32 s14, s6
	s_cselect_b32 s18, -1, 0
	s_cmp_neq_f32 s7, 0
	s_cselect_b32 s8, -1, 0
	s_cmp_neq_f32 s9, 1.0
	s_cselect_b32 s10, -1, 0
	s_bfe_u32 s11, ttmp6, 0x4000c
	s_and_b32 s12, ttmp6, 15
	s_add_co_i32 s11, s11, 1
	s_or_b32 s19, s8, s10
	s_mul_i32 s11, ttmp9, s11
	s_mov_b32 s8, s7
	s_add_co_i32 s12, s12, s11
	s_cmp_eq_u32 s2, 0
	s_load_b64 s[10:11], s[0:1], 0x20
	s_cselect_b32 s22, ttmp9, s12
	s_load_b64 s[12:13], s[0:1], 0x40
	v_lshl_or_b32 v2, s22, 6, v0
	s_cmp_neq_f32 s9, 0
	s_wait_xcnt 0x0
	s_add_nc_u64 s[0:1], s[0:1], 0x50
	s_delay_alu instid0(VALU_DEP_1) | instskip(SKIP_3) | instid1(VALU_DEP_2)
	v_ashrrev_i32_e32 v3, 31, v2
	s_cselect_b32 s20, -1, 0
	s_cmp_eq_f32 s9, 0
	v_cmp_gt_i32_e64 s2, s6, v2
	v_mul_u64_e32 v[0:1], s[26:27], v[2:3]
	s_cselect_b32 s21, -1, 0
	s_ashr_i32 s15, s6, 31
	s_cmp_gt_i32 s22, -1
	s_cselect_b32 s6, -1, 0
	s_add_co_i32 s22, s22, 1
	s_wait_kmcnt 0x0
	v_lshl_add_u64 v[2:3], v[2:3], 2, s[12:13]
	s_lshl_b64 s[12:13], s[14:15], 2
	s_lshl_b64 s[14:15], s[24:25], 2
	s_branch .LBB140_4
.LBB140_2:                              ;   in Loop: Header=BB140_4 Depth=1
	s_wait_xcnt 0x0
	s_or_b32 exec_lo, exec_lo, s24
.LBB140_3:                              ;   in Loop: Header=BB140_4 Depth=1
	s_add_co_i32 s4, s4, 0x10000
	s_delay_alu instid0(SALU_CYCLE_1)
	s_cmp_lt_u32 s4, s3
	s_cbranch_scc0 .LBB140_25
.LBB140_4:                              ; =>This Loop Header: Depth=1
                                        ;     Child Loop BB140_16 Depth 2
	s_and_not1_b32 vcc_lo, exec_lo, s19
	s_cbranch_vccnz .LBB140_3
; %bb.5:                                ;   in Loop: Header=BB140_4 Depth=1
	s_lshl_b64 s[16:17], s[4:5], 3
	s_and_not1_b32 vcc_lo, exec_lo, s18
	s_add_nc_u64 s[16:17], s[10:11], s[16:17]
	s_load_b64 s[16:17], s[16:17], 0x0
	s_wait_kmcnt 0x0
	s_wait_xcnt 0x0
	s_add_nc_u64 s[16:17], s[16:17], s[14:15]
	s_cbranch_vccnz .LBB140_9
; %bb.6:                                ;   in Loop: Header=BB140_4 Depth=1
	s_mov_b32 s24, 0
	s_mov_b32 s23, 0
                                        ; implicit-def: $vgpr5
	s_and_saveexec_b32 s25, s2
	s_cbranch_execz .LBB140_10
; %bb.7:                                ;   in Loop: Header=BB140_4 Depth=1
	s_and_not1_b32 vcc_lo, exec_lo, s20
	s_cbranch_vccnz .LBB140_11
; %bb.8:                                ;   in Loop: Header=BB140_4 Depth=1
	s_delay_alu instid0(VALU_DEP_2)
	v_lshl_add_u64 v[4:5], v[0:1], 2, s[16:17]
	flat_load_b32 v4, v[4:5]
	s_wait_loadcnt_dscnt 0x0
	s_wait_xcnt 0x0
	v_mul_f32_e32 v5, s9, v4
	s_branch .LBB140_12
.LBB140_9:                              ;   in Loop: Header=BB140_4 Depth=1
	s_mov_b32 s23, 0
                                        ; implicit-def: $vgpr5
	s_cbranch_execnz .LBB140_13
	s_branch .LBB140_23
.LBB140_10:                             ;   in Loop: Header=BB140_4 Depth=1
	s_or_b32 exec_lo, exec_lo, s25
	s_delay_alu instid0(SALU_CYCLE_1)
	s_and_b32 vcc_lo, exec_lo, s24
	s_cbranch_vccnz .LBB140_13
	s_branch .LBB140_23
.LBB140_11:                             ;   in Loop: Header=BB140_4 Depth=1
	v_mov_b32_e32 v5, 0
.LBB140_12:                             ;   in Loop: Header=BB140_4 Depth=1
	s_mov_b32 s23, exec_lo
	s_or_b32 exec_lo, exec_lo, s25
	s_delay_alu instid0(SALU_CYCLE_1)
	s_and_b32 vcc_lo, exec_lo, s24
	s_cbranch_vccz .LBB140_23
.LBB140_13:                             ;   in Loop: Header=BB140_4 Depth=1
                                        ; implicit-def: $vgpr5
	s_and_saveexec_b32 s24, s2
	s_cbranch_execz .LBB140_22
; %bb.14:                               ;   in Loop: Header=BB140_4 Depth=1
	v_mov_b32_e32 v4, 0
	s_and_not1_b32 vcc_lo, exec_lo, s6
	s_cbranch_vccnz .LBB140_17
; %bb.15:                               ;   in Loop: Header=BB140_4 Depth=1
	s_load_b32 s26, s[0:1], 0x0
	s_mov_b32 s27, s5
	v_mov_b32_e32 v4, 0
	s_mov_b32 s25, s22
	s_wait_kmcnt 0x0
	s_mul_u64 s[26:27], s[12:13], s[26:27]
	s_delay_alu instid0(SALU_CYCLE_1) | instskip(NEXT) | instid1(VALU_DEP_1)
	v_mad_nc_u64_u32 v[6:7], s26, s4, v[2:3]
	v_mad_u32 v7, s27, s4, v7
.LBB140_16:                             ;   Parent Loop BB140_4 Depth=1
                                        ; =>  This Inner Loop Header: Depth=2
	global_load_b32 v5, v[6:7], off
	s_wait_xcnt 0x0
	v_add_nc_u64_e32 v[6:7], s[12:13], v[6:7]
	s_add_co_i32 s25, s25, -1
	s_delay_alu instid0(SALU_CYCLE_1)
	s_cmp_eq_u32 s25, 0
	s_wait_loadcnt 0x0
	v_add_f32_e32 v4, v4, v5
	s_cbranch_scc0 .LBB140_16
.LBB140_17:                             ;   in Loop: Header=BB140_4 Depth=1
	s_and_b32 vcc_lo, exec_lo, s21
	s_mov_b32 s25, -1
                                        ; implicit-def: $vgpr5
	s_cbranch_vccz .LBB140_19
; %bb.18:                               ;   in Loop: Header=BB140_4 Depth=1
	v_mul_f32_e32 v5, s7, v4
	s_mov_b32 s25, 0
.LBB140_19:                             ;   in Loop: Header=BB140_4 Depth=1
	s_delay_alu instid0(SALU_CYCLE_1)
	s_and_not1_b32 vcc_lo, exec_lo, s25
	s_cbranch_vccnz .LBB140_21
; %bb.20:                               ;   in Loop: Header=BB140_4 Depth=1
	v_lshl_add_u64 v[6:7], v[0:1], 2, s[16:17]
	flat_load_b32 v5, v[6:7]
	s_wait_xcnt 0x0
	v_mov_b64_e32 v[6:7], s[8:9]
	s_wait_loadcnt_dscnt 0x0
	s_delay_alu instid0(VALU_DEP_1) | instskip(NEXT) | instid1(VALU_DEP_1)
	v_pk_mul_f32 v[4:5], v[6:7], v[4:5]
	v_add_f32_e32 v5, v4, v5
.LBB140_21:                             ;   in Loop: Header=BB140_4 Depth=1
	s_or_b32 s23, s23, exec_lo
.LBB140_22:                             ;   in Loop: Header=BB140_4 Depth=1
	s_or_b32 exec_lo, exec_lo, s24
.LBB140_23:                             ;   in Loop: Header=BB140_4 Depth=1
	s_and_saveexec_b32 s24, s23
	s_cbranch_execz .LBB140_2
; %bb.24:                               ;   in Loop: Header=BB140_4 Depth=1
	s_delay_alu instid0(VALU_DEP_2)
	v_lshl_add_u64 v[6:7], v[0:1], 2, s[16:17]
	flat_store_b32 v[6:7], v5
	s_branch .LBB140_2
.LBB140_25:
	s_endpgm
	.section	.rodata,"a",@progbits
	.p2align	6, 0x0
	.amdhsa_kernel _ZL36rocblas_hemvn_kernel_upper_block_sumILi64ElfPKPffEviT1_lS3_lT2_lT0_lPT3_i
		.amdhsa_group_segment_fixed_size 0
		.amdhsa_private_segment_fixed_size 0
		.amdhsa_kernarg_size 336
		.amdhsa_user_sgpr_count 2
		.amdhsa_user_sgpr_dispatch_ptr 0
		.amdhsa_user_sgpr_queue_ptr 0
		.amdhsa_user_sgpr_kernarg_segment_ptr 1
		.amdhsa_user_sgpr_dispatch_id 0
		.amdhsa_user_sgpr_kernarg_preload_length 0
		.amdhsa_user_sgpr_kernarg_preload_offset 0
		.amdhsa_user_sgpr_private_segment_size 0
		.amdhsa_wavefront_size32 1
		.amdhsa_uses_dynamic_stack 0
		.amdhsa_enable_private_segment 0
		.amdhsa_system_sgpr_workgroup_id_x 1
		.amdhsa_system_sgpr_workgroup_id_y 0
		.amdhsa_system_sgpr_workgroup_id_z 1
		.amdhsa_system_sgpr_workgroup_info 0
		.amdhsa_system_vgpr_workitem_id 0
		.amdhsa_next_free_vgpr 8
		.amdhsa_next_free_sgpr 28
		.amdhsa_named_barrier_count 0
		.amdhsa_reserve_vcc 1
		.amdhsa_float_round_mode_32 0
		.amdhsa_float_round_mode_16_64 0
		.amdhsa_float_denorm_mode_32 3
		.amdhsa_float_denorm_mode_16_64 3
		.amdhsa_fp16_overflow 0
		.amdhsa_memory_ordered 1
		.amdhsa_forward_progress 1
		.amdhsa_inst_pref_size 6
		.amdhsa_round_robin_scheduling 0
		.amdhsa_exception_fp_ieee_invalid_op 0
		.amdhsa_exception_fp_denorm_src 0
		.amdhsa_exception_fp_ieee_div_zero 0
		.amdhsa_exception_fp_ieee_overflow 0
		.amdhsa_exception_fp_ieee_underflow 0
		.amdhsa_exception_fp_ieee_inexact 0
		.amdhsa_exception_int_div_zero 0
	.end_amdhsa_kernel
	.section	.text._ZL36rocblas_hemvn_kernel_upper_block_sumILi64ElfPKPffEviT1_lS3_lT2_lT0_lPT3_i,"axG",@progbits,_ZL36rocblas_hemvn_kernel_upper_block_sumILi64ElfPKPffEviT1_lS3_lT2_lT0_lPT3_i,comdat
.Lfunc_end140:
	.size	_ZL36rocblas_hemvn_kernel_upper_block_sumILi64ElfPKPffEviT1_lS3_lT2_lT0_lPT3_i, .Lfunc_end140-_ZL36rocblas_hemvn_kernel_upper_block_sumILi64ElfPKPffEviT1_lS3_lT2_lT0_lPT3_i
                                        ; -- End function
	.set _ZL36rocblas_hemvn_kernel_upper_block_sumILi64ElfPKPffEviT1_lS3_lT2_lT0_lPT3_i.num_vgpr, 8
	.set _ZL36rocblas_hemvn_kernel_upper_block_sumILi64ElfPKPffEviT1_lS3_lT2_lT0_lPT3_i.num_agpr, 0
	.set _ZL36rocblas_hemvn_kernel_upper_block_sumILi64ElfPKPffEviT1_lS3_lT2_lT0_lPT3_i.numbered_sgpr, 28
	.set _ZL36rocblas_hemvn_kernel_upper_block_sumILi64ElfPKPffEviT1_lS3_lT2_lT0_lPT3_i.num_named_barrier, 0
	.set _ZL36rocblas_hemvn_kernel_upper_block_sumILi64ElfPKPffEviT1_lS3_lT2_lT0_lPT3_i.private_seg_size, 0
	.set _ZL36rocblas_hemvn_kernel_upper_block_sumILi64ElfPKPffEviT1_lS3_lT2_lT0_lPT3_i.uses_vcc, 1
	.set _ZL36rocblas_hemvn_kernel_upper_block_sumILi64ElfPKPffEviT1_lS3_lT2_lT0_lPT3_i.uses_flat_scratch, 0
	.set _ZL36rocblas_hemvn_kernel_upper_block_sumILi64ElfPKPffEviT1_lS3_lT2_lT0_lPT3_i.has_dyn_sized_stack, 0
	.set _ZL36rocblas_hemvn_kernel_upper_block_sumILi64ElfPKPffEviT1_lS3_lT2_lT0_lPT3_i.has_recursion, 0
	.set _ZL36rocblas_hemvn_kernel_upper_block_sumILi64ElfPKPffEviT1_lS3_lT2_lT0_lPT3_i.has_indirect_call, 0
	.section	.AMDGPU.csdata,"",@progbits
; Kernel info:
; codeLenInByte = 712
; TotalNumSgprs: 30
; NumVgprs: 8
; ScratchSize: 0
; MemoryBound: 0
; FloatMode: 240
; IeeeMode: 1
; LDSByteSize: 0 bytes/workgroup (compile time only)
; SGPRBlocks: 0
; VGPRBlocks: 0
; NumSGPRsForWavesPerEU: 30
; NumVGPRsForWavesPerEU: 8
; NamedBarCnt: 0
; Occupancy: 16
; WaveLimiterHint : 1
; COMPUTE_PGM_RSRC2:SCRATCH_EN: 0
; COMPUTE_PGM_RSRC2:USER_SGPR: 2
; COMPUTE_PGM_RSRC2:TRAP_HANDLER: 0
; COMPUTE_PGM_RSRC2:TGID_X_EN: 1
; COMPUTE_PGM_RSRC2:TGID_Y_EN: 0
; COMPUTE_PGM_RSRC2:TGID_Z_EN: 1
; COMPUTE_PGM_RSRC2:TIDIG_COMP_CNT: 0
	.section	.text._ZL26rocblas_hemvn_kernel_upperILb0ELi64ELi4ELi33ELi32ELi16EifPKPKfPfEviT6_lT7_lT5_lS6_lS7_lS5_lT8_i,"axG",@progbits,_ZL26rocblas_hemvn_kernel_upperILb0ELi64ELi4ELi33ELi32ELi16EifPKPKfPfEviT6_lT7_lT5_lS6_lS7_lS5_lT8_i,comdat
	.globl	_ZL26rocblas_hemvn_kernel_upperILb0ELi64ELi4ELi33ELi32ELi16EifPKPKfPfEviT6_lT7_lT5_lS6_lS7_lS5_lT8_i ; -- Begin function _ZL26rocblas_hemvn_kernel_upperILb0ELi64ELi4ELi33ELi32ELi16EifPKPKfPfEviT6_lT7_lT5_lS6_lS7_lS5_lT8_i
	.p2align	8
	.type	_ZL26rocblas_hemvn_kernel_upperILb0ELi64ELi4ELi33ELi32ELi16EifPKPKfPfEviT6_lT7_lT5_lS6_lS7_lS5_lT8_i,@function
_ZL26rocblas_hemvn_kernel_upperILb0ELi64ELi4ELi33ELi32ELi16EifPKPKfPfEviT6_lT7_lT5_lS6_lS7_lS5_lT8_i: ; @_ZL26rocblas_hemvn_kernel_upperILb0ELi64ELi4ELi33ELi32ELi16EifPKPKfPfEviT6_lT7_lT5_lS6_lS7_lS5_lT8_i
; %bb.0:
	s_clause 0x1
	s_load_b64 s[2:3], s[0:1], 0x7c
	s_load_b32 s33, s[0:1], 0x68
	s_bfe_u32 s4, ttmp6, 0x40014
	s_lshr_b32 s5, ttmp7, 16
	s_add_co_i32 s4, s4, 1
	s_bfe_u32 s7, ttmp6, 0x40008
	s_mul_i32 s4, s5, s4
	s_getreg_b32 s6, hwreg(HW_REG_IB_STS2, 6, 4)
	s_add_co_i32 s7, s7, s4
	s_mov_b32 s19, 0
	s_wait_kmcnt 0x0
	s_lshr_b32 s4, s2, 16
	s_and_b32 s2, s2, 0xffff
	s_and_b32 s3, s3, 0xffff
	s_mul_i32 s2, s4, s2
	s_cmp_eq_u32 s6, 0
	s_mul_i32 s2, s2, s3
	s_cselect_b32 s18, s5, s7
	s_cmp_lg_u32 s2, 0x100
	s_cselect_b32 s2, -1, 0
	s_cmp_ge_u32 s18, s33
	s_cselect_b32 s3, -1, 0
	s_delay_alu instid0(SALU_CYCLE_1) | instskip(NEXT) | instid1(SALU_CYCLE_1)
	s_or_b32 s2, s2, s3
	s_and_b32 vcc_lo, exec_lo, s2
	s_cbranch_vccnz .LBB141_131
; %bb.1:
	s_clause 0x5
	s_load_b32 s72, s[0:1], 0x20
	s_load_b64 s[2:3], s[0:1], 0x0
	s_load_b128 s[20:23], s[0:1], 0x10
	s_load_b128 s[24:27], s[0:1], 0x30
	s_load_b32 s56, s[0:1], 0x40
	s_load_b32 s7, s[0:1], 0x50
	s_bfe_u32 s10, ttmp6, 0x4000c
	s_add_nc_u64 s[8:9], s[0:1], 0x70
	s_add_co_i32 s10, s10, 1
	s_load_b64 s[4:5], s[0:1], 0x60
	s_wait_xcnt 0x0
	s_and_b32 s0, ttmp6, 15
	s_mul_i32 s1, ttmp9, s10
	v_and_b32_e32 v112, 0x3ff, v0
	s_add_co_i32 s0, s0, s1
	s_load_b32 s28, s[8:9], 0x0
	v_bfe_u32 v1, v0, 10, 10
	v_dual_mov_b32 v19, 0 :: v_dual_bitop2_b32 v16, 31, v0 bitop3:0x40
	s_mov_b32 s29, s19
	s_delay_alu instid0(VALU_DEP_2) | instskip(SKIP_1) | instid1(VALU_DEP_3)
	v_lshl_add_u32 v4, v1, 6, v112
	v_lshl_add_u32 v124, v1, 4, 0x10c0
	v_mul_u32_u24_e32 v13, 33, v16
	s_wait_kmcnt 0x0
	s_ashr_i32 s73, s72, 31
	s_cmp_eq_u32 s6, 0
	s_mul_i32 s46, s72, 24
	s_cselect_b32 s30, ttmp9, s0
	s_cmp_eq_f32 s3, 0
	v_cmp_eq_u32_e64 s0, 0, v1
	v_cmp_gt_u32_e64 s10, 32, v4
	v_cmp_gt_u32_e64 s17, 64, v4
	s_cselect_b32 s92, -1, 0
	s_cmp_neq_f32 s3, 0
	s_mul_i32 s64, s72, 3
	s_mul_u64 s[78:79], s[72:73], 12
	v_mov_b32_e32 v17, v19
	s_cselect_b32 s1, -1, 0
	s_cmp_neq_f32 s7, 1.0
	v_lshlrev_b32_e32 v121, 2, v1
	s_delay_alu instid0(VALU_DEP_2) | instskip(SKIP_2) | instid1(SALU_CYCLE_1)
	v_sub_nc_u64_e32 v[42:43], 0, v[16:17]
	s_cselect_b32 s6, -1, 0
	s_lshl_b32 s84, s30, 6
	v_dual_lshlrev_b32 v113, 2, v112 :: v_dual_add_nc_u32 v20, s84, v112
	s_ashr_i32 s3, s2, 31
	s_add_co_i32 s8, s28, -1
	s_lshr_b32 s7, s3, 26
	s_or_b32 s93, s1, s6
	v_mul_lo_u32 v22, s56, v20
	v_lshrrev_b32_e32 v3, 5, v4
	s_add_co_i32 s7, s2, s7
	s_mul_u64 s[36:37], s[28:29], s[2:3]
	s_and_not1_b32 s7, s7, 63
	v_mad_u32_u24 v125, 0x430, v1, v113
	s_sub_co_i32 s94, s2, s7
	s_cmp_eq_u32 s30, s8
	v_mad_u32_u24 v140, 0x10c, v1, v113
	s_cselect_b32 s34, s94, 0
	s_mul_i32 s40, s72, s84
	v_ashrrev_i32_e32 v23, 31, v22
	v_mad_u32 v24, s72, v3, v16
	s_cmp_lg_u32 s34, 0
	v_lshlrev_b32_e32 v8, 4, v3
	s_cselect_b32 s29, -1, 0
	s_cmp_eq_u32 s34, 0
	v_dual_lshlrev_b32 v115, 2, v16 :: v_dual_add_nc_u32 v5, 16, v3
	s_cselect_b32 s1, -1, 0
	s_ashr_i32 s31, s30, 31
	v_add_nc_u32_e32 v2, 8, v3
	s_mul_u64 s[2:3], s[2:3], s[30:31]
	s_delay_alu instid0(VALU_DEP_4)
	v_ashrrev_i32_e32 v25, 31, v24
	s_lshl_b64 s[2:3], s[2:3], 2
	s_sub_co_i32 s15, s34, 32
	s_add_nc_u64 s[38:39], s[4:5], s[2:3]
	v_cmp_gt_i32_e64 s3, s34, v2
	v_cmp_gt_i32_e64 s13, s15, v2
	v_mad_u32 v2, s72, v121, v112
	v_cmp_gt_i32_e64 s4, s34, v5
	v_dual_add_nc_u32 v6, 24, v3 :: v_dual_lshlrev_b32 v7, 2, v3
	v_cmp_gt_i32_e64 s14, s15, v5
	v_and_b32_e32 v5, 15, v0
	v_dual_add_nc_u32 v133, 17, v121 :: v_dual_bitop2_b32 v0, 48, v0 bitop3:0x40
	v_cmp_gt_i32_e64 s2, s34, v3
	v_mul_u32_u24_e32 v116, 0x84, v3
	v_mul_u32_u24_e32 v9, 0x210, v3
	v_or_b32_e32 v11, 2, v7
	v_cmp_gt_i32_e64 s12, s15, v3
	v_cmp_eq_u32_e64 s16, 1, v3
	v_mul_i32_i24_e32 v122, -12, v3
	v_dual_ashrrev_i32 v3, 31, v2 :: v_dual_lshlrev_b32 v0, 2, v0
	s_lshl_b32 s48, s72, 5
	s_lshl_b32 s44, s72, 4
	s_ashr_i32 s49, s48, 31
	v_cmp_gt_i32_e64 s5, s34, v6
	v_mad_u32_u24 v127, 0x10c, v5, v0
	v_add_nc_u64_e32 v[0:1], s[48:49], v[2:3]
	v_or_b32_e32 v12, 3, v7
	v_cmp_gt_i32_e64 s15, s15, v6
	v_lshrrev_b32_e32 v6, 2, v4
	s_ashr_i32 s45, s44, 31
	v_lshl_or_b32 v117, v16, 7, v115
	s_add_nc_u64 s[82:83], s[72:73], s[44:45]
	v_lshlrev_b64_e32 v[0:1], 2, v[0:1]
	v_and_b32_e32 v6, 0x1ffc, v6
	v_cmp_gt_i32_e32 vcc_lo, s34, v112
	s_add_nc_u64 s[62:63], s[48:49], s[44:45]
	v_dual_add_nc_u32 v118, v117, v8 :: v_dual_bitop2_b32 v10, 1, v7 bitop3:0x54
	v_cmp_gt_u32_e64 s8, v11, v16
	v_mad_nc_u64_u32 v[34:35], s82, 12, v[0:1]
	v_add_nc_u32_e32 v119, 0x11c0, v8
	v_dual_add_nc_u32 v132, 16, v121 :: v_dual_bitop2_b32 v8, 32, v16 bitop3:0x54
	v_dual_ashrrev_i32 v21, 31, v20 :: v_dual_bitop2_b32 v11, 60, v113 bitop3:0x54
	s_lshl_b32 s42, s72, 3
	v_cmp_gt_u32_e64 s6, v7, v16
	v_cmp_ge_u32_e64 s7, v7, v16
	v_lshl_add_u32 v120, v13, 2, v7
	s_mul_i32 s50, s56, s84
	v_mad_u32_u24 v126, 0x10c, v5, v6
	v_dual_add_nc_u32 v139, 35, v121 :: v_dual_add_nc_u32 v141, v117, v7
	v_add_nc_u32_e32 v142, 0x11c0, v7
	v_lshlrev_b64_e32 v[6:7], 2, v[2:3]
	v_add_nc_u64_e32 v[2:3], s[62:63], v[2:3]
	v_mad_nc_i64_i32 v[40:41], s44, 12, v[0:1]
	s_add_co_i32 s57, s30, 1
	s_ashr_i32 s85, s84, 31
	s_or_b32 s31, s1, vcc_lo
	s_ashr_i32 s41, s40, 31
	s_ashr_i32 s35, s34, 31
	;; [unrolled: 1-line block ×5, first 2 shown]
	s_cmp_lt_u32 s57, s28
	v_cmp_gt_u32_e64 s9, v12, v16
	v_cmp_gt_i32_e64 s11, s34, v8
	v_mul_u32_u24_e32 v8, 0x10c, v5
	v_and_b32_e32 v12, 0x7ff0, v4
	v_mad_u32_u24 v128, 0x10c, v5, v11
	v_lshlrev_b64_e32 v[4:5], 2, v[24:25]
	s_cselect_b32 s95, -1, 0
	s_lshl_b32 s60, s72, 1
	s_lshl_b64 s[80:81], s[44:45], 3
	v_add_nc_u32_e32 v114, 0x11c0, v113
	s_ashr_i32 s61, s60, 31
	s_ashr_i32 s65, s64, 31
	s_lshl_b64 s[54:55], s[72:73], 5
	s_lshl_b64 s[86:87], s[72:73], 2
	;; [unrolled: 1-line block ×3, first 2 shown]
	v_add_nc_u64_e32 v[30:31], s[78:79], v[0:1]
	v_lshl_add_u64 v[32:33], v[2:3], 2, s[78:79]
	s_add_nc_u64 s[72:73], s[78:79], s[80:81]
	s_mul_u64 s[78:79], s[44:45], 12
	v_mad_u32 v35, s83, 12, v35
	v_mul_u32_u24_e32 v10, 0x84, v10
	s_lshl_b64 s[88:89], s[60:61], 2
	s_lshl_b64 s[90:91], s[64:65], 2
	s_add_nc_u64 s[100:101], s[78:79], s[74:75]
	s_lshl_b32 s97, s56, 6
	s_mul_i32 s56, s56, s57
	s_lshl_b64 s[76:77], s[48:49], 2
	v_sub_nc_u64_e32 v[26:27], 0, v[4:5]
	v_sub_nc_u64_e32 v[28:29], v[6:7], v[4:5]
	v_add_nc_u64_e32 v[36:37], s[72:73], v[0:1]
	v_add_nc_u64_e32 v[38:39], s[100:101], v[0:1]
	v_add_nc_u64_e32 v[44:45], s[86:87], v[40:41]
	v_add_nc_u64_e32 v[46:47], s[88:89], v[40:41]
	v_add_nc_u64_e32 v[48:49], s[90:91], v[40:41]
	s_lshl_b32 s99, s56, 6
	s_add_nc_u64 s[56:57], s[74:75], s[76:77]
	s_add_nc_u64 s[60:61], s[86:87], s[76:77]
	s_lshl_b64 s[70:71], s[44:45], 2
	v_cmp_gt_i32_e64 s1, s34, v16
	v_add_nc_u32_e32 v123, 0x10c0, v113
	v_dual_add_nc_u32 v134, 18, v121 :: v_dual_bitop2_b32 v129, 1, v121 bitop3:0x54
	v_dual_add_nc_u32 v135, 19, v121 :: v_dual_bitop2_b32 v130, 2, v121 bitop3:0x54
	;; [unrolled: 1-line block ×3, first 2 shown]
	v_dual_add_nc_u32 v137, 33, v121 :: v_dual_add_nc_u32 v138, 34, v121
	v_dual_add_nc_u32 v143, v8, v12 :: v_dual_add_nc_u32 v144, v115, v9
	;; [unrolled: 1-line block ×5, first 2 shown]
	s_add_nc_u64 s[62:63], s[76:77], s[88:89]
	s_add_nc_u64 s[64:65], s[76:77], s[90:91]
	;; [unrolled: 1-line block ×6, first 2 shown]
	s_sub_nc_u64 s[50:51], 0, s[50:51]
	s_add_co_i32 s96, s28, -2
	s_and_b32 s98, s0, s31
	s_sub_nc_u64 s[52:53], 0, s[34:35]
	s_lshl_b64 s[58:59], s[44:45], 4
	s_add_nc_u64 s[72:73], s[70:71], s[88:89]
	s_add_nc_u64 s[74:75], s[70:71], s[90:91]
	;; [unrolled: 1-line block ×5, first 2 shown]
	s_lshl_b64 s[84:85], s[84:85], 2
	s_add_nc_u64 s[86:87], s[76:77], s[90:91]
	s_lshl_b64 s[26:27], s[26:27], 2
	s_lshl_b64 s[22:23], s[22:23], 2
	s_branch .LBB141_4
.LBB141_2:                              ;   in Loop: Header=BB141_4 Depth=1
	s_wait_xcnt 0x0
	s_or_b32 exec_lo, exec_lo, s90
.LBB141_3:                              ;   in Loop: Header=BB141_4 Depth=1
	s_add_co_i32 s18, s18, 0x10000
	s_delay_alu instid0(SALU_CYCLE_1)
	s_cmp_lt_u32 s18, s33
	s_cbranch_scc0 .LBB141_131
.LBB141_4:                              ; =>This Loop Header: Depth=1
                                        ;     Child Loop BB141_71 Depth 2
	s_and_not1_b32 vcc_lo, exec_lo, s93
	s_cbranch_vccnz .LBB141_3
; %bb.5:                                ;   in Loop: Header=BB141_4 Depth=1
	s_and_b32 vcc_lo, exec_lo, s92
	s_cbranch_vccz .LBB141_7
; %bb.6:                                ;   in Loop: Header=BB141_4 Depth=1
	s_cbranch_execnz .LBB141_3
	s_branch .LBB141_8
.LBB141_7:                              ;   in Loop: Header=BB141_4 Depth=1
.LBB141_8:                              ;   in Loop: Header=BB141_4 Depth=1
	v_mov_b32_e32 v0, s18
	s_clause 0x1
	global_load_b64 v[2:3], v0, s[24:25] scale_offset
	global_load_b64 v[0:1], v0, s[20:21] scale_offset
	s_wait_loadcnt 0x1
	v_add_nc_u64_e32 v[2:3], s[26:27], v[2:3]
	s_delay_alu instid0(VALU_DEP_1)
	v_lshl_add_u64 v[4:5], v[22:23], 2, v[2:3]
	s_wait_xcnt 0x0
	s_and_saveexec_b32 s88, s0
	s_cbranch_execz .LBB141_12
; %bb.9:                                ;   in Loop: Header=BB141_4 Depth=1
	v_mov_b32_e32 v2, 0
	s_and_saveexec_b32 s89, s31
	s_cbranch_execz .LBB141_11
; %bb.10:                               ;   in Loop: Header=BB141_4 Depth=1
	flat_load_b32 v2, v[4:5]
.LBB141_11:                             ;   in Loop: Header=BB141_4 Depth=1
	s_wait_xcnt 0x0
	s_or_b32 exec_lo, exec_lo, s89
	s_wait_loadcnt_dscnt 0x0
	ds_store_b32 v114, v2
.LBB141_12:                             ;   in Loop: Header=BB141_4 Depth=1
	s_or_b32 exec_lo, exec_lo, s88
	s_wait_loadcnt 0x0
	v_add_nc_u64_e32 v[0:1], s[22:23], v[0:1]
	s_and_b32 vcc_lo, exec_lo, s29
	s_mov_b32 s88, -1
	s_delay_alu instid0(VALU_DEP_1) | instskip(NEXT) | instid1(VALU_DEP_1)
	v_add_nc_u64_e32 v[0:1], s[84:85], v[0:1]
	v_lshl_add_u64 v[0:1], v[24:25], 2, v[0:1]
	s_delay_alu instid0(VALU_DEP_1)
	v_lshl_add_u64 v[2:3], s[40:41], 2, v[0:1]
                                        ; implicit-def: $vgpr0_vgpr1
	s_cbranch_vccz .LBB141_22
; %bb.13:                               ;   in Loop: Header=BB141_4 Depth=1
	s_delay_alu instid0(VALU_DEP_1) | instskip(SKIP_1) | instid1(VALU_DEP_2)
	v_lshl_add_u64 v[0:1], v[42:43], 2, v[2:3]
	v_mov_b32_e32 v7, 0
	v_lshl_add_u64 v[0:1], s[34:35], 2, v[0:1]
	s_delay_alu instid0(VALU_DEP_1) | instskip(NEXT) | instid1(VALU_DEP_1)
	v_add_nc_u64_e32 v[0:1], -4, v[0:1]
	v_dual_mov_b32 v8, 0 :: v_dual_cndmask_b32 v1, v1, v3, s1
	s_delay_alu instid0(VALU_DEP_2)
	v_cndmask_b32_e64 v0, v0, v2, s1
	s_and_saveexec_b32 s88, s2
	s_cbranch_execz .LBB141_15
; %bb.14:                               ;   in Loop: Header=BB141_4 Depth=1
	flat_load_b32 v7, v[0:1]
.LBB141_15:                             ;   in Loop: Header=BB141_4 Depth=1
	s_wait_xcnt 0x0
	s_or_b32 exec_lo, exec_lo, s88
	v_add_nc_u32_e32 v6, v115, v116
	s_wait_loadcnt_dscnt 0x0
	ds_store_b32 v6, v7
	s_and_saveexec_b32 s88, s3
	s_cbranch_execz .LBB141_17
; %bb.16:                               ;   in Loop: Header=BB141_4 Depth=1
	v_lshl_add_u64 v[8:9], s[42:43], 2, v[0:1]
	flat_load_b32 v8, v[8:9]
.LBB141_17:                             ;   in Loop: Header=BB141_4 Depth=1
	s_wait_xcnt 0x0
	s_or_b32 exec_lo, exec_lo, s88
	v_dual_mov_b32 v7, 0 :: v_dual_mov_b32 v9, 0
	s_wait_loadcnt_dscnt 0x0
	ds_store_b32 v6, v8 offset:1056
	s_and_saveexec_b32 s88, s4
	s_cbranch_execz .LBB141_19
; %bb.18:                               ;   in Loop: Header=BB141_4 Depth=1
	v_lshl_add_u64 v[8:9], s[44:45], 2, v[0:1]
	flat_load_b32 v9, v[8:9]
.LBB141_19:                             ;   in Loop: Header=BB141_4 Depth=1
	s_wait_xcnt 0x0
	s_or_b32 exec_lo, exec_lo, s88
	s_wait_loadcnt_dscnt 0x0
	ds_store_b32 v6, v9 offset:2112
	s_and_saveexec_b32 s88, s5
	s_cbranch_execz .LBB141_21
; %bb.20:                               ;   in Loop: Header=BB141_4 Depth=1
	v_lshl_add_u64 v[8:9], s[46:47], 2, v[0:1]
	flat_load_b32 v7, v[8:9]
.LBB141_21:                             ;   in Loop: Header=BB141_4 Depth=1
	s_wait_xcnt 0x0
	s_or_b32 exec_lo, exec_lo, s88
	v_lshlrev_b32_e32 v18, 2, v16
	s_mov_b32 s88, 0
	s_wait_loadcnt_dscnt 0x0
	ds_store_b32 v6, v7 offset:3168
	v_add_nc_u64_e32 v[0:1], v[0:1], v[18:19]
	s_delay_alu instid0(VALU_DEP_1) | instskip(NEXT) | instid1(VALU_DEP_1)
	v_lshl_add_u64 v[0:1], s[52:53], 2, v[0:1]
	v_add_nc_u64_e32 v[0:1], 4, v[0:1]
	s_delay_alu instid0(VALU_DEP_1)
	v_dual_cndmask_b32 v1, v1, v3, s1 :: v_dual_cndmask_b32 v0, v0, v2, s1
.LBB141_22:                             ;   in Loop: Header=BB141_4 Depth=1
	v_add_nc_u32_e32 v8, v115, v116
	s_and_b32 vcc_lo, exec_lo, s88
	s_cbranch_vccz .LBB141_24
; %bb.23:                               ;   in Loop: Header=BB141_4 Depth=1
	v_lshl_add_u64 v[0:1], s[42:43], 2, v[2:3]
	s_delay_alu instid0(VALU_DEP_1) | instskip(NEXT) | instid1(VALU_DEP_1)
	v_add_nc_u64_e32 v[6:7], s[54:55], v[0:1]
	v_add_nc_u64_e32 v[10:11], s[54:55], v[6:7]
	s_clause 0x3
	flat_load_b32 v9, v[2:3]
	flat_load_b32 v12, v[0:1]
	;; [unrolled: 1-line block ×4, first 2 shown]
	v_mov_b64_e32 v[0:1], v[2:3]
	s_wait_loadcnt_dscnt 0x303
	ds_store_b32 v8, v9
	s_wait_loadcnt_dscnt 0x203
	ds_store_b32 v8, v12 offset:1056
	s_wait_loadcnt_dscnt 0x103
	ds_store_b32 v8, v6 offset:2112
	;; [unrolled: 2-line block ×3, first 2 shown]
.LBB141_24:                             ;   in Loop: Header=BB141_4 Depth=1
	s_wait_dscnt 0x0
	s_barrier_signal -1
	s_barrier_wait -1
	s_wait_xcnt 0x0
	s_and_saveexec_b32 s88, s6
	s_cbranch_execnz .LBB141_125
; %bb.25:                               ;   in Loop: Header=BB141_4 Depth=1
	s_or_b32 exec_lo, exec_lo, s88
	s_and_saveexec_b32 s88, s7
	s_cbranch_execnz .LBB141_126
.LBB141_26:                             ;   in Loop: Header=BB141_4 Depth=1
	s_or_b32 exec_lo, exec_lo, s88
	s_and_saveexec_b32 s88, s8
	s_cbranch_execnz .LBB141_127
.LBB141_27:                             ;   in Loop: Header=BB141_4 Depth=1
	s_or_b32 exec_lo, exec_lo, s88
	s_and_saveexec_b32 s88, s9
	s_cbranch_execz .LBB141_29
.LBB141_28:                             ;   in Loop: Header=BB141_4 Depth=1
	ds_load_b32 v2, v145 offset:264
	s_wait_dscnt 0x0
	ds_store_b32 v118, v2 offset:12
.LBB141_29:                             ;   in Loop: Header=BB141_4 Depth=1
	s_or_b32 exec_lo, exec_lo, s88
	s_wait_dscnt 0x0
	s_barrier_signal -1
	s_barrier_wait -1
	ds_load_2addr_b32 v[2:3], v145 offset1:33
	ds_load_b32 v6, v144
	ds_load_b128 v[10:13], v119
	ds_load_b32 v15, v145 offset:264
	s_wait_dscnt 0x0
	s_barrier_signal -1
	s_barrier_wait -1
	v_dual_mov_b32 v150, 0 :: v_dual_mov_b32 v7, v2
	v_mov_b32_e32 v14, v3
	s_delay_alu instid0(VALU_DEP_2) | instskip(NEXT) | instid1(VALU_DEP_2)
	v_pk_mul_f32 v[6:7], v[6:7], v[10:11]
	v_pk_mul_f32 v[2:3], v[14:15], v[12:13]
	s_delay_alu instid0(VALU_DEP_2) | instskip(NEXT) | instid1(VALU_DEP_1)
	v_add_f32_e32 v6, 0, v6
	v_add_f32_e32 v6, v6, v7
	s_delay_alu instid0(VALU_DEP_1) | instskip(NEXT) | instid1(VALU_DEP_1)
	v_add_f32_e32 v2, v6, v2
	v_add_f32_e32 v2, v2, v3
	ds_store_b32 v120, v2
	s_wait_dscnt 0x0
	s_barrier_signal -1
	s_barrier_wait -1
	s_and_saveexec_b32 s88, s10
	s_cbranch_execz .LBB141_31
; %bb.30:                               ;   in Loop: Header=BB141_4 Depth=1
	ds_load_2addr_b32 v[2:3], v117 offset1:1
	ds_load_2addr_b32 v[6:7], v117 offset0:2 offset1:3
	ds_load_2addr_b32 v[10:11], v117 offset0:4 offset1:5
	ds_load_2addr_b32 v[12:13], v117 offset0:6 offset1:7
	s_wait_dscnt 0x3
	v_add_f32_e32 v2, v2, v3
	s_wait_dscnt 0x2
	s_delay_alu instid0(VALU_DEP_1) | instskip(NEXT) | instid1(VALU_DEP_1)
	v_add_f32_e32 v2, v2, v6
	v_add_f32_e32 v2, v2, v7
	s_wait_dscnt 0x1
	s_delay_alu instid0(VALU_DEP_1) | instskip(NEXT) | instid1(VALU_DEP_1)
	v_add_f32_e32 v2, v2, v10
	v_add_f32_e32 v2, v2, v11
	s_wait_dscnt 0x0
	s_delay_alu instid0(VALU_DEP_1) | instskip(NEXT) | instid1(VALU_DEP_1)
	v_add_f32_e32 v2, v2, v12
	v_add_f32_e32 v150, v2, v13
.LBB141_31:                             ;   in Loop: Header=BB141_4 Depth=1
	s_or_b32 exec_lo, exec_lo, s88
	v_lshl_add_u64 v[6:7], s[48:49], 2, v[0:1]
	s_and_b32 vcc_lo, exec_lo, s29
	s_mov_b32 s88, -1
	s_barrier_signal -1
	s_delay_alu instid0(VALU_DEP_1)
	v_add_nc_u64_e32 v[2:3], 0x80, v[6:7]
	s_barrier_wait -1
                                        ; implicit-def: $vgpr0_vgpr1
	s_cbranch_vccz .LBB141_41
; %bb.32:                               ;   in Loop: Header=BB141_4 Depth=1
	v_lshl_add_u64 v[0:1], v[42:43], 2, v[6:7]
	v_mov_b32_e32 v9, 0
	s_delay_alu instid0(VALU_DEP_2) | instskip(NEXT) | instid1(VALU_DEP_1)
	v_lshl_add_u64 v[0:1], s[34:35], 2, v[0:1]
	v_add_nc_u64_e32 v[0:1], -4, v[0:1]
	s_delay_alu instid0(VALU_DEP_1) | instskip(NEXT) | instid1(VALU_DEP_2)
	v_dual_mov_b32 v10, 0 :: v_dual_cndmask_b32 v1, v1, v3, s11
	v_cndmask_b32_e64 v0, v0, v2, s11
	s_and_saveexec_b32 s88, s12
	s_cbranch_execz .LBB141_34
; %bb.33:                               ;   in Loop: Header=BB141_4 Depth=1
	flat_load_b32 v9, v[0:1]
.LBB141_34:                             ;   in Loop: Header=BB141_4 Depth=1
	s_wait_xcnt 0x0
	s_or_b32 exec_lo, exec_lo, s88
	s_wait_loadcnt_dscnt 0x0
	ds_store_b32 v8, v9
	s_and_saveexec_b32 s88, s13
	s_cbranch_execz .LBB141_36
; %bb.35:                               ;   in Loop: Header=BB141_4 Depth=1
	v_lshl_add_u64 v[10:11], s[42:43], 2, v[0:1]
	flat_load_b32 v10, v[10:11]
.LBB141_36:                             ;   in Loop: Header=BB141_4 Depth=1
	s_wait_xcnt 0x0
	s_or_b32 exec_lo, exec_lo, s88
	v_dual_mov_b32 v9, 0 :: v_dual_mov_b32 v11, 0
	s_wait_loadcnt_dscnt 0x0
	ds_store_b32 v8, v10 offset:1056
	s_and_saveexec_b32 s88, s14
	s_cbranch_execz .LBB141_38
; %bb.37:                               ;   in Loop: Header=BB141_4 Depth=1
	v_lshl_add_u64 v[10:11], s[44:45], 2, v[0:1]
	flat_load_b32 v11, v[10:11]
.LBB141_38:                             ;   in Loop: Header=BB141_4 Depth=1
	s_wait_xcnt 0x0
	s_or_b32 exec_lo, exec_lo, s88
	s_wait_loadcnt_dscnt 0x0
	ds_store_b32 v8, v11 offset:2112
	s_and_saveexec_b32 s88, s15
	s_cbranch_execz .LBB141_40
; %bb.39:                               ;   in Loop: Header=BB141_4 Depth=1
	v_lshl_add_u64 v[10:11], s[46:47], 2, v[0:1]
	flat_load_b32 v9, v[10:11]
.LBB141_40:                             ;   in Loop: Header=BB141_4 Depth=1
	s_wait_xcnt 0x0
	s_or_b32 exec_lo, exec_lo, s88
	v_lshlrev_b32_e32 v18, 2, v16
	s_mov_b32 s88, 0
	s_wait_loadcnt_dscnt 0x0
	ds_store_b32 v8, v9 offset:3168
	v_add_nc_u64_e32 v[0:1], v[0:1], v[18:19]
	s_delay_alu instid0(VALU_DEP_1) | instskip(NEXT) | instid1(VALU_DEP_1)
	v_lshl_add_u64 v[0:1], s[52:53], 2, v[0:1]
	v_add_nc_u64_e32 v[0:1], 0x84, v[0:1]
	s_delay_alu instid0(VALU_DEP_1)
	v_dual_cndmask_b32 v1, v1, v3, s11 :: v_dual_cndmask_b32 v0, v0, v2, s11
.LBB141_41:                             ;   in Loop: Header=BB141_4 Depth=1
	s_and_b32 vcc_lo, exec_lo, s88
	s_cbranch_vccz .LBB141_43
; %bb.42:                               ;   in Loop: Header=BB141_4 Depth=1
	v_lshl_add_u64 v[0:1], s[42:43], 2, v[6:7]
	s_delay_alu instid0(VALU_DEP_1) | instskip(NEXT) | instid1(VALU_DEP_1)
	v_add_nc_u64_e32 v[10:11], s[54:55], v[0:1]
	v_add_nc_u64_e32 v[12:13], s[54:55], v[10:11]
	s_clause 0x3
	flat_load_b32 v6, v[6:7] offset:128
	flat_load_b32 v7, v[0:1] offset:128
	;; [unrolled: 1-line block ×4, first 2 shown]
	v_mov_b64_e32 v[0:1], v[2:3]
	s_wait_loadcnt_dscnt 0x303
	ds_store_b32 v8, v6
	s_wait_loadcnt_dscnt 0x203
	ds_store_b32 v8, v7 offset:1056
	s_wait_loadcnt_dscnt 0x103
	ds_store_b32 v8, v9 offset:2112
	;; [unrolled: 2-line block ×3, first 2 shown]
.LBB141_43:                             ;   in Loop: Header=BB141_4 Depth=1
	s_wait_dscnt 0x0
	s_barrier_signal -1
	s_barrier_wait -1
	s_wait_xcnt 0x0
	s_and_saveexec_b32 s88, s6
	s_cbranch_execnz .LBB141_128
; %bb.44:                               ;   in Loop: Header=BB141_4 Depth=1
	s_or_b32 exec_lo, exec_lo, s88
	s_and_saveexec_b32 s88, s7
	s_cbranch_execnz .LBB141_129
.LBB141_45:                             ;   in Loop: Header=BB141_4 Depth=1
	s_or_b32 exec_lo, exec_lo, s88
	s_and_saveexec_b32 s88, s8
	s_cbranch_execnz .LBB141_130
.LBB141_46:                             ;   in Loop: Header=BB141_4 Depth=1
	s_or_b32 exec_lo, exec_lo, s88
	s_and_saveexec_b32 s88, s9
	s_cbranch_execz .LBB141_48
.LBB141_47:                             ;   in Loop: Header=BB141_4 Depth=1
	ds_load_b32 v2, v145 offset:264
	s_wait_dscnt 0x0
	ds_store_b32 v118, v2 offset:12
.LBB141_48:                             ;   in Loop: Header=BB141_4 Depth=1
	s_or_b32 exec_lo, exec_lo, s88
	s_wait_dscnt 0x0
	s_barrier_signal -1
	s_barrier_wait -1
	ds_load_2addr_b32 v[2:3], v145 offset1:33
	ds_load_b32 v6, v144
	ds_load_b128 v[10:13], v119 offset:128
	ds_load_b32 v15, v145 offset:264
	s_wait_dscnt 0x0
	s_barrier_signal -1
	s_barrier_wait -1
	v_dual_mov_b32 v7, v2 :: v_dual_mov_b32 v14, v3
	s_delay_alu instid0(VALU_DEP_1) | instskip(NEXT) | instid1(VALU_DEP_2)
	v_pk_mul_f32 v[6:7], v[6:7], v[10:11]
	v_pk_mul_f32 v[2:3], v[14:15], v[12:13]
	s_delay_alu instid0(VALU_DEP_2) | instskip(NEXT) | instid1(VALU_DEP_1)
	v_add_f32_e32 v6, 0, v6
	v_add_f32_e32 v6, v6, v7
	s_delay_alu instid0(VALU_DEP_1) | instskip(NEXT) | instid1(VALU_DEP_1)
	v_add_f32_e32 v2, v6, v2
	v_add_f32_e32 v2, v2, v3
	ds_store_b32 v120, v2
	s_wait_dscnt 0x0
	s_barrier_signal -1
	s_barrier_wait -1
	s_and_saveexec_b32 s88, s16
	s_cbranch_execz .LBB141_50
; %bb.49:                               ;   in Loop: Header=BB141_4 Depth=1
	ds_load_2addr_b32 v[2:3], v117 offset1:1
	ds_load_2addr_b32 v[6:7], v117 offset0:2 offset1:3
	ds_load_2addr_b32 v[10:11], v117 offset0:4 offset1:5
	;; [unrolled: 1-line block ×3, first 2 shown]
	s_wait_dscnt 0x3
	v_add_f32_e32 v2, v2, v3
	s_wait_dscnt 0x2
	s_delay_alu instid0(VALU_DEP_1) | instskip(NEXT) | instid1(VALU_DEP_1)
	v_add_f32_e32 v2, v2, v6
	v_add_f32_e32 v2, v2, v7
	s_wait_dscnt 0x1
	s_delay_alu instid0(VALU_DEP_1) | instskip(NEXT) | instid1(VALU_DEP_1)
	v_add_f32_e32 v2, v2, v10
	;; [unrolled: 4-line block ×3, first 2 shown]
	v_add_f32_e32 v150, v2, v13
.LBB141_50:                             ;   in Loop: Header=BB141_4 Depth=1
	s_or_b32 exec_lo, exec_lo, s88
	s_mov_b64 s[88:89], 0xffffffffffffff80
	s_and_b32 vcc_lo, exec_lo, s29
	v_add_nc_u64_e32 v[2:3], s[88:89], v[0:1]
	s_mov_b32 s88, -1
	s_barrier_signal -1
	s_barrier_wait -1
                                        ; implicit-def: $vgpr6_vgpr7
	s_cbranch_vccz .LBB141_60
; %bb.51:                               ;   in Loop: Header=BB141_4 Depth=1
	v_lshl_add_u64 v[6:7], v[42:43], 2, v[0:1]
	s_mov_b64 s[88:89], 0xffffffffffffff7c
	v_mov_b32_e32 v9, 0
	s_delay_alu instid0(VALU_DEP_2) | instskip(NEXT) | instid1(VALU_DEP_1)
	v_lshl_add_u64 v[6:7], s[34:35], 2, v[6:7]
	v_add_nc_u64_e32 v[6:7], s[88:89], v[6:7]
	s_delay_alu instid0(VALU_DEP_1) | instskip(NEXT) | instid1(VALU_DEP_2)
	v_dual_mov_b32 v10, 0 :: v_dual_cndmask_b32 v7, v7, v3, s1
	v_cndmask_b32_e64 v6, v6, v2, s1
	s_and_saveexec_b32 s88, s12
	s_cbranch_execz .LBB141_53
; %bb.52:                               ;   in Loop: Header=BB141_4 Depth=1
	flat_load_b32 v9, v[6:7]
.LBB141_53:                             ;   in Loop: Header=BB141_4 Depth=1
	s_wait_xcnt 0x0
	s_or_b32 exec_lo, exec_lo, s88
	s_wait_loadcnt_dscnt 0x0
	ds_store_b32 v8, v9
	s_and_saveexec_b32 s88, s13
	s_cbranch_execz .LBB141_55
; %bb.54:                               ;   in Loop: Header=BB141_4 Depth=1
	v_lshl_add_u64 v[10:11], s[42:43], 2, v[6:7]
	flat_load_b32 v10, v[10:11]
.LBB141_55:                             ;   in Loop: Header=BB141_4 Depth=1
	s_wait_xcnt 0x0
	s_or_b32 exec_lo, exec_lo, s88
	v_dual_mov_b32 v9, 0 :: v_dual_mov_b32 v11, 0
	s_wait_loadcnt_dscnt 0x0
	ds_store_b32 v8, v10 offset:1056
	s_and_saveexec_b32 s88, s14
	s_cbranch_execz .LBB141_57
; %bb.56:                               ;   in Loop: Header=BB141_4 Depth=1
	v_lshl_add_u64 v[10:11], s[44:45], 2, v[6:7]
	flat_load_b32 v11, v[10:11]
.LBB141_57:                             ;   in Loop: Header=BB141_4 Depth=1
	s_wait_xcnt 0x0
	s_or_b32 exec_lo, exec_lo, s88
	s_wait_loadcnt_dscnt 0x0
	ds_store_b32 v8, v11 offset:2112
	s_and_saveexec_b32 s88, s15
	s_cbranch_execz .LBB141_59
; %bb.58:                               ;   in Loop: Header=BB141_4 Depth=1
	v_lshl_add_u64 v[10:11], s[46:47], 2, v[6:7]
	flat_load_b32 v9, v[10:11]
.LBB141_59:                             ;   in Loop: Header=BB141_4 Depth=1
	s_wait_xcnt 0x0
	s_or_b32 exec_lo, exec_lo, s88
	v_lshlrev_b32_e32 v18, 2, v16
	s_mov_b32 s88, 0
	s_wait_loadcnt_dscnt 0x0
	ds_store_b32 v8, v9 offset:3168
	v_add_nc_u64_e32 v[6:7], v[6:7], v[18:19]
	s_delay_alu instid0(VALU_DEP_1) | instskip(NEXT) | instid1(VALU_DEP_1)
	v_lshl_add_u64 v[6:7], s[52:53], 2, v[6:7]
	v_add_nc_u64_e32 v[6:7], 4, v[6:7]
	s_delay_alu instid0(VALU_DEP_1)
	v_dual_cndmask_b32 v7, v7, v3, s1 :: v_dual_cndmask_b32 v6, v6, v2, s1
.LBB141_60:                             ;   in Loop: Header=BB141_4 Depth=1
	s_and_b32 vcc_lo, exec_lo, s88
	s_cbranch_vccz .LBB141_62
; %bb.61:                               ;   in Loop: Header=BB141_4 Depth=1
	v_lshl_add_u64 v[6:7], s[42:43], 2, v[0:1]
	s_delay_alu instid0(VALU_DEP_1) | instskip(NEXT) | instid1(VALU_DEP_1)
	v_add_nc_u64_e32 v[10:11], s[54:55], v[6:7]
	v_add_nc_u64_e32 v[12:13], s[54:55], v[10:11]
	s_clause 0x3
	flat_load_b32 v0, v[0:1] offset:-128
	flat_load_b32 v1, v[6:7] offset:-128
	;; [unrolled: 1-line block ×4, first 2 shown]
	v_mov_b64_e32 v[6:7], v[2:3]
	s_wait_loadcnt_dscnt 0x303
	ds_store_b32 v8, v0
	s_wait_loadcnt_dscnt 0x203
	ds_store_b32 v8, v1 offset:1056
	s_wait_loadcnt_dscnt 0x103
	ds_store_b32 v8, v9 offset:2112
	;; [unrolled: 2-line block ×3, first 2 shown]
.LBB141_62:                             ;   in Loop: Header=BB141_4 Depth=1
	v_dual_add_nc_u32 v9, v118, v122 :: v_dual_add_nc_u32 v8, v119, v122
	s_wait_dscnt 0x0
	s_barrier_signal -1
	s_barrier_wait -1
	ds_load_2addr_b32 v[0:1], v141 offset0:8 offset1:16
	ds_load_2addr_b32 v[2:3], v142 offset0:8 offset1:16
	ds_load_b32 v8, v8
	s_wait_xcnt 0x0
	ds_load_b32 v12, v9
	ds_load_b32 v15, v141 offset:96
	ds_load_b32 v51, v142 offset:96
	;; [unrolled: 1-line block ×3, first 2 shown]
	ds_load_b32 v11, v144
	s_wait_dscnt 0x6
	v_dual_mov_b32 v13, v0 :: v_dual_mov_b32 v9, v2
	v_dual_mov_b32 v14, v1 :: v_dual_mov_b32 v50, v3
	s_wait_dscnt 0x4
	s_delay_alu instid0(VALU_DEP_2)
	v_pk_mul_f32 v[12:13], v[12:13], v[8:9]
	ds_load_2addr_b32 v[8:9], v145 offset1:33
	ds_load_b128 v[0:3], v119 offset:128
	s_wait_dscnt 0x4
	v_pk_mul_f32 v[14:15], v[14:15], v[50:51]
	s_wait_dscnt 0x0
	s_barrier_signal -1
	v_add_f32_e32 v12, 0, v12
	s_barrier_wait -1
	s_delay_alu instid0(VALU_DEP_1) | instskip(NEXT) | instid1(VALU_DEP_1)
	v_add_f32_e32 v12, v12, v13
	v_add_f32_e32 v12, v12, v14
	s_delay_alu instid0(VALU_DEP_1)
	v_add_f32_e32 v12, v12, v15
	ds_store_b32 v120, v12
	s_wait_dscnt 0x0
	s_barrier_signal -1
	s_barrier_wait -1
	s_and_saveexec_b32 s88, s16
	s_cbranch_execz .LBB141_64
; %bb.63:                               ;   in Loop: Header=BB141_4 Depth=1
	ds_load_2addr_b32 v[12:13], v117 offset1:1
	ds_load_2addr_b32 v[14:15], v117 offset0:2 offset1:3
	ds_load_2addr_b32 v[50:51], v117 offset0:4 offset1:5
	;; [unrolled: 1-line block ×3, first 2 shown]
	s_wait_dscnt 0x3
	v_add_f32_e32 v12, v150, v12
	s_delay_alu instid0(VALU_DEP_1) | instskip(SKIP_1) | instid1(VALU_DEP_1)
	v_add_f32_e32 v12, v12, v13
	s_wait_dscnt 0x2
	v_add_f32_e32 v12, v12, v14
	s_delay_alu instid0(VALU_DEP_1) | instskip(SKIP_1) | instid1(VALU_DEP_1)
	v_add_f32_e32 v12, v12, v15
	;; [unrolled: 4-line block ×3, first 2 shown]
	s_wait_dscnt 0x0
	v_add_f32_e32 v12, v12, v52
	s_delay_alu instid0(VALU_DEP_1)
	v_add_f32_e32 v150, v12, v53
.LBB141_64:                             ;   in Loop: Header=BB141_4 Depth=1
	s_or_b32 exec_lo, exec_lo, s88
	v_fma_f32 v0, v11, v0, 0
	s_barrier_signal -1
	s_barrier_wait -1
	s_delay_alu instid0(VALU_DEP_1) | instskip(NEXT) | instid1(VALU_DEP_1)
	v_fmac_f32_e32 v0, v8, v1
	v_fmac_f32_e32 v0, v9, v2
	s_delay_alu instid0(VALU_DEP_1)
	v_fmac_f32_e32 v0, v10, v3
	ds_store_b32 v120, v0
	s_wait_dscnt 0x0
	s_barrier_signal -1
	s_barrier_wait -1
	s_and_saveexec_b32 s88, s10
	s_cbranch_execz .LBB141_66
; %bb.65:                               ;   in Loop: Header=BB141_4 Depth=1
	ds_load_2addr_b32 v[0:1], v117 offset1:1
	ds_load_2addr_b32 v[2:3], v117 offset0:2 offset1:3
	ds_load_2addr_b32 v[8:9], v117 offset0:4 offset1:5
	;; [unrolled: 1-line block ×3, first 2 shown]
	s_wait_dscnt 0x3
	v_add_f32_e32 v0, v150, v0
	s_delay_alu instid0(VALU_DEP_1) | instskip(SKIP_1) | instid1(VALU_DEP_1)
	v_add_f32_e32 v0, v0, v1
	s_wait_dscnt 0x2
	v_add_f32_e32 v0, v0, v2
	s_delay_alu instid0(VALU_DEP_1) | instskip(SKIP_1) | instid1(VALU_DEP_1)
	v_add_f32_e32 v0, v0, v3
	;; [unrolled: 4-line block ×3, first 2 shown]
	s_wait_dscnt 0x0
	v_add_f32_e32 v0, v0, v10
	s_delay_alu instid0(VALU_DEP_1)
	v_add_f32_e32 v150, v0, v11
.LBB141_66:                             ;   in Loop: Header=BB141_4 Depth=1
	s_or_b32 exec_lo, exec_lo, s88
	s_mul_u64 s[88:89], s[36:37], s[18:19]
	s_and_not1_b32 vcc_lo, exec_lo, s95
	s_lshl_b64 s[88:89], s[88:89], 2
	s_delay_alu instid0(SALU_CYCLE_1)
	s_add_nc_u64 s[88:89], s[38:39], s[88:89]
	s_barrier_signal -1
	s_barrier_wait -1
	s_cbranch_vccnz .LBB141_123
; %bb.67:                               ;   in Loop: Header=BB141_4 Depth=1
	v_add_nc_u64_e32 v[52:53], s[56:57], v[6:7]
	v_add_nc_u64_e32 v[54:55], v[6:7], v[30:31]
	;; [unrolled: 1-line block ×23, first 2 shown]
	v_lshl_add_u64 v[50:51], s[50:51], 2, v[4:5]
	v_lshl_add_u64 v[98:99], s[48:49], 2, v[6:7]
	v_mov_b32_e32 v18, v149
	s_mov_b32 s90, s99
	s_mov_b32 s100, s30
	s_delay_alu instid0(SALU_CYCLE_1)
	s_cmp_eq_u32 s96, s100
	s_cselect_b32 s101, s94, 0
	s_and_saveexec_b32 s102, s0
	s_cbranch_execz .LBB141_71
.LBB141_68:                             ;   in Loop: Header=BB141_4 Depth=1
	v_cmp_gt_i32_e32 vcc_lo, s101, v112
	s_cmp_eq_u32 s101, 0
	v_mov_b32_e32 v0, 0
	s_cselect_b32 s91, -1, 0
	s_delay_alu instid0(SALU_CYCLE_1) | instskip(NEXT) | instid1(SALU_CYCLE_1)
	s_or_b32 s91, s91, vcc_lo
	s_and_saveexec_b32 s103, s91
	s_cbranch_execz .LBB141_70
; %bb.69:                               ;   in Loop: Header=BB141_4 Depth=1
	s_ashr_i32 s91, s90, 31
	s_delay_alu instid0(SALU_CYCLE_1)
	v_lshl_add_u64 v[0:1], s[90:91], 2, v[50:51]
	flat_load_b32 v0, v[0:1]
.LBB141_70:                             ;   in Loop: Header=BB141_4 Depth=1
	s_wait_xcnt 0x0
	s_or_b32 exec_lo, exec_lo, s103
	s_wait_loadcnt_dscnt 0x0
	ds_store_b32 v123, v0
.LBB141_71:                             ;   Parent Loop BB141_4 Depth=1
                                        ; =>  This Inner Loop Header: Depth=2
	s_or_b32 exec_lo, exec_lo, s102
	s_cmp_eq_u32 s101, 0
	v_add_nc_u64_e32 v[0:1], v[98:99], v[28:29]
	s_cselect_b32 s91, -1, 0
	s_cmp_lg_u32 s101, 0
	s_mov_b32 s103, -1
	s_cselect_b32 s102, -1, 0
	s_wait_dscnt 0x0
	s_and_b32 vcc_lo, exec_lo, s102
	s_barrier_signal -1
	s_barrier_wait -1
                                        ; implicit-def: $vgpr153
                                        ; implicit-def: $vgpr154
                                        ; implicit-def: $vgpr151
                                        ; implicit-def: $vgpr152
	s_cbranch_vccz .LBB141_81
; %bb.72:                               ;   in Loop: Header=BB141_71 Depth=2
	v_dual_mov_b32 v151, 0 :: v_dual_mov_b32 v152, 0
	s_mov_b32 s103, exec_lo
	v_cmpx_gt_i32_e64 s101, v121
	s_cbranch_execz .LBB141_74
; %bb.73:                               ;   in Loop: Header=BB141_71 Depth=2
	flat_load_b32 v152, v[0:1]
.LBB141_74:                             ;   in Loop: Header=BB141_71 Depth=2
	s_wait_xcnt 0x0
	s_or_b32 exec_lo, exec_lo, s103
	s_delay_alu instid0(SALU_CYCLE_1)
	s_mov_b32 s103, exec_lo
	v_cmpx_gt_i32_e64 s101, v129
	s_cbranch_execz .LBB141_76
; %bb.75:                               ;   in Loop: Header=BB141_71 Depth=2
	v_add_nc_u64_e32 v[2:3], v[56:57], v[28:29]
	flat_load_b32 v151, v[2:3]
.LBB141_76:                             ;   in Loop: Header=BB141_71 Depth=2
	s_wait_xcnt 0x0
	s_or_b32 exec_lo, exec_lo, s103
	v_dual_mov_b32 v153, 0 :: v_dual_mov_b32 v154, 0
	s_mov_b32 s103, exec_lo
	v_cmpx_gt_i32_e64 s101, v130
	s_cbranch_execz .LBB141_78
; %bb.77:                               ;   in Loop: Header=BB141_71 Depth=2
	v_add_nc_u64_e32 v[2:3], v[58:59], v[28:29]
	flat_load_b32 v154, v[2:3]
.LBB141_78:                             ;   in Loop: Header=BB141_71 Depth=2
	s_wait_xcnt 0x0
	s_or_b32 exec_lo, exec_lo, s103
	s_delay_alu instid0(SALU_CYCLE_1)
	s_mov_b32 s103, exec_lo
	v_cmpx_gt_i32_e64 s101, v131
	s_cbranch_execz .LBB141_80
; %bb.79:                               ;   in Loop: Header=BB141_71 Depth=2
	v_add_nc_u64_e32 v[2:3], v[60:61], v[28:29]
	flat_load_b32 v153, v[2:3]
.LBB141_80:                             ;   in Loop: Header=BB141_71 Depth=2
	s_wait_xcnt 0x0
	s_or_b32 exec_lo, exec_lo, s103
	s_mov_b32 s103, 0
.LBB141_81:                             ;   in Loop: Header=BB141_71 Depth=2
	s_delay_alu instid0(SALU_CYCLE_1)
	s_and_b32 vcc_lo, exec_lo, s103
	s_cbranch_vccz .LBB141_83
; %bb.82:                               ;   in Loop: Header=BB141_71 Depth=2
	v_add_nc_u64_e32 v[2:3], v[56:57], v[28:29]
	v_add_nc_u64_e32 v[4:5], v[52:53], v[28:29]
	;; [unrolled: 1-line block ×3, first 2 shown]
	s_wait_loadcnt_dscnt 0x0
	flat_load_b32 v152, v[0:1]
	flat_load_b32 v151, v[2:3]
	;; [unrolled: 1-line block ×4, first 2 shown]
.LBB141_83:                             ;   in Loop: Header=BB141_71 Depth=2
	s_wait_xcnt 0x1
	ds_load_b32 v4, v114
	ds_load_b128 v[0:3], v124
	v_cndmask_b32_e64 v12, 0, 1, s102
	s_and_not1_b32 vcc_lo, exec_lo, s102
	s_wait_xcnt 0x0
	s_mov_b32 s102, -1
                                        ; implicit-def: $vgpr157
                                        ; implicit-def: $vgpr158
                                        ; implicit-def: $vgpr155
                                        ; implicit-def: $vgpr156
	s_wait_loadcnt_dscnt 0x1
	v_dual_mul_f32 v5, v152, v4 :: v_dual_mul_f32 v6, v151, v4
	v_dual_mul_f32 v7, v154, v4 :: v_dual_mul_f32 v4, v153, v4
	ds_store_2addr_b32 v125, v5, v6 offset1:67
	ds_store_2addr_b32 v125, v7, v4 offset0:134 offset1:201
	s_wait_dscnt 0x0
	s_barrier_signal -1
	s_barrier_wait -1
	ds_load_2addr_b32 v[102:103], v143 offset1:1
	ds_load_2addr_b32 v[100:101], v143 offset0:2 offset1:3
	v_add_nc_u64_e32 v[4:5], v[68:69], v[28:29]
	s_wait_dscnt 0x0
	s_barrier_signal -1
	s_barrier_wait -1
	s_cbranch_vccnz .LBB141_93
; %bb.84:                               ;   in Loop: Header=BB141_71 Depth=2
	v_dual_mov_b32 v155, 0 :: v_dual_mov_b32 v156, 0
	s_mov_b32 s102, exec_lo
	v_cmpx_gt_i32_e64 s101, v132
	s_cbranch_execz .LBB141_86
; %bb.85:                               ;   in Loop: Header=BB141_71 Depth=2
	flat_load_b32 v156, v[4:5]
.LBB141_86:                             ;   in Loop: Header=BB141_71 Depth=2
	s_wait_xcnt 0x0
	s_or_b32 exec_lo, exec_lo, s102
	s_delay_alu instid0(SALU_CYCLE_1)
	s_mov_b32 s102, exec_lo
	v_cmpx_gt_i32_e64 s101, v133
	s_cbranch_execz .LBB141_88
; %bb.87:                               ;   in Loop: Header=BB141_71 Depth=2
	v_add_nc_u64_e32 v[6:7], v[66:67], v[28:29]
	flat_load_b32 v155, v[6:7]
.LBB141_88:                             ;   in Loop: Header=BB141_71 Depth=2
	s_wait_xcnt 0x0
	s_or_b32 exec_lo, exec_lo, s102
	v_dual_mov_b32 v157, 0 :: v_dual_mov_b32 v158, 0
	s_mov_b32 s102, exec_lo
	v_cmpx_gt_i32_e64 s101, v134
	s_cbranch_execz .LBB141_90
; %bb.89:                               ;   in Loop: Header=BB141_71 Depth=2
	v_add_nc_u64_e32 v[6:7], v[70:71], v[28:29]
	flat_load_b32 v158, v[6:7]
.LBB141_90:                             ;   in Loop: Header=BB141_71 Depth=2
	s_wait_xcnt 0x0
	s_or_b32 exec_lo, exec_lo, s102
	s_delay_alu instid0(SALU_CYCLE_1)
	s_mov_b32 s102, exec_lo
	v_cmpx_gt_i32_e64 s101, v135
	s_cbranch_execz .LBB141_92
; %bb.91:                               ;   in Loop: Header=BB141_71 Depth=2
	v_add_nc_u64_e32 v[6:7], v[72:73], v[28:29]
	flat_load_b32 v157, v[6:7]
.LBB141_92:                             ;   in Loop: Header=BB141_71 Depth=2
	s_wait_xcnt 0x0
	s_or_b32 exec_lo, exec_lo, s102
	s_mov_b32 s102, 0
.LBB141_93:                             ;   in Loop: Header=BB141_71 Depth=2
	s_delay_alu instid0(SALU_CYCLE_1)
	s_and_b32 vcc_lo, exec_lo, s102
	s_cbranch_vccz .LBB141_95
; %bb.94:                               ;   in Loop: Header=BB141_71 Depth=2
	v_add_nc_u64_e32 v[6:7], v[66:67], v[28:29]
	v_add_nc_u64_e32 v[8:9], v[62:63], v[28:29]
	;; [unrolled: 1-line block ×3, first 2 shown]
	s_wait_loadcnt_dscnt 0x0
	flat_load_b32 v156, v[4:5]
	flat_load_b32 v155, v[6:7]
	;; [unrolled: 1-line block ×4, first 2 shown]
.LBB141_95:                             ;   in Loop: Header=BB141_71 Depth=2
	s_wait_xcnt 0x1
	ds_load_b32 v8, v114
	ds_load_b128 v[4:7], v124 offset:64
	v_cmp_ne_u32_e32 vcc_lo, 1, v12
	s_wait_xcnt 0x0
	s_mov_b32 s102, -1
                                        ; implicit-def: $vgpr160
                                        ; implicit-def: $vgpr162
                                        ; implicit-def: $vgpr159
                                        ; implicit-def: $vgpr161
	s_and_b32 vcc_lo, exec_lo, vcc_lo
	s_wait_loadcnt_dscnt 0x1
	v_dual_mul_f32 v9, v156, v8 :: v_dual_mul_f32 v10, v155, v8
	v_dual_mul_f32 v11, v158, v8 :: v_dual_mul_f32 v8, v157, v8
	ds_store_2addr_b32 v125, v9, v10 offset1:67
	ds_store_2addr_b32 v125, v11, v8 offset0:134 offset1:201
	s_wait_dscnt 0x0
	s_barrier_signal -1
	s_barrier_wait -1
	ds_load_2addr_b32 v[106:107], v143 offset1:1
	ds_load_2addr_b32 v[104:105], v143 offset0:2 offset1:3
	v_add_nc_u64_e32 v[8:9], v[80:81], v[28:29]
	s_wait_dscnt 0x0
	s_barrier_signal -1
	s_barrier_wait -1
	s_cbranch_vccnz .LBB141_105
; %bb.96:                               ;   in Loop: Header=BB141_71 Depth=2
	v_dual_mov_b32 v159, 0 :: v_dual_mov_b32 v161, 0
	s_mov_b32 s102, exec_lo
	v_cmpx_gt_i32_e64 s101, v136
	s_cbranch_execz .LBB141_98
; %bb.97:                               ;   in Loop: Header=BB141_71 Depth=2
	flat_load_b32 v161, v[8:9]
.LBB141_98:                             ;   in Loop: Header=BB141_71 Depth=2
	s_wait_xcnt 0x0
	s_or_b32 exec_lo, exec_lo, s102
	s_delay_alu instid0(SALU_CYCLE_1)
	s_mov_b32 s102, exec_lo
	v_cmpx_gt_i32_e64 s101, v137
	s_cbranch_execz .LBB141_100
; %bb.99:                               ;   in Loop: Header=BB141_71 Depth=2
	v_add_nc_u64_e32 v[10:11], v[78:79], v[28:29]
	flat_load_b32 v159, v[10:11]
.LBB141_100:                            ;   in Loop: Header=BB141_71 Depth=2
	s_wait_xcnt 0x0
	s_or_b32 exec_lo, exec_lo, s102
	v_dual_mov_b32 v160, 0 :: v_dual_mov_b32 v162, 0
	s_mov_b32 s102, exec_lo
	v_cmpx_gt_i32_e64 s101, v138
	s_cbranch_execz .LBB141_102
; %bb.101:                              ;   in Loop: Header=BB141_71 Depth=2
	v_add_nc_u64_e32 v[10:11], v[82:83], v[28:29]
	flat_load_b32 v162, v[10:11]
.LBB141_102:                            ;   in Loop: Header=BB141_71 Depth=2
	s_wait_xcnt 0x0
	s_or_b32 exec_lo, exec_lo, s102
	s_delay_alu instid0(SALU_CYCLE_1)
	s_mov_b32 s102, exec_lo
	v_cmpx_gt_i32_e64 s101, v139
	s_cbranch_execz .LBB141_104
; %bb.103:                              ;   in Loop: Header=BB141_71 Depth=2
	v_add_nc_u64_e32 v[10:11], v[84:85], v[28:29]
	flat_load_b32 v160, v[10:11]
.LBB141_104:                            ;   in Loop: Header=BB141_71 Depth=2
	s_wait_xcnt 0x0
	s_or_b32 exec_lo, exec_lo, s102
	s_mov_b32 s102, 0
.LBB141_105:                            ;   in Loop: Header=BB141_71 Depth=2
	s_delay_alu instid0(SALU_CYCLE_1)
	s_and_b32 vcc_lo, exec_lo, s102
	s_cbranch_vccz .LBB141_107
; %bb.106:                              ;   in Loop: Header=BB141_71 Depth=2
	v_add_nc_u64_e32 v[10:11], v[78:79], v[28:29]
	v_add_nc_u64_e32 v[14:15], v[74:75], v[28:29]
	;; [unrolled: 1-line block ×3, first 2 shown]
	s_wait_loadcnt_dscnt 0x0
	flat_load_b32 v161, v[8:9]
	flat_load_b32 v159, v[10:11]
	flat_load_b32 v162, v[14:15]
	flat_load_b32 v160, v[108:109]
.LBB141_107:                            ;   in Loop: Header=BB141_71 Depth=2
	ds_load_b32 v13, v114
	s_wait_xcnt 0x2
	ds_load_b128 v[8:11], v124 offset:128
	v_cmp_ne_u32_e32 vcc_lo, 1, v12
	s_wait_xcnt 0x0
	s_mov_b32 s102, -1
                                        ; implicit-def: $vgpr165
                                        ; implicit-def: $vgpr166
                                        ; implicit-def: $vgpr163
                                        ; implicit-def: $vgpr164
	s_and_b32 vcc_lo, exec_lo, vcc_lo
	s_wait_loadcnt_dscnt 0x1
	v_dual_mul_f32 v14, v161, v13 :: v_dual_mul_f32 v15, v159, v13
	v_dual_mul_f32 v108, v162, v13 :: v_dual_mul_f32 v13, v160, v13
	ds_store_2addr_b32 v125, v14, v15 offset1:67
	ds_store_2addr_b32 v125, v108, v13 offset0:134 offset1:201
	s_wait_dscnt 0x0
	s_barrier_signal -1
	s_barrier_wait -1
	ds_load_2addr_b32 v[110:111], v143 offset1:1
	ds_load_2addr_b32 v[108:109], v143 offset0:2 offset1:3
	v_add_nc_u64_e32 v[12:13], v[92:93], v[26:27]
	s_wait_dscnt 0x0
	s_barrier_signal -1
	s_barrier_wait -1
	s_cbranch_vccnz .LBB141_117
; %bb.108:                              ;   in Loop: Header=BB141_71 Depth=2
	v_dual_mov_b32 v163, 0 :: v_dual_mov_b32 v164, 0
	s_mov_b32 s102, exec_lo
	v_cmpx_gt_i32_e64 s101, v146
	s_cbranch_execz .LBB141_110
; %bb.109:                              ;   in Loop: Header=BB141_71 Depth=2
	flat_load_b32 v164, v[12:13]
.LBB141_110:                            ;   in Loop: Header=BB141_71 Depth=2
	s_wait_xcnt 0x0
	s_or_b32 exec_lo, exec_lo, s102
	s_delay_alu instid0(SALU_CYCLE_1)
	s_mov_b32 s102, exec_lo
	v_cmpx_gt_i32_e64 s101, v147
	s_cbranch_execz .LBB141_112
; %bb.111:                              ;   in Loop: Header=BB141_71 Depth=2
	v_add_nc_u64_e32 v[14:15], v[90:91], v[26:27]
	flat_load_b32 v163, v[14:15]
.LBB141_112:                            ;   in Loop: Header=BB141_71 Depth=2
	s_wait_xcnt 0x0
	s_or_b32 exec_lo, exec_lo, s102
	v_dual_mov_b32 v165, 0 :: v_dual_mov_b32 v166, 0
	s_mov_b32 s102, exec_lo
	v_cmpx_gt_i32_e64 s101, v148
	s_cbranch_execz .LBB141_114
; %bb.113:                              ;   in Loop: Header=BB141_71 Depth=2
	v_add_nc_u64_e32 v[14:15], v[94:95], v[26:27]
	flat_load_b32 v166, v[14:15]
.LBB141_114:                            ;   in Loop: Header=BB141_71 Depth=2
	s_wait_xcnt 0x0
	s_or_b32 exec_lo, exec_lo, s102
	s_delay_alu instid0(SALU_CYCLE_1)
	s_mov_b32 s102, exec_lo
	v_cmpx_gt_i32_e64 s101, v17
	s_cbranch_execz .LBB141_116
; %bb.115:                              ;   in Loop: Header=BB141_71 Depth=2
	v_add_nc_u64_e32 v[14:15], v[96:97], v[26:27]
	flat_load_b32 v165, v[14:15]
.LBB141_116:                            ;   in Loop: Header=BB141_71 Depth=2
	s_wait_xcnt 0x0
	s_or_b32 exec_lo, exec_lo, s102
	s_mov_b32 s102, 0
.LBB141_117:                            ;   in Loop: Header=BB141_71 Depth=2
	s_delay_alu instid0(SALU_CYCLE_1)
	s_and_b32 vcc_lo, exec_lo, s102
	s_cbranch_vccz .LBB141_119
; %bb.118:                              ;   in Loop: Header=BB141_71 Depth=2
	v_add_nc_u64_e32 v[14:15], v[90:91], v[26:27]
	s_wait_loadcnt_dscnt 0x0
	v_add_nc_u64_e32 v[166:167], v[86:87], v[26:27]
	v_add_nc_u64_e32 v[168:169], v[88:89], v[26:27]
	flat_load_b32 v164, v[12:13]
	flat_load_b32 v163, v[14:15]
	;; [unrolled: 1-line block ×4, first 2 shown]
.LBB141_119:                            ;   in Loop: Header=BB141_71 Depth=2
	s_wait_xcnt 0x1
	ds_load_b32 v167, v114
	ds_load_b128 v[12:15], v124 offset:192
	v_cmp_gt_i32_e32 vcc_lo, s101, v112
	s_or_b32 s91, s91, vcc_lo
	s_delay_alu instid0(SALU_CYCLE_1)
	s_and_b32 s101, s17, s91
	s_wait_loadcnt_dscnt 0x1
	s_wait_xcnt 0x0
	v_dual_mul_f32 v168, v164, v167 :: v_dual_mul_f32 v169, v163, v167
	v_dual_mul_f32 v170, v166, v167 :: v_dual_mul_f32 v167, v165, v167
	ds_store_2addr_b32 v125, v168, v169 offset1:67
	ds_store_2addr_b32 v125, v170, v167 offset0:134 offset1:201
	s_wait_dscnt 0x0
	s_barrier_signal -1
	s_barrier_wait -1
	ds_load_2addr_b32 v[168:169], v143 offset1:1
	ds_load_2addr_b32 v[170:171], v143 offset0:2 offset1:3
	v_add_f32_e32 v110, 0, v110
	s_wait_dscnt 0x0
	s_barrier_signal -1
	s_barrier_wait -1
	v_dual_add_f32 v167, 0, v168 :: v_dual_add_f32 v106, 0, v106
	v_dual_add_f32 v110, v110, v111 :: v_dual_add_f32 v102, 0, v102
	s_delay_alu instid0(VALU_DEP_2) | instskip(NEXT) | instid1(VALU_DEP_2)
	v_add_f32_e32 v106, v106, v107
	v_dual_add_f32 v102, v102, v103 :: v_dual_add_f32 v103, v167, v169
	s_delay_alu instid0(VALU_DEP_3) | instskip(NEXT) | instid1(VALU_DEP_3)
	v_add_f32_e32 v107, v110, v108
	v_add_f32_e32 v104, v106, v104
	s_delay_alu instid0(VALU_DEP_3) | instskip(NEXT) | instid1(VALU_DEP_3)
	v_dual_add_f32 v100, v102, v100 :: v_dual_add_f32 v102, v103, v170
	v_add_f32_e32 v103, v107, v109
	s_delay_alu instid0(VALU_DEP_3) | instskip(NEXT) | instid1(VALU_DEP_3)
	v_add_f32_e32 v104, v104, v105
	v_dual_add_f32 v100, v100, v101 :: v_dual_add_f32 v101, v102, v171
	ds_store_2addr_b32 v126, v100, v104 offset1:16
	ds_store_2addr_b32 v126, v103, v101 offset0:32 offset1:48
	s_wait_dscnt 0x0
	s_barrier_signal -1
	s_barrier_wait -1
	s_and_saveexec_b32 s91, s101
	s_cbranch_execz .LBB141_121
; %bb.120:                              ;   in Loop: Header=BB141_71 Depth=2
	ds_load_2addr_b32 v[100:101], v127 offset1:1
	ds_load_2addr_b32 v[102:103], v127 offset0:2 offset1:3
	ds_load_2addr_b32 v[104:105], v127 offset0:4 offset1:5
	ds_load_2addr_b32 v[106:107], v127 offset0:6 offset1:7
	s_wait_dscnt 0x3
	v_add_f32_e32 v100, v100, v101
	s_wait_dscnt 0x2
	s_delay_alu instid0(VALU_DEP_1) | instskip(NEXT) | instid1(VALU_DEP_1)
	v_add_f32_e32 v100, v100, v102
	v_add_f32_e32 v102, v100, v103
	ds_load_2addr_b32 v[100:101], v127 offset0:8 offset1:9
	s_wait_dscnt 0x2
	v_add_f32_e32 v102, v102, v104
	s_delay_alu instid0(VALU_DEP_1) | instskip(SKIP_3) | instid1(VALU_DEP_1)
	v_add_f32_e32 v104, v102, v105
	ds_load_2addr_b32 v[102:103], v127 offset0:10 offset1:11
	s_wait_dscnt 0x2
	v_add_f32_e32 v104, v104, v106
	v_add_f32_e32 v106, v104, v107
	ds_load_2addr_b32 v[104:105], v127 offset0:12 offset1:13
	ds_load_b32 v107, v127 offset:56
	s_wait_dscnt 0x3
	v_add_f32_e32 v100, v106, v100
	s_delay_alu instid0(VALU_DEP_1) | instskip(SKIP_3) | instid1(VALU_DEP_1)
	v_add_f32_e32 v100, v100, v101
	ds_load_b32 v101, v128
	s_wait_dscnt 0x3
	v_add_f32_e32 v100, v100, v102
	v_add_f32_e32 v100, v100, v103
	s_wait_dscnt 0x2
	s_delay_alu instid0(VALU_DEP_1) | instskip(NEXT) | instid1(VALU_DEP_1)
	v_add_f32_e32 v100, v100, v104
	v_add_f32_e32 v100, v100, v105
	s_wait_dscnt 0x1
	s_delay_alu instid0(VALU_DEP_1) | instskip(SKIP_1) | instid1(VALU_DEP_1)
	v_add_f32_e32 v100, v100, v107
	s_wait_dscnt 0x0
	v_add_f32_e32 v100, v100, v101
	global_store_b32 v18, v100, s[88:89] scale_offset
.LBB141_121:                            ;   in Loop: Header=BB141_71 Depth=2
	s_wait_xcnt 0x0
	s_or_b32 exec_lo, exec_lo, s91
	v_dual_fmac_f32 v150, v152, v0 :: v_dual_add_nc_u32 v18, 64, v18
	v_add_nc_u64_e32 v[52:53], s[58:59], v[52:53]
	v_add_nc_u64_e32 v[54:55], s[58:59], v[54:55]
	;; [unrolled: 1-line block ×3, first 2 shown]
	s_delay_alu instid0(VALU_DEP_4)
	v_fmac_f32_e32 v150, v151, v1
	v_add_nc_u64_e32 v[98:99], s[58:59], v[98:99]
	v_add_nc_u64_e32 v[58:59], s[58:59], v[58:59]
	v_add_nc_u64_e32 v[60:61], s[58:59], v[60:61]
	v_add_nc_u64_e32 v[62:63], s[58:59], v[62:63]
	v_fmac_f32_e32 v150, v154, v2
	v_add_nc_u64_e32 v[64:65], s[58:59], v[64:65]
	v_add_nc_u64_e32 v[66:67], s[58:59], v[66:67]
	v_add_nc_u64_e32 v[68:69], s[58:59], v[68:69]
	v_add_nc_u64_e32 v[70:71], s[58:59], v[70:71]
	;; [unrolled: 5-line block ×5, first 2 shown]
	v_fmac_f32_e32 v150, v158, v6
	v_add_nc_u64_e32 v[96:97], s[58:59], v[96:97]
	s_add_co_i32 s91, s100, 1
	s_add_co_i32 s100, s100, 2
	;; [unrolled: 1-line block ×3, first 2 shown]
	v_fmac_f32_e32 v150, v157, v7
	s_cmp_ge_u32 s100, s28
	s_wait_storecnt 0x0
	s_barrier_signal -1
	s_barrier_wait -1
	v_fmac_f32_e32 v150, v161, v8
	s_delay_alu instid0(VALU_DEP_1) | instskip(NEXT) | instid1(VALU_DEP_1)
	v_fmac_f32_e32 v150, v159, v9
	v_fmac_f32_e32 v150, v162, v10
	s_delay_alu instid0(VALU_DEP_1) | instskip(NEXT) | instid1(VALU_DEP_1)
	v_fmac_f32_e32 v150, v160, v11
	;; [unrolled: 3-line block ×3, first 2 shown]
	v_fmac_f32_e32 v150, v166, v14
	s_delay_alu instid0(VALU_DEP_1)
	v_fmac_f32_e32 v150, v165, v15
	s_cbranch_scc1 .LBB141_123
; %bb.122:                              ;   in Loop: Header=BB141_71 Depth=2
	s_mov_b32 s100, s91
	s_delay_alu instid0(SALU_CYCLE_1)
	s_cmp_eq_u32 s96, s100
	s_cselect_b32 s101, s94, 0
	s_and_saveexec_b32 s102, s0
	s_cbranch_execnz .LBB141_68
	s_branch .LBB141_71
.LBB141_123:                            ;   in Loop: Header=BB141_4 Depth=1
	ds_store_b32 v140, v150
	s_wait_dscnt 0x0
	s_barrier_signal -1
	s_barrier_wait -1
	s_and_saveexec_b32 s90, s98
	s_cbranch_execz .LBB141_2
; %bb.124:                              ;   in Loop: Header=BB141_4 Depth=1
	ds_load_2addr_b32 v[0:1], v113 offset1:67
	ds_load_2addr_b32 v[2:3], v113 offset0:134 offset1:201
	s_wait_dscnt 0x1
	v_add_f32_e32 v0, v0, v1
	s_wait_dscnt 0x0
	s_delay_alu instid0(VALU_DEP_1) | instskip(NEXT) | instid1(VALU_DEP_1)
	v_add_f32_e32 v0, v0, v2
	v_add_f32_e32 v2, v0, v3
	v_lshl_add_u64 v[0:1], v[20:21], 2, s[88:89]
	global_store_b32 v[0:1], v2, off
	s_branch .LBB141_2
.LBB141_125:                            ;   in Loop: Header=BB141_4 Depth=1
	ds_load_b32 v2, v144
	s_wait_dscnt 0x0
	ds_store_b32 v118, v2
	s_or_b32 exec_lo, exec_lo, s88
	s_and_saveexec_b32 s88, s7
	s_cbranch_execz .LBB141_26
.LBB141_126:                            ;   in Loop: Header=BB141_4 Depth=1
	ds_load_b32 v2, v145
	s_wait_dscnt 0x0
	ds_store_b32 v118, v2 offset:4
	s_or_b32 exec_lo, exec_lo, s88
	s_and_saveexec_b32 s88, s8
	s_cbranch_execz .LBB141_27
.LBB141_127:                            ;   in Loop: Header=BB141_4 Depth=1
	ds_load_b32 v2, v145 offset:132
	s_wait_dscnt 0x0
	ds_store_b32 v118, v2 offset:8
	s_or_b32 exec_lo, exec_lo, s88
	s_and_saveexec_b32 s88, s9
	s_cbranch_execnz .LBB141_28
	s_branch .LBB141_29
.LBB141_128:                            ;   in Loop: Header=BB141_4 Depth=1
	ds_load_b32 v2, v144
	s_wait_dscnt 0x0
	ds_store_b32 v118, v2
	s_or_b32 exec_lo, exec_lo, s88
	s_and_saveexec_b32 s88, s7
	s_cbranch_execz .LBB141_45
.LBB141_129:                            ;   in Loop: Header=BB141_4 Depth=1
	ds_load_b32 v2, v145
	s_wait_dscnt 0x0
	ds_store_b32 v118, v2 offset:4
	s_or_b32 exec_lo, exec_lo, s88
	s_and_saveexec_b32 s88, s8
	s_cbranch_execz .LBB141_46
.LBB141_130:                            ;   in Loop: Header=BB141_4 Depth=1
	ds_load_b32 v2, v145 offset:132
	s_wait_dscnt 0x0
	ds_store_b32 v118, v2 offset:8
	s_or_b32 exec_lo, exec_lo, s88
	s_and_saveexec_b32 s88, s9
	s_cbranch_execnz .LBB141_47
	s_branch .LBB141_48
.LBB141_131:
	s_sendmsg sendmsg(MSG_DEALLOC_VGPRS)
	s_endpgm
	.section	.rodata,"a",@progbits
	.p2align	6, 0x0
	.amdhsa_kernel _ZL26rocblas_hemvn_kernel_upperILb0ELi64ELi4ELi33ELi32ELi16EifPKPKfPfEviT6_lT7_lT5_lS6_lS7_lS5_lT8_i
		.amdhsa_group_segment_fixed_size 4800
		.amdhsa_private_segment_fixed_size 0
		.amdhsa_kernarg_size 368
		.amdhsa_user_sgpr_count 2
		.amdhsa_user_sgpr_dispatch_ptr 0
		.amdhsa_user_sgpr_queue_ptr 0
		.amdhsa_user_sgpr_kernarg_segment_ptr 1
		.amdhsa_user_sgpr_dispatch_id 0
		.amdhsa_user_sgpr_kernarg_preload_length 0
		.amdhsa_user_sgpr_kernarg_preload_offset 0
		.amdhsa_user_sgpr_private_segment_size 0
		.amdhsa_wavefront_size32 1
		.amdhsa_uses_dynamic_stack 0
		.amdhsa_enable_private_segment 0
		.amdhsa_system_sgpr_workgroup_id_x 1
		.amdhsa_system_sgpr_workgroup_id_y 0
		.amdhsa_system_sgpr_workgroup_id_z 1
		.amdhsa_system_sgpr_workgroup_info 0
		.amdhsa_system_vgpr_workitem_id 1
		.amdhsa_next_free_vgpr 172
		.amdhsa_next_free_sgpr 104
		.amdhsa_named_barrier_count 0
		.amdhsa_reserve_vcc 1
		.amdhsa_float_round_mode_32 0
		.amdhsa_float_round_mode_16_64 0
		.amdhsa_float_denorm_mode_32 3
		.amdhsa_float_denorm_mode_16_64 3
		.amdhsa_fp16_overflow 0
		.amdhsa_memory_ordered 1
		.amdhsa_forward_progress 1
		.amdhsa_inst_pref_size 53
		.amdhsa_round_robin_scheduling 0
		.amdhsa_exception_fp_ieee_invalid_op 0
		.amdhsa_exception_fp_denorm_src 0
		.amdhsa_exception_fp_ieee_div_zero 0
		.amdhsa_exception_fp_ieee_overflow 0
		.amdhsa_exception_fp_ieee_underflow 0
		.amdhsa_exception_fp_ieee_inexact 0
		.amdhsa_exception_int_div_zero 0
	.end_amdhsa_kernel
	.section	.text._ZL26rocblas_hemvn_kernel_upperILb0ELi64ELi4ELi33ELi32ELi16EifPKPKfPfEviT6_lT7_lT5_lS6_lS7_lS5_lT8_i,"axG",@progbits,_ZL26rocblas_hemvn_kernel_upperILb0ELi64ELi4ELi33ELi32ELi16EifPKPKfPfEviT6_lT7_lT5_lS6_lS7_lS5_lT8_i,comdat
.Lfunc_end141:
	.size	_ZL26rocblas_hemvn_kernel_upperILb0ELi64ELi4ELi33ELi32ELi16EifPKPKfPfEviT6_lT7_lT5_lS6_lS7_lS5_lT8_i, .Lfunc_end141-_ZL26rocblas_hemvn_kernel_upperILb0ELi64ELi4ELi33ELi32ELi16EifPKPKfPfEviT6_lT7_lT5_lS6_lS7_lS5_lT8_i
                                        ; -- End function
	.set _ZL26rocblas_hemvn_kernel_upperILb0ELi64ELi4ELi33ELi32ELi16EifPKPKfPfEviT6_lT7_lT5_lS6_lS7_lS5_lT8_i.num_vgpr, 172
	.set _ZL26rocblas_hemvn_kernel_upperILb0ELi64ELi4ELi33ELi32ELi16EifPKPKfPfEviT6_lT7_lT5_lS6_lS7_lS5_lT8_i.num_agpr, 0
	.set _ZL26rocblas_hemvn_kernel_upperILb0ELi64ELi4ELi33ELi32ELi16EifPKPKfPfEviT6_lT7_lT5_lS6_lS7_lS5_lT8_i.numbered_sgpr, 104
	.set _ZL26rocblas_hemvn_kernel_upperILb0ELi64ELi4ELi33ELi32ELi16EifPKPKfPfEviT6_lT7_lT5_lS6_lS7_lS5_lT8_i.num_named_barrier, 0
	.set _ZL26rocblas_hemvn_kernel_upperILb0ELi64ELi4ELi33ELi32ELi16EifPKPKfPfEviT6_lT7_lT5_lS6_lS7_lS5_lT8_i.private_seg_size, 0
	.set _ZL26rocblas_hemvn_kernel_upperILb0ELi64ELi4ELi33ELi32ELi16EifPKPKfPfEviT6_lT7_lT5_lS6_lS7_lS5_lT8_i.uses_vcc, 1
	.set _ZL26rocblas_hemvn_kernel_upperILb0ELi64ELi4ELi33ELi32ELi16EifPKPKfPfEviT6_lT7_lT5_lS6_lS7_lS5_lT8_i.uses_flat_scratch, 1
	.set _ZL26rocblas_hemvn_kernel_upperILb0ELi64ELi4ELi33ELi32ELi16EifPKPKfPfEviT6_lT7_lT5_lS6_lS7_lS5_lT8_i.has_dyn_sized_stack, 0
	.set _ZL26rocblas_hemvn_kernel_upperILb0ELi64ELi4ELi33ELi32ELi16EifPKPKfPfEviT6_lT7_lT5_lS6_lS7_lS5_lT8_i.has_recursion, 0
	.set _ZL26rocblas_hemvn_kernel_upperILb0ELi64ELi4ELi33ELi32ELi16EifPKPKfPfEviT6_lT7_lT5_lS6_lS7_lS5_lT8_i.has_indirect_call, 0
	.section	.AMDGPU.csdata,"",@progbits
; Kernel info:
; codeLenInByte = 6752
; TotalNumSgprs: 106
; NumVgprs: 172
; ScratchSize: 0
; MemoryBound: 0
; FloatMode: 240
; IeeeMode: 1
; LDSByteSize: 4800 bytes/workgroup (compile time only)
; SGPRBlocks: 0
; VGPRBlocks: 10
; NumSGPRsForWavesPerEU: 106
; NumVGPRsForWavesPerEU: 172
; NamedBarCnt: 0
; Occupancy: 5
; WaveLimiterHint : 1
; COMPUTE_PGM_RSRC2:SCRATCH_EN: 0
; COMPUTE_PGM_RSRC2:USER_SGPR: 2
; COMPUTE_PGM_RSRC2:TRAP_HANDLER: 0
; COMPUTE_PGM_RSRC2:TGID_X_EN: 1
; COMPUTE_PGM_RSRC2:TGID_Y_EN: 0
; COMPUTE_PGM_RSRC2:TGID_Z_EN: 1
; COMPUTE_PGM_RSRC2:TIDIG_COMP_CNT: 1
	.section	.text._ZL36rocblas_hemvn_kernel_upper_block_sumILi64EifPKPffEviT1_lS3_lT2_lT0_lPT3_i,"axG",@progbits,_ZL36rocblas_hemvn_kernel_upper_block_sumILi64EifPKPffEviT1_lS3_lT2_lT0_lPT3_i,comdat
	.globl	_ZL36rocblas_hemvn_kernel_upper_block_sumILi64EifPKPffEviT1_lS3_lT2_lT0_lPT3_i ; -- Begin function _ZL36rocblas_hemvn_kernel_upper_block_sumILi64EifPKPffEviT1_lS3_lT2_lT0_lPT3_i
	.p2align	8
	.type	_ZL36rocblas_hemvn_kernel_upper_block_sumILi64EifPKPffEviT1_lS3_lT2_lT0_lPT3_i,@function
_ZL36rocblas_hemvn_kernel_upper_block_sumILi64EifPKPffEviT1_lS3_lT2_lT0_lPT3_i: ; @_ZL36rocblas_hemvn_kernel_upper_block_sumILi64EifPKPffEviT1_lS3_lT2_lT0_lPT3_i
; %bb.0:
	s_load_b32 s18, s[0:1], 0x48
	s_bfe_u32 s2, ttmp6, 0x40014
	s_lshr_b32 s3, ttmp7, 16
	s_add_co_i32 s2, s2, 1
	s_bfe_u32 s5, ttmp6, 0x40008
	s_mul_i32 s2, s3, s2
	s_getreg_b32 s4, hwreg(HW_REG_IB_STS2, 6, 4)
	s_add_co_i32 s5, s5, s2
	s_cmp_eq_u32 s4, 0
	s_cselect_b32 s2, s3, s5
	s_mov_b32 s3, 0
	s_wait_kmcnt 0x0
	s_cmp_ge_u32 s2, s18
	s_cbranch_scc1 .LBB142_25
; %bb.1:
	s_clause 0x3
	s_load_b64 s[8:9], s[0:1], 0x0
	s_load_b32 s11, s[0:1], 0x10
	s_load_b32 s17, s[0:1], 0x30
	s_load_b64 s[14:15], s[0:1], 0x40
	s_add_nc_u64 s[12:13], s[0:1], 0x50
	s_wait_kmcnt 0x0
	s_cmp_eq_f32 s9, 0
	s_mov_b32 s16, s8
	s_cselect_b32 s19, -1, 0
	s_cmp_neq_f32 s9, 0
	s_cselect_b32 s5, -1, 0
	s_cmp_neq_f32 s11, 1.0
	s_cselect_b32 s6, -1, 0
	s_bfe_u32 s7, ttmp6, 0x4000c
	s_and_b32 s10, ttmp6, 15
	s_add_co_i32 s7, s7, 1
	s_or_b32 s20, s5, s6
	s_mul_i32 s7, ttmp9, s7
	s_delay_alu instid0(SALU_CYCLE_1)
	s_add_co_i32 s10, s10, s7
	s_cmp_eq_u32 s4, 0
	s_load_b128 s[4:7], s[0:1], 0x20
	s_cselect_b32 s22, ttmp9, s10
	s_cmp_neq_f32 s11, 0
	v_lshl_or_b32 v2, s22, 6, v0
	s_mov_b32 s10, s9
	s_wait_xcnt 0x0
	s_cselect_b32 s1, -1, 0
	s_cmp_eq_f32 s11, 0
	v_mul_lo_u32 v0, s17, v2
	v_ashrrev_i32_e32 v3, 31, v2
	v_cmp_gt_i32_e64 s0, s8, v2
	s_cselect_b32 s21, -1, 0
	s_ashr_i32 s17, s8, 31
	s_cmp_gt_i32 s22, -1
	s_cselect_b32 s8, -1, 0
	s_add_co_i32 s22, s22, 1
	v_ashrrev_i32_e32 v1, 31, v0
	v_lshl_add_u64 v[2:3], v[2:3], 2, s[14:15]
	s_lshl_b64 s[14:15], s[16:17], 2
	s_wait_kmcnt 0x0
	s_lshl_b64 s[6:7], s[6:7], 2
	s_branch .LBB142_4
.LBB142_2:                              ;   in Loop: Header=BB142_4 Depth=1
	s_wait_xcnt 0x0
	s_or_b32 exec_lo, exec_lo, s24
.LBB142_3:                              ;   in Loop: Header=BB142_4 Depth=1
	s_add_co_i32 s2, s2, 0x10000
	s_delay_alu instid0(SALU_CYCLE_1)
	s_cmp_lt_u32 s2, s18
	s_cbranch_scc0 .LBB142_25
.LBB142_4:                              ; =>This Loop Header: Depth=1
                                        ;     Child Loop BB142_16 Depth 2
	s_and_not1_b32 vcc_lo, exec_lo, s20
	s_cbranch_vccnz .LBB142_3
; %bb.5:                                ;   in Loop: Header=BB142_4 Depth=1
	s_lshl_b64 s[16:17], s[2:3], 3
	s_and_not1_b32 vcc_lo, exec_lo, s19
	s_add_nc_u64 s[16:17], s[4:5], s[16:17]
	s_load_b64 s[16:17], s[16:17], 0x0
	s_wait_kmcnt 0x0
	s_wait_xcnt 0x0
	s_add_nc_u64 s[16:17], s[16:17], s[6:7]
	s_cbranch_vccnz .LBB142_9
; %bb.6:                                ;   in Loop: Header=BB142_4 Depth=1
	s_mov_b32 s24, 0
	s_mov_b32 s23, 0
                                        ; implicit-def: $vgpr5
	s_and_saveexec_b32 s25, s0
	s_cbranch_execz .LBB142_10
; %bb.7:                                ;   in Loop: Header=BB142_4 Depth=1
	s_and_not1_b32 vcc_lo, exec_lo, s1
	s_cbranch_vccnz .LBB142_11
; %bb.8:                                ;   in Loop: Header=BB142_4 Depth=1
	v_lshl_add_u64 v[4:5], v[0:1], 2, s[16:17]
	flat_load_b32 v4, v[4:5]
	s_wait_loadcnt_dscnt 0x0
	s_wait_xcnt 0x0
	v_mul_f32_e32 v5, s11, v4
	s_branch .LBB142_12
.LBB142_9:                              ;   in Loop: Header=BB142_4 Depth=1
	s_mov_b32 s23, 0
                                        ; implicit-def: $vgpr5
	s_cbranch_execnz .LBB142_13
	s_branch .LBB142_23
.LBB142_10:                             ;   in Loop: Header=BB142_4 Depth=1
	s_or_b32 exec_lo, exec_lo, s25
	s_delay_alu instid0(SALU_CYCLE_1)
	s_and_b32 vcc_lo, exec_lo, s24
	s_cbranch_vccnz .LBB142_13
	s_branch .LBB142_23
.LBB142_11:                             ;   in Loop: Header=BB142_4 Depth=1
	v_mov_b32_e32 v5, 0
.LBB142_12:                             ;   in Loop: Header=BB142_4 Depth=1
	s_mov_b32 s23, exec_lo
	s_or_b32 exec_lo, exec_lo, s25
	s_delay_alu instid0(SALU_CYCLE_1)
	s_and_b32 vcc_lo, exec_lo, s24
	s_cbranch_vccz .LBB142_23
.LBB142_13:                             ;   in Loop: Header=BB142_4 Depth=1
                                        ; implicit-def: $vgpr5
	s_and_saveexec_b32 s24, s0
	s_cbranch_execz .LBB142_22
; %bb.14:                               ;   in Loop: Header=BB142_4 Depth=1
	v_mov_b32_e32 v4, 0
	s_and_not1_b32 vcc_lo, exec_lo, s8
	s_cbranch_vccnz .LBB142_17
; %bb.15:                               ;   in Loop: Header=BB142_4 Depth=1
	s_load_b32 s26, s[12:13], 0x0
	s_mov_b32 s27, s3
	v_mov_b32_e32 v4, 0
	s_mov_b32 s25, s22
	s_wait_kmcnt 0x0
	s_mul_u64 s[26:27], s[14:15], s[26:27]
	s_delay_alu instid0(SALU_CYCLE_1) | instskip(NEXT) | instid1(VALU_DEP_1)
	v_mad_nc_u64_u32 v[6:7], s26, s2, v[2:3]
	v_mad_u32 v7, s27, s2, v7
.LBB142_16:                             ;   Parent Loop BB142_4 Depth=1
                                        ; =>  This Inner Loop Header: Depth=2
	global_load_b32 v5, v[6:7], off
	s_wait_xcnt 0x0
	v_add_nc_u64_e32 v[6:7], s[14:15], v[6:7]
	s_add_co_i32 s25, s25, -1
	s_delay_alu instid0(SALU_CYCLE_1)
	s_cmp_eq_u32 s25, 0
	s_wait_loadcnt 0x0
	v_add_f32_e32 v4, v4, v5
	s_cbranch_scc0 .LBB142_16
.LBB142_17:                             ;   in Loop: Header=BB142_4 Depth=1
	s_and_b32 vcc_lo, exec_lo, s21
	s_mov_b32 s25, -1
                                        ; implicit-def: $vgpr5
	s_cbranch_vccz .LBB142_19
; %bb.18:                               ;   in Loop: Header=BB142_4 Depth=1
	v_mul_f32_e32 v5, s9, v4
	s_mov_b32 s25, 0
.LBB142_19:                             ;   in Loop: Header=BB142_4 Depth=1
	s_delay_alu instid0(SALU_CYCLE_1)
	s_and_not1_b32 vcc_lo, exec_lo, s25
	s_cbranch_vccnz .LBB142_21
; %bb.20:                               ;   in Loop: Header=BB142_4 Depth=1
	v_lshl_add_u64 v[6:7], v[0:1], 2, s[16:17]
	flat_load_b32 v5, v[6:7]
	s_wait_xcnt 0x0
	v_mov_b64_e32 v[6:7], s[10:11]
	s_wait_loadcnt_dscnt 0x0
	s_delay_alu instid0(VALU_DEP_1) | instskip(NEXT) | instid1(VALU_DEP_1)
	v_pk_mul_f32 v[4:5], v[6:7], v[4:5]
	v_add_f32_e32 v5, v4, v5
.LBB142_21:                             ;   in Loop: Header=BB142_4 Depth=1
	s_or_b32 s23, s23, exec_lo
.LBB142_22:                             ;   in Loop: Header=BB142_4 Depth=1
	s_or_b32 exec_lo, exec_lo, s24
.LBB142_23:                             ;   in Loop: Header=BB142_4 Depth=1
	s_and_saveexec_b32 s24, s23
	s_cbranch_execz .LBB142_2
; %bb.24:                               ;   in Loop: Header=BB142_4 Depth=1
	v_lshl_add_u64 v[6:7], v[0:1], 2, s[16:17]
	flat_store_b32 v[6:7], v5
	s_branch .LBB142_2
.LBB142_25:
	s_endpgm
	.section	.rodata,"a",@progbits
	.p2align	6, 0x0
	.amdhsa_kernel _ZL36rocblas_hemvn_kernel_upper_block_sumILi64EifPKPffEviT1_lS3_lT2_lT0_lPT3_i
		.amdhsa_group_segment_fixed_size 0
		.amdhsa_private_segment_fixed_size 0
		.amdhsa_kernarg_size 336
		.amdhsa_user_sgpr_count 2
		.amdhsa_user_sgpr_dispatch_ptr 0
		.amdhsa_user_sgpr_queue_ptr 0
		.amdhsa_user_sgpr_kernarg_segment_ptr 1
		.amdhsa_user_sgpr_dispatch_id 0
		.amdhsa_user_sgpr_kernarg_preload_length 0
		.amdhsa_user_sgpr_kernarg_preload_offset 0
		.amdhsa_user_sgpr_private_segment_size 0
		.amdhsa_wavefront_size32 1
		.amdhsa_uses_dynamic_stack 0
		.amdhsa_enable_private_segment 0
		.amdhsa_system_sgpr_workgroup_id_x 1
		.amdhsa_system_sgpr_workgroup_id_y 0
		.amdhsa_system_sgpr_workgroup_id_z 1
		.amdhsa_system_sgpr_workgroup_info 0
		.amdhsa_system_vgpr_workitem_id 0
		.amdhsa_next_free_vgpr 8
		.amdhsa_next_free_sgpr 28
		.amdhsa_named_barrier_count 0
		.amdhsa_reserve_vcc 1
		.amdhsa_float_round_mode_32 0
		.amdhsa_float_round_mode_16_64 0
		.amdhsa_float_denorm_mode_32 3
		.amdhsa_float_denorm_mode_16_64 3
		.amdhsa_fp16_overflow 0
		.amdhsa_memory_ordered 1
		.amdhsa_forward_progress 1
		.amdhsa_inst_pref_size 6
		.amdhsa_round_robin_scheduling 0
		.amdhsa_exception_fp_ieee_invalid_op 0
		.amdhsa_exception_fp_denorm_src 0
		.amdhsa_exception_fp_ieee_div_zero 0
		.amdhsa_exception_fp_ieee_overflow 0
		.amdhsa_exception_fp_ieee_underflow 0
		.amdhsa_exception_fp_ieee_inexact 0
		.amdhsa_exception_int_div_zero 0
	.end_amdhsa_kernel
	.section	.text._ZL36rocblas_hemvn_kernel_upper_block_sumILi64EifPKPffEviT1_lS3_lT2_lT0_lPT3_i,"axG",@progbits,_ZL36rocblas_hemvn_kernel_upper_block_sumILi64EifPKPffEviT1_lS3_lT2_lT0_lPT3_i,comdat
.Lfunc_end142:
	.size	_ZL36rocblas_hemvn_kernel_upper_block_sumILi64EifPKPffEviT1_lS3_lT2_lT0_lPT3_i, .Lfunc_end142-_ZL36rocblas_hemvn_kernel_upper_block_sumILi64EifPKPffEviT1_lS3_lT2_lT0_lPT3_i
                                        ; -- End function
	.set _ZL36rocblas_hemvn_kernel_upper_block_sumILi64EifPKPffEviT1_lS3_lT2_lT0_lPT3_i.num_vgpr, 8
	.set _ZL36rocblas_hemvn_kernel_upper_block_sumILi64EifPKPffEviT1_lS3_lT2_lT0_lPT3_i.num_agpr, 0
	.set _ZL36rocblas_hemvn_kernel_upper_block_sumILi64EifPKPffEviT1_lS3_lT2_lT0_lPT3_i.numbered_sgpr, 28
	.set _ZL36rocblas_hemvn_kernel_upper_block_sumILi64EifPKPffEviT1_lS3_lT2_lT0_lPT3_i.num_named_barrier, 0
	.set _ZL36rocblas_hemvn_kernel_upper_block_sumILi64EifPKPffEviT1_lS3_lT2_lT0_lPT3_i.private_seg_size, 0
	.set _ZL36rocblas_hemvn_kernel_upper_block_sumILi64EifPKPffEviT1_lS3_lT2_lT0_lPT3_i.uses_vcc, 1
	.set _ZL36rocblas_hemvn_kernel_upper_block_sumILi64EifPKPffEviT1_lS3_lT2_lT0_lPT3_i.uses_flat_scratch, 0
	.set _ZL36rocblas_hemvn_kernel_upper_block_sumILi64EifPKPffEviT1_lS3_lT2_lT0_lPT3_i.has_dyn_sized_stack, 0
	.set _ZL36rocblas_hemvn_kernel_upper_block_sumILi64EifPKPffEviT1_lS3_lT2_lT0_lPT3_i.has_recursion, 0
	.set _ZL36rocblas_hemvn_kernel_upper_block_sumILi64EifPKPffEviT1_lS3_lT2_lT0_lPT3_i.has_indirect_call, 0
	.section	.AMDGPU.csdata,"",@progbits
; Kernel info:
; codeLenInByte = 712
; TotalNumSgprs: 30
; NumVgprs: 8
; ScratchSize: 0
; MemoryBound: 0
; FloatMode: 240
; IeeeMode: 1
; LDSByteSize: 0 bytes/workgroup (compile time only)
; SGPRBlocks: 0
; VGPRBlocks: 0
; NumSGPRsForWavesPerEU: 30
; NumVGPRsForWavesPerEU: 8
; NamedBarCnt: 0
; Occupancy: 16
; WaveLimiterHint : 1
; COMPUTE_PGM_RSRC2:SCRATCH_EN: 0
; COMPUTE_PGM_RSRC2:USER_SGPR: 2
; COMPUTE_PGM_RSRC2:TRAP_HANDLER: 0
; COMPUTE_PGM_RSRC2:TGID_X_EN: 1
; COMPUTE_PGM_RSRC2:TGID_Y_EN: 0
; COMPUTE_PGM_RSRC2:TGID_Z_EN: 1
; COMPUTE_PGM_RSRC2:TIDIG_COMP_CNT: 0
	.section	.text._ZL50rocblas_symv_kernel_lower_double_buffered_diagonalILi32ELi4E24rocblas_internal_val_ptrIfEPKPKfPKPfEvbiT1_lT2_lllSA_lllS9_lT3_llli,"axG",@progbits,_ZL50rocblas_symv_kernel_lower_double_buffered_diagonalILi32ELi4E24rocblas_internal_val_ptrIfEPKPKfPKPfEvbiT1_lT2_lllSA_lllS9_lT3_llli,comdat
	.globl	_ZL50rocblas_symv_kernel_lower_double_buffered_diagonalILi32ELi4E24rocblas_internal_val_ptrIfEPKPKfPKPfEvbiT1_lT2_lllSA_lllS9_lT3_llli ; -- Begin function _ZL50rocblas_symv_kernel_lower_double_buffered_diagonalILi32ELi4E24rocblas_internal_val_ptrIfEPKPKfPKPfEvbiT1_lT2_lllSA_lllS9_lT3_llli
	.p2align	8
	.type	_ZL50rocblas_symv_kernel_lower_double_buffered_diagonalILi32ELi4E24rocblas_internal_val_ptrIfEPKPKfPKPfEvbiT1_lT2_lllSA_lllS9_lT3_llli,@function
_ZL50rocblas_symv_kernel_lower_double_buffered_diagonalILi32ELi4E24rocblas_internal_val_ptrIfEPKPKfPKPfEvbiT1_lT2_lllSA_lllS9_lT3_llli: ; @_ZL50rocblas_symv_kernel_lower_double_buffered_diagonalILi32ELi4E24rocblas_internal_val_ptrIfEPKPKfPKPfEvbiT1_lT2_lllSA_lllS9_lT3_llli
; %bb.0:
	s_load_b64 s[4:5], s[0:1], 0x4
	s_clause 0x1
	s_load_b256 s[8:15], s[2:3], 0x8
	s_load_b128 s[16:19], s[2:3], 0x58
	v_bfe_u32 v8, v0, 10, 10
	s_load_b32 s33, s[2:3], 0x88
	v_and_b32_e32 v2, 0x3ff, v0
	v_bfe_u32 v0, v0, 20, 10
	s_wait_xcnt 0x0
	s_bfe_u32 s1, ttmp6, 0x40014
	s_lshr_b32 s0, ttmp7, 16
	s_add_co_i32 s1, s1, 1
	s_wait_kmcnt 0x0
	v_mul_u32_u24_e32 v1, s5, v8
	s_lshr_b32 s4, s4, 16
	v_dual_mov_b32 v4, s8 :: v_dual_mov_b32 v5, s9
	s_mul_i32 s4, s4, s5
	s_bfe_u32 s5, ttmp6, 0x40008
	v_mad_u32_u24 v1, s4, v2, v1
	s_mul_i32 s4, s0, s1
	s_getreg_b32 s1, hwreg(HW_REG_IB_STS2, 6, 4)
	s_add_co_i32 s5, s5, s4
	s_cmp_eq_u32 s1, 0
	v_add_lshl_u32 v0, v1, v0, 3
	v_dual_mov_b32 v6, s16 :: v_dual_mov_b32 v7, s17
	s_cselect_b32 s16, s0, s5
	s_mov_b32 s17, 0
	s_delay_alu instid0(VALU_DEP_2)
	v_add_nc_u32_e32 v1, 0x80, v0
	s_cmp_ge_u32 s16, s33
	ds_store_2addr_stride64_b64 v1, v[6:7], v[4:5] offset0:10 offset1:12
	s_cbranch_scc1 .LBB143_48
; %bb.1:
	s_clause 0x5
	s_load_b32 s6, s[2:3], 0x0
	s_load_b64 s[38:39], s[2:3], 0x28
	s_load_b128 s[20:23], s[2:3], 0x38
	s_load_b64 s[4:5], s[2:3], 0x48
	s_load_b64 s[28:29], s[2:3], 0x68
	s_load_b128 s[24:27], s[2:3], 0x70
	v_dual_mov_b32 v3, 0 :: v_dual_add_nc_u32 v14, 0x1880, v0
	v_dual_lshlrev_b32 v11, 2, v2 :: v_dual_lshlrev_b32 v12, 7, v8
	v_add_nc_u32_e32 v15, 0x1480, v0
	v_sub_co_u32 v13, s40, v2, v8
	s_delay_alu instid0(VALU_DEP_3) | instskip(SKIP_1) | instid1(VALU_DEP_3)
	v_dual_mov_b32 v9, v3 :: v_dual_add_nc_u32 v16, 0x1400, v11
	v_lshl_add_u32 v10, v8, 5, v2
	v_sub_nc_u32_e32 v17, 0, v13
	v_cmp_eq_u32_e64 s0, 0, v8
	v_mul_u32_u24_e32 v18, 0x7c, v2
	v_add_nc_u32_e32 v22, 0x200, v12
	v_add_nc_u32_e32 v24, 0x600, v12
	;; [unrolled: 1-line block ×3, first 2 shown]
	v_lshl_add_u32 v20, v10, 2, 0x1000
	s_wait_kmcnt 0x0
	v_mul_u64_e32 v[6:7], s[4:5], v[2:3]
	v_mul_u64_e32 v[4:5], s[38:39], v[8:9]
	;; [unrolled: 1-line block ×3, first 2 shown]
	s_bitcmp1_b32 s6, 0
	v_lshlrev_b32_e32 v8, 2, v8
	s_cselect_b32 s2, -1, 0
	s_bfe_u32 s3, ttmp6, 0x4000c
	s_and_b32 s6, ttmp6, 15
	s_add_co_i32 s3, s3, 1
	s_xor_b32 s41, s2, -1
	s_mul_i32 s3, ttmp9, s3
	v_dual_add_nc_u32 v17, v11, v12 :: v_dual_max_i32 v13, v13, v17
	s_add_co_i32 s6, s6, s3
	s_cmp_eq_u32 s1, 0
	s_add_nc_u64 s[2:3], s[38:39], 1
	s_cselect_b32 s1, ttmp9, s6
	v_add_nc_u32_e32 v9, 0x400, v12
	s_lshl_b32 s6, s1, 5
	v_add3_u32 v18, v11, v18, v8
	s_ashr_i32 s7, s6, 31
	v_cmp_gt_u32_e64 s8, 28, v13
	s_mul_u64 s[26:27], s[26:27], s[6:7]
	s_mul_u64 s[30:31], s[2:3], s[6:7]
	;; [unrolled: 1-line block ×3, first 2 shown]
	v_cmp_gt_u32_e64 s2, 4, v13
	v_cmp_gt_u32_e64 s3, 8, v13
	;; [unrolled: 1-line block ×6, first 2 shown]
	v_add_nc_u32_e32 v13, 0xe00, v12
	v_add_nc_u32_e32 v19, 0x1400, v8
	;; [unrolled: 1-line block ×4, first 2 shown]
	v_cmp_lt_u32_e64 s1, 15, v2
	v_or_b32_e32 v21, 0x1000, v11
	v_dual_lshlrev_b32 v2, 2, v2 :: v_dual_add_nc_u32 v23, v11, v9
	v_dual_add_nc_u32 v22, v11, v22 :: v_dual_add_nc_u32 v24, v11, v24
	v_dual_add_nc_u32 v25, v11, v13 :: v_dual_add_nc_u32 v26, v11, v8
	;; [unrolled: 1-line block ×3, first 2 shown]
	s_lshl_b64 s[36:37], s[38:39], 2
	s_lshl_b64 s[38:39], s[38:39], 4
	;; [unrolled: 1-line block ×3, first 2 shown]
	s_branch .LBB143_4
.LBB143_2:                              ;   in Loop: Header=BB143_4 Depth=1
	s_wait_xcnt 0x0
	s_or_b32 exec_lo, exec_lo, s9
.LBB143_3:                              ;   in Loop: Header=BB143_4 Depth=1
	s_delay_alu instid0(SALU_CYCLE_1) | instskip(SKIP_1) | instid1(SALU_CYCLE_1)
	s_or_b32 exec_lo, exec_lo, s42
	s_add_co_i32 s16, s16, 0x10000
	s_cmp_lt_u32 s16, s33
	s_cbranch_scc0 .LBB143_48
.LBB143_4:                              ; =>This Inner Loop Header: Depth=1
	s_and_b32 vcc_lo, exec_lo, s41
	s_mov_b32 s9, -1
                                        ; implicit-def: $vgpr29
	s_cbranch_vccnz .LBB143_38
; %bb.5:                                ;   in Loop: Header=BB143_4 Depth=1
	s_and_not1_b32 vcc_lo, exec_lo, s9
	s_cbranch_vccz .LBB143_39
.LBB143_6:                              ;   in Loop: Header=BB143_4 Depth=1
	s_and_b32 vcc_lo, exec_lo, s41
	s_mov_b32 s9, -1
                                        ; implicit-def: $vgpr30
	s_cbranch_vccnz .LBB143_40
.LBB143_7:                              ;   in Loop: Header=BB143_4 Depth=1
	s_and_not1_b32 vcc_lo, exec_lo, s9
	s_cbranch_vccnz .LBB143_9
.LBB143_8:                              ;   in Loop: Header=BB143_4 Depth=1
	s_wait_loadcnt_dscnt 0x0
	ds_load_b32 v30, v15
.LBB143_9:                              ;   in Loop: Header=BB143_4 Depth=1
	s_wait_loadcnt_dscnt 0x0
	v_cmp_neq_f32_e32 vcc_lo, 0, v29
	v_cmp_neq_f32_e64 s9, 1.0, v30
	s_or_b32 s9, vcc_lo, s9
	s_wait_xcnt 0x0
	s_and_saveexec_b32 s42, s9
	s_cbranch_execz .LBB143_3
; %bb.10:                               ;   in Loop: Header=BB143_4 Depth=1
	v_mov_b64_e32 v[8:9], s[16:17]
	v_cmp_neq_f32_e64 s9, 0, v29
	v_cmp_eq_f32_e32 vcc_lo, 0, v29
	s_and_saveexec_b32 s43, vcc_lo
	s_delay_alu instid0(SALU_CYCLE_1)
	s_xor_b32 s43, exec_lo, s43
; %bb.11:                               ;   in Loop: Header=BB143_4 Depth=1
	v_mov_b64_e32 v[8:9], s[16:17]
; %bb.12:                               ;   in Loop: Header=BB143_4 Depth=1
	s_or_saveexec_b32 s43, s43
	v_mov_b64_e32 v[12:13], 0
	v_mov_b64_e32 v[10:11], 0
	s_xor_b32 exec_lo, exec_lo, s43
	s_cbranch_execz .LBB143_14
; %bb.13:                               ;   in Loop: Header=BB143_4 Depth=1
	s_lshl_b64 s[44:45], s[16:17], 3
	s_delay_alu instid0(SALU_CYCLE_1)
	s_add_nc_u64 s[44:45], s[12:13], s[44:45]
	global_load_b64 v[10:11], v3, s[44:45]
	s_wait_loadcnt 0x0
	v_add_nc_u64_e32 v[10:11], s[14:15], v[10:11]
.LBB143_14:                             ;   in Loop: Header=BB143_4 Depth=1
	s_wait_xcnt 0x0
	s_or_b32 exec_lo, exec_lo, s43
	s_and_saveexec_b32 s43, s9
	s_cbranch_execz .LBB143_16
; %bb.15:                               ;   in Loop: Header=BB143_4 Depth=1
	v_lshl_add_u64 v[12:13], v[8:9], 3, s[20:21]
	global_load_b64 v[12:13], v[12:13], off
	s_wait_loadcnt 0x0
	s_wait_xcnt 0x0
	v_lshl_add_u64 v[12:13], s[22:23], 2, v[12:13]
.LBB143_16:                             ;   in Loop: Header=BB143_4 Depth=1
	s_or_b32 exec_lo, exec_lo, s43
	v_lshl_add_u64 v[8:9], v[8:9], 3, s[28:29]
	global_load_b64 v[8:9], v[8:9], off
	s_wait_loadcnt 0x0
	s_wait_xcnt 0x0
	v_lshl_add_u64 v[8:9], s[24:25], 2, v[8:9]
	s_delay_alu instid0(VALU_DEP_1) | instskip(SKIP_1) | instid1(SALU_CYCLE_1)
	v_lshl_add_u64 v[8:9], s[26:27], 2, v[8:9]
	s_and_saveexec_b32 s9, vcc_lo
	s_xor_b32 s9, exec_lo, s9
	s_cbranch_execz .LBB143_20
; %bb.17:                               ;   in Loop: Header=BB143_4 Depth=1
	s_and_saveexec_b32 s43, s0
	s_cbranch_execz .LBB143_19
; %bb.18:                               ;   in Loop: Header=BB143_4 Depth=1
	v_lshl_add_u64 v[8:9], v[0:1], 2, v[8:9]
	flat_load_b32 v10, v[8:9]
	s_wait_loadcnt_dscnt 0x0
	v_mul_f32_e32 v10, v30, v10
	flat_store_b32 v[8:9], v10
.LBB143_19:                             ;   in Loop: Header=BB143_4 Depth=1
	s_wait_xcnt 0x0
	s_or_b32 exec_lo, exec_lo, s43
                                        ; implicit-def: $vgpr29
                                        ; implicit-def: $vgpr30
                                        ; implicit-def: $vgpr8_vgpr9
                                        ; implicit-def: $vgpr10_vgpr11
                                        ; implicit-def: $vgpr12_vgpr13
.LBB143_20:                             ;   in Loop: Header=BB143_4 Depth=1
	s_and_not1_saveexec_b32 s9, s9
	s_cbranch_execz .LBB143_3
; %bb.21:                               ;   in Loop: Header=BB143_4 Depth=1
	v_mov_b32_e32 v31, 0
	s_and_saveexec_b32 s9, s0
	s_cbranch_execz .LBB143_25
; %bb.22:                               ;   in Loop: Header=BB143_4 Depth=1
	v_mov_b32_e32 v31, 0
	s_mov_b32 s43, exec_lo
	v_cmpx_neq_f32_e32 0, v30
	s_cbranch_execz .LBB143_24
; %bb.23:                               ;   in Loop: Header=BB143_4 Depth=1
	v_lshl_add_u64 v[32:33], v[0:1], 2, v[8:9]
	flat_load_b32 v31, v[32:33]
	s_wait_loadcnt_dscnt 0x0
	v_mul_f32_e32 v31, v30, v31
.LBB143_24:                             ;   in Loop: Header=BB143_4 Depth=1
	s_wait_xcnt 0x0
	s_or_b32 exec_lo, exec_lo, s43
	v_lshl_add_u64 v[12:13], s[34:35], 2, v[12:13]
	s_delay_alu instid0(VALU_DEP_1)
	v_lshl_add_u64 v[12:13], v[6:7], 2, v[12:13]
	flat_load_b32 v12, v[12:13]
	s_wait_loadcnt_dscnt 0x0
	ds_store_b32 v16, v12
.LBB143_25:                             ;   in Loop: Header=BB143_4 Depth=1
	s_wait_xcnt 0x0
	s_or_b32 exec_lo, exec_lo, s9
	v_lshl_add_u64 v[10:11], s[30:31], 2, v[10:11]
	s_delay_alu instid0(VALU_DEP_1) | instskip(NEXT) | instid1(VALU_DEP_1)
	v_lshl_add_u64 v[10:11], v[4:5], 2, v[10:11]
	v_add_nc_u64_e32 v[12:13], v[10:11], v[2:3]
	s_delay_alu instid0(VALU_DEP_1) | instskip(NEXT) | instid1(VALU_DEP_1)
	v_lshl_add_u64 v[32:33], s[36:37], 2, v[12:13]
	v_add_nc_u64_e32 v[34:35], s[38:39], v[32:33]
	s_delay_alu instid0(VALU_DEP_1)
	v_add_nc_u64_e32 v[10:11], s[38:39], v[34:35]
	s_clause 0x3
	flat_load_b32 v36, v[12:13]
	flat_load_b32 v37, v[32:33]
	;; [unrolled: 1-line block ×4, first 2 shown]
	s_wait_loadcnt_dscnt 0x303
	ds_store_b32 v17, v36
	s_wait_loadcnt_dscnt 0x203
	ds_store_b32 v22, v37
	;; [unrolled: 2-line block ×4, first 2 shown]
	s_wait_xcnt 0x0
	s_and_saveexec_b32 s9, s1
	s_cbranch_execz .LBB143_27
; %bb.26:                               ;   in Loop: Header=BB143_4 Depth=1
	v_add_nc_u64_e32 v[10:11], s[38:39], v[10:11]
	s_delay_alu instid0(VALU_DEP_1) | instskip(NEXT) | instid1(VALU_DEP_1)
	v_lshl_add_u64 v[12:13], s[36:37], 2, v[10:11]
	v_add_nc_u64_e32 v[32:33], s[38:39], v[12:13]
	s_delay_alu instid0(VALU_DEP_1)
	v_add_nc_u64_e32 v[34:35], s[38:39], v[32:33]
	s_clause 0x3
	flat_load_b32 v36, v[10:11]
	flat_load_b32 v37, v[12:13]
	;; [unrolled: 1-line block ×4, first 2 shown]
	s_wait_loadcnt_dscnt 0x202
	ds_store_2addr_stride64_b32 v17, v36, v37 offset0:8 offset1:10
	s_wait_loadcnt_dscnt 0x1
	ds_store_2addr_stride64_b32 v17, v38, v39 offset0:12 offset1:14
.LBB143_27:                             ;   in Loop: Header=BB143_4 Depth=1
	s_wait_xcnt 0x0
	s_or_b32 exec_lo, exec_lo, s9
	s_wait_storecnt_dscnt 0x0
	s_barrier_signal -1
	s_barrier_wait -1
	s_and_saveexec_b32 s9, s40
	s_cbranch_execnz .LBB143_41
; %bb.28:                               ;   in Loop: Header=BB143_4 Depth=1
	s_or_b32 exec_lo, exec_lo, s9
	s_and_saveexec_b32 s9, s2
	s_cbranch_execnz .LBB143_42
.LBB143_29:                             ;   in Loop: Header=BB143_4 Depth=1
	s_or_b32 exec_lo, exec_lo, s9
	s_and_saveexec_b32 s9, s3
	s_cbranch_execnz .LBB143_43
.LBB143_30:                             ;   in Loop: Header=BB143_4 Depth=1
	s_or_b32 exec_lo, exec_lo, s9
	s_and_saveexec_b32 s9, s4
	s_cbranch_execnz .LBB143_44
.LBB143_31:                             ;   in Loop: Header=BB143_4 Depth=1
	s_or_b32 exec_lo, exec_lo, s9
	s_and_saveexec_b32 s9, s5
	s_cbranch_execnz .LBB143_45
.LBB143_32:                             ;   in Loop: Header=BB143_4 Depth=1
	s_or_b32 exec_lo, exec_lo, s9
	s_and_saveexec_b32 s9, s6
	s_cbranch_execnz .LBB143_46
.LBB143_33:                             ;   in Loop: Header=BB143_4 Depth=1
	s_or_b32 exec_lo, exec_lo, s9
	s_and_saveexec_b32 s9, s7
	s_cbranch_execnz .LBB143_47
.LBB143_34:                             ;   in Loop: Header=BB143_4 Depth=1
	s_or_b32 exec_lo, exec_lo, s9
	s_and_saveexec_b32 s9, s8
	s_cbranch_execz .LBB143_36
.LBB143_35:                             ;   in Loop: Header=BB143_4 Depth=1
	ds_load_b32 v10, v18 offset:112
	s_wait_dscnt 0x0
	ds_store_b32 v25, v10
.LBB143_36:                             ;   in Loop: Header=BB143_4 Depth=1
	s_or_b32 exec_lo, exec_lo, s9
	s_wait_dscnt 0x0
	s_barrier_signal -1
	s_barrier_wait -1
	ds_load_b32 v10, v17
	ds_load_b32 v11, v22
	ds_load_2addr_b32 v[12:13], v19 offset1:4
	ds_load_2addr_b32 v[32:33], v19 offset0:8 offset1:12
	ds_load_b32 v34, v23
	ds_load_b32 v35, v24
	ds_load_2addr_b32 v[36:37], v19 offset0:16 offset1:20
	ds_load_b32 v38, v26
	ds_load_b32 v39, v27
	;; [unrolled: 1-line block ×4, first 2 shown]
	s_wait_dscnt 0x8
	v_pk_mul_f32 v[10:11], v[10:11], v[12:13]
	ds_load_2addr_b32 v[12:13], v19 offset0:24 offset1:28
	s_wait_dscnt 0x6
	v_pk_mul_f32 v[32:33], v[34:35], v[32:33]
	v_add_f32_e32 v10, 0, v10
	s_delay_alu instid0(VALU_DEP_1) | instskip(NEXT) | instid1(VALU_DEP_1)
	v_add_f32_e32 v10, v10, v11
	v_add_f32_e32 v32, v10, v32
	s_wait_dscnt 0x3
	v_pk_mul_f32 v[10:11], v[38:39], v[36:37]
	s_delay_alu instid0(VALU_DEP_2) | instskip(SKIP_2) | instid1(VALU_DEP_2)
	v_add_f32_e32 v32, v32, v33
	s_wait_dscnt 0x0
	v_pk_mul_f32 v[12:13], v[40:41], v[12:13]
	v_add_f32_e32 v10, v32, v10
	s_delay_alu instid0(VALU_DEP_1) | instskip(NEXT) | instid1(VALU_DEP_1)
	v_add_f32_e32 v10, v10, v11
	v_add_f32_e32 v10, v10, v12
	s_delay_alu instid0(VALU_DEP_1)
	v_add_f32_e32 v10, v10, v13
	ds_store_b32 v20, v10
	s_wait_dscnt 0x0
	s_barrier_signal -1
	s_barrier_wait -1
	s_and_saveexec_b32 s9, s0
	s_cbranch_execz .LBB143_2
; %bb.37:                               ;   in Loop: Header=BB143_4 Depth=1
	ds_load_2addr_b32 v[10:11], v21 offset1:32
	ds_load_2addr_b32 v[12:13], v21 offset0:64 offset1:96
	v_cmp_neq_f32_e32 vcc_lo, 0, v30
	v_lshl_add_u64 v[8:9], v[0:1], 2, v[8:9]
	s_wait_dscnt 0x1
	v_add_f32_e32 v10, 0, v10
	s_delay_alu instid0(VALU_DEP_1) | instskip(SKIP_1) | instid1(VALU_DEP_1)
	v_add_f32_e32 v10, v10, v11
	s_wait_dscnt 0x0
	v_add_f32_e32 v10, v10, v12
	s_delay_alu instid0(VALU_DEP_1) | instskip(NEXT) | instid1(VALU_DEP_1)
	v_add_f32_e32 v10, v10, v13
	v_dual_mul_f32 v11, v29, v10 :: v_dual_fmac_f32 v31, v29, v10
	s_delay_alu instid0(VALU_DEP_1)
	v_cndmask_b32_e32 v10, v11, v31, vcc_lo
	flat_store_b32 v[8:9], v10
	s_branch .LBB143_2
.LBB143_38:                             ;   in Loop: Header=BB143_4 Depth=1
	ds_load_b64 v[8:9], v14
	s_mul_u64 s[42:43], s[10:11], s[16:17]
	s_wait_dscnt 0x0
	v_lshl_add_u64 v[8:9], s[42:43], 2, v[8:9]
	flat_load_b32 v29, v[8:9]
	s_cbranch_execnz .LBB143_6
.LBB143_39:                             ;   in Loop: Header=BB143_4 Depth=1
	s_wait_loadcnt_dscnt 0x0
	ds_load_b32 v29, v14
	s_and_b32 vcc_lo, exec_lo, s41
	s_mov_b32 s9, -1
                                        ; implicit-def: $vgpr30
	s_cbranch_vccz .LBB143_7
.LBB143_40:                             ;   in Loop: Header=BB143_4 Depth=1
	s_wait_xcnt 0x0
	ds_load_b64 v[8:9], v15
	s_mul_u64 s[42:43], s[18:19], s[16:17]
	s_wait_dscnt 0x0
	v_lshl_add_u64 v[8:9], s[42:43], 2, v[8:9]
	flat_load_b32 v30, v[8:9]
	s_cbranch_execz .LBB143_8
	s_branch .LBB143_9
.LBB143_41:                             ;   in Loop: Header=BB143_4 Depth=1
	ds_load_b32 v10, v18
	s_wait_dscnt 0x0
	ds_store_b32 v17, v10
	s_or_b32 exec_lo, exec_lo, s9
	s_and_saveexec_b32 s9, s2
	s_cbranch_execz .LBB143_29
.LBB143_42:                             ;   in Loop: Header=BB143_4 Depth=1
	ds_load_b32 v10, v18 offset:16
	s_wait_dscnt 0x0
	ds_store_b32 v22, v10
	s_or_b32 exec_lo, exec_lo, s9
	s_and_saveexec_b32 s9, s3
	s_cbranch_execz .LBB143_30
.LBB143_43:                             ;   in Loop: Header=BB143_4 Depth=1
	ds_load_b32 v10, v18 offset:32
	s_wait_dscnt 0x0
	ds_store_b32 v23, v10
	s_or_b32 exec_lo, exec_lo, s9
	s_and_saveexec_b32 s9, s4
	s_cbranch_execz .LBB143_31
.LBB143_44:                             ;   in Loop: Header=BB143_4 Depth=1
	ds_load_b32 v10, v18 offset:48
	s_wait_dscnt 0x0
	ds_store_b32 v24, v10
	s_or_b32 exec_lo, exec_lo, s9
	s_and_saveexec_b32 s9, s5
	s_cbranch_execz .LBB143_32
.LBB143_45:                             ;   in Loop: Header=BB143_4 Depth=1
	ds_load_b32 v10, v18 offset:64
	s_wait_dscnt 0x0
	ds_store_b32 v17, v10 offset:2048
	s_or_b32 exec_lo, exec_lo, s9
	s_and_saveexec_b32 s9, s6
	s_cbranch_execz .LBB143_33
.LBB143_46:                             ;   in Loop: Header=BB143_4 Depth=1
	ds_load_b32 v10, v18 offset:80
	s_wait_dscnt 0x0
	ds_store_b32 v17, v10 offset:2560
	s_or_b32 exec_lo, exec_lo, s9
	s_and_saveexec_b32 s9, s7
	s_cbranch_execz .LBB143_34
.LBB143_47:                             ;   in Loop: Header=BB143_4 Depth=1
	ds_load_b32 v10, v18 offset:96
	s_wait_dscnt 0x0
	ds_store_b32 v17, v10 offset:3072
	s_or_b32 exec_lo, exec_lo, s9
	s_and_saveexec_b32 s9, s8
	s_cbranch_execnz .LBB143_35
	s_branch .LBB143_36
.LBB143_48:
	s_endpgm
	.section	.rodata,"a",@progbits
	.p2align	6, 0x0
	.amdhsa_kernel _ZL50rocblas_symv_kernel_lower_double_buffered_diagonalILi32ELi4E24rocblas_internal_val_ptrIfEPKPKfPKPfEvbiT1_lT2_lllSA_lllS9_lT3_llli
		.amdhsa_group_segment_fixed_size 7296
		.amdhsa_private_segment_fixed_size 0
		.amdhsa_kernarg_size 140
		.amdhsa_user_sgpr_count 4
		.amdhsa_user_sgpr_dispatch_ptr 1
		.amdhsa_user_sgpr_queue_ptr 0
		.amdhsa_user_sgpr_kernarg_segment_ptr 1
		.amdhsa_user_sgpr_dispatch_id 0
		.amdhsa_user_sgpr_kernarg_preload_length 0
		.amdhsa_user_sgpr_kernarg_preload_offset 0
		.amdhsa_user_sgpr_private_segment_size 0
		.amdhsa_wavefront_size32 1
		.amdhsa_uses_dynamic_stack 0
		.amdhsa_enable_private_segment 0
		.amdhsa_system_sgpr_workgroup_id_x 1
		.amdhsa_system_sgpr_workgroup_id_y 0
		.amdhsa_system_sgpr_workgroup_id_z 1
		.amdhsa_system_sgpr_workgroup_info 0
		.amdhsa_system_vgpr_workitem_id 2
		.amdhsa_next_free_vgpr 42
		.amdhsa_next_free_sgpr 46
		.amdhsa_named_barrier_count 0
		.amdhsa_reserve_vcc 1
		.amdhsa_float_round_mode_32 0
		.amdhsa_float_round_mode_16_64 0
		.amdhsa_float_denorm_mode_32 3
		.amdhsa_float_denorm_mode_16_64 3
		.amdhsa_fp16_overflow 0
		.amdhsa_memory_ordered 1
		.amdhsa_forward_progress 1
		.amdhsa_inst_pref_size 18
		.amdhsa_round_robin_scheduling 0
		.amdhsa_exception_fp_ieee_invalid_op 0
		.amdhsa_exception_fp_denorm_src 0
		.amdhsa_exception_fp_ieee_div_zero 0
		.amdhsa_exception_fp_ieee_overflow 0
		.amdhsa_exception_fp_ieee_underflow 0
		.amdhsa_exception_fp_ieee_inexact 0
		.amdhsa_exception_int_div_zero 0
	.end_amdhsa_kernel
	.section	.text._ZL50rocblas_symv_kernel_lower_double_buffered_diagonalILi32ELi4E24rocblas_internal_val_ptrIfEPKPKfPKPfEvbiT1_lT2_lllSA_lllS9_lT3_llli,"axG",@progbits,_ZL50rocblas_symv_kernel_lower_double_buffered_diagonalILi32ELi4E24rocblas_internal_val_ptrIfEPKPKfPKPfEvbiT1_lT2_lllSA_lllS9_lT3_llli,comdat
.Lfunc_end143:
	.size	_ZL50rocblas_symv_kernel_lower_double_buffered_diagonalILi32ELi4E24rocblas_internal_val_ptrIfEPKPKfPKPfEvbiT1_lT2_lllSA_lllS9_lT3_llli, .Lfunc_end143-_ZL50rocblas_symv_kernel_lower_double_buffered_diagonalILi32ELi4E24rocblas_internal_val_ptrIfEPKPKfPKPfEvbiT1_lT2_lllSA_lllS9_lT3_llli
                                        ; -- End function
	.set _ZL50rocblas_symv_kernel_lower_double_buffered_diagonalILi32ELi4E24rocblas_internal_val_ptrIfEPKPKfPKPfEvbiT1_lT2_lllSA_lllS9_lT3_llli.num_vgpr, 42
	.set _ZL50rocblas_symv_kernel_lower_double_buffered_diagonalILi32ELi4E24rocblas_internal_val_ptrIfEPKPKfPKPfEvbiT1_lT2_lllSA_lllS9_lT3_llli.num_agpr, 0
	.set _ZL50rocblas_symv_kernel_lower_double_buffered_diagonalILi32ELi4E24rocblas_internal_val_ptrIfEPKPKfPKPfEvbiT1_lT2_lllSA_lllS9_lT3_llli.numbered_sgpr, 46
	.set _ZL50rocblas_symv_kernel_lower_double_buffered_diagonalILi32ELi4E24rocblas_internal_val_ptrIfEPKPKfPKPfEvbiT1_lT2_lllSA_lllS9_lT3_llli.num_named_barrier, 0
	.set _ZL50rocblas_symv_kernel_lower_double_buffered_diagonalILi32ELi4E24rocblas_internal_val_ptrIfEPKPKfPKPfEvbiT1_lT2_lllSA_lllS9_lT3_llli.private_seg_size, 0
	.set _ZL50rocblas_symv_kernel_lower_double_buffered_diagonalILi32ELi4E24rocblas_internal_val_ptrIfEPKPKfPKPfEvbiT1_lT2_lllSA_lllS9_lT3_llli.uses_vcc, 1
	.set _ZL50rocblas_symv_kernel_lower_double_buffered_diagonalILi32ELi4E24rocblas_internal_val_ptrIfEPKPKfPKPfEvbiT1_lT2_lllSA_lllS9_lT3_llli.uses_flat_scratch, 1
	.set _ZL50rocblas_symv_kernel_lower_double_buffered_diagonalILi32ELi4E24rocblas_internal_val_ptrIfEPKPKfPKPfEvbiT1_lT2_lllSA_lllS9_lT3_llli.has_dyn_sized_stack, 0
	.set _ZL50rocblas_symv_kernel_lower_double_buffered_diagonalILi32ELi4E24rocblas_internal_val_ptrIfEPKPKfPKPfEvbiT1_lT2_lllSA_lllS9_lT3_llli.has_recursion, 0
	.set _ZL50rocblas_symv_kernel_lower_double_buffered_diagonalILi32ELi4E24rocblas_internal_val_ptrIfEPKPKfPKPfEvbiT1_lT2_lllSA_lllS9_lT3_llli.has_indirect_call, 0
	.section	.AMDGPU.csdata,"",@progbits
; Kernel info:
; codeLenInByte = 2212
; TotalNumSgprs: 48
; NumVgprs: 42
; ScratchSize: 0
; MemoryBound: 0
; FloatMode: 240
; IeeeMode: 1
; LDSByteSize: 7296 bytes/workgroup (compile time only)
; SGPRBlocks: 0
; VGPRBlocks: 2
; NumSGPRsForWavesPerEU: 48
; NumVGPRsForWavesPerEU: 42
; NamedBarCnt: 0
; Occupancy: 16
; WaveLimiterHint : 1
; COMPUTE_PGM_RSRC2:SCRATCH_EN: 0
; COMPUTE_PGM_RSRC2:USER_SGPR: 4
; COMPUTE_PGM_RSRC2:TRAP_HANDLER: 0
; COMPUTE_PGM_RSRC2:TGID_X_EN: 1
; COMPUTE_PGM_RSRC2:TGID_Y_EN: 0
; COMPUTE_PGM_RSRC2:TGID_Z_EN: 1
; COMPUTE_PGM_RSRC2:TIDIG_COMP_CNT: 2
	.section	.text._ZL54rocblas_symv_kernel_lower_double_buffered_non_diagonalILi32ELi4ELi4E24rocblas_internal_val_ptrIfEPKPKfPKPfEvbiT2_lT3_lllSA_lllT4_llli,"axG",@progbits,_ZL54rocblas_symv_kernel_lower_double_buffered_non_diagonalILi32ELi4ELi4E24rocblas_internal_val_ptrIfEPKPKfPKPfEvbiT2_lT3_lllSA_lllT4_llli,comdat
	.globl	_ZL54rocblas_symv_kernel_lower_double_buffered_non_diagonalILi32ELi4ELi4E24rocblas_internal_val_ptrIfEPKPKfPKPfEvbiT2_lT3_lllSA_lllT4_llli ; -- Begin function _ZL54rocblas_symv_kernel_lower_double_buffered_non_diagonalILi32ELi4ELi4E24rocblas_internal_val_ptrIfEPKPKfPKPfEvbiT2_lT3_lllSA_lllT4_llli
	.p2align	8
	.type	_ZL54rocblas_symv_kernel_lower_double_buffered_non_diagonalILi32ELi4ELi4E24rocblas_internal_val_ptrIfEPKPKfPKPfEvbiT2_lT3_lllSA_lllT4_llli,@function
_ZL54rocblas_symv_kernel_lower_double_buffered_non_diagonalILi32ELi4ELi4E24rocblas_internal_val_ptrIfEPKPKfPKPfEvbiT2_lT3_lllSA_lllT4_llli: ; @_ZL54rocblas_symv_kernel_lower_double_buffered_non_diagonalILi32ELi4ELi4E24rocblas_internal_val_ptrIfEPKPKfPKPfEvbiT2_lT3_lllSA_lllT4_llli
; %bb.0:
	s_load_b64 s[12:13], s[0:1], 0x4
	s_load_b256 s[4:11], s[2:3], 0x8
	v_bfe_u32 v1, v0, 10, 10
	s_wait_xcnt 0x0
	s_load_b32 s1, s[2:3], 0x78
	v_and_b32_e32 v2, 0x3ff, v0
	s_bfe_u32 s0, ttmp6, 0x40014
	s_lshr_b32 s14, ttmp7, 16
	s_add_co_i32 s0, s0, 1
	v_bfe_u32 v0, v0, 20, 10
	s_wait_kmcnt 0x0
	v_mul_u32_u24_e32 v3, s13, v1
	s_lshr_b32 s12, s12, 16
	v_dual_mov_b32 v4, s4 :: v_dual_mov_b32 v5, s5
	s_mul_i32 s12, s12, s13
	s_mul_i32 s4, s14, s0
	v_mad_u32_u24 v3, s12, v2, v3
	s_bfe_u32 s5, ttmp6, 0x40008
	s_getreg_b32 s0, hwreg(HW_REG_IB_STS2, 6, 4)
	s_add_co_i32 s5, s5, s4
	s_cmp_eq_u32 s0, 0
	v_add_lshl_u32 v0, v3, v0, 3
	s_cselect_b32 s4, s14, s5
	s_mov_b32 s5, 0
	s_cmp_ge_u32 s4, s1
	ds_store_b64 v0, v[4:5] offset:3200
	s_cbranch_scc1 .LBB144_29
; %bb.1:
	s_clause 0x1
	s_load_b32 s26, s[2:3], 0x0
	s_load_b64 s[20:21], s[2:3], 0x28
	v_lshl_add_u32 v7, v1, 5, v2
	v_dual_mov_b32 v3, 0 :: v_dual_add_nc_u32 v46, 0xc80, v0
	v_and_b32_e32 v4, 15, v2
	s_clause 0x1
	s_load_b128 s[12:15], s[2:3], 0x38
	s_load_b64 s[22:23], s[2:3], 0x48
	v_dual_lshrrev_b32 v0, 4, v7 :: v_dual_lshlrev_b32 v16, 2, v2
	v_mov_b32_e32 v5, v3
	v_and_b32_e32 v18, 0xfff0, v7
	s_delay_alu instid0(VALU_DEP_3)
	v_dual_mov_b32 v15, v3 :: v_dual_lshlrev_b32 v6, 2, v0
	v_lshlrev_b32_e32 v50, 7, v0
	s_clause 0x1
	s_load_b64 s[24:25], s[2:3], 0x58
	s_load_b128 s[16:19], s[2:3], 0x60
	v_add_nc_u32_e32 v47, 0xc00, v16
	v_add_nc_u32_e32 v51, 0x800, v16
	v_or_b32_e32 v27, 12, v18
	v_or_b32_e32 v28, 4, v18
	v_add_nc_u32_e32 v49, 0xc00, v18
	s_wait_kmcnt 0x0
	s_bitcmp1_b32 s26, 0
	v_mad_nc_u64_u32 v[8:9], s20, v6, v[4:5]
	s_cselect_b32 s26, -1, 0
	s_bfe_u32 s28, ttmp6, 0x40010
	s_bfe_u32 s31, ttmp6, 0x4000c
	s_and_b32 s27, ttmp7, 0xffff
	s_add_co_i32 s28, s28, 1
	s_add_co_i32 s31, s31, 1
	s_bfe_u32 s29, ttmp6, 0x40004
	s_and_b32 s30, ttmp6, 15
	s_xor_b32 s33, s26, -1
	s_mul_i32 s26, s27, s28
	s_mul_i32 s28, ttmp9, s31
	s_add_co_i32 s29, s29, s26
	s_add_co_i32 s30, s30, s28
	s_cmp_eq_u32 s0, 0
	v_cmp_eq_u32_e64 s0, 0, v1
	v_mad_u32 v9, s21, v6, v9
	v_dual_lshlrev_b32 v6, 2, v4 :: v_dual_bitop2_b32 v14, 16, v4 bitop3:0x54
	v_mul_u64_e32 v[12:13], s[22:23], v[4:5]
	v_dual_add_nc_u32 v1, 1, v2 :: v_dual_add_nc_u32 v4, 2, v2
	v_dual_lshlrev_b32 v5, 8, v0 :: v_dual_lshlrev_b32 v24, 6, v2
	s_delay_alu instid0(VALU_DEP_2) | instskip(NEXT) | instid1(VALU_DEP_3)
	v_dual_add_nc_u32 v7, 3, v2 :: v_dual_bitop2_b32 v1, 15, v1 bitop3:0x40
	v_dual_add_nc_u32 v19, 4, v2 :: v_dual_bitop2_b32 v4, 15, v4 bitop3:0x40
	v_add_nc_u32_e32 v20, 7, v2
	s_delay_alu instid0(VALU_DEP_4) | instskip(NEXT) | instid1(VALU_DEP_4)
	v_or_b32_e32 v52, v24, v6
	v_lshl_or_b32 v53, v1, 2, v24
	s_delay_alu instid0(VALU_DEP_4) | instskip(SKIP_4) | instid1(VALU_DEP_4)
	v_lshl_or_b32 v54, v4, 2, v24
	v_and_b32_e32 v1, 15, v7
	v_dual_add_nc_u32 v7, 5, v2 :: v_dual_bitop2_b32 v4, 15, v19 bitop3:0x40
	v_add_nc_u32_e32 v19, 6, v2
	v_mul_u64_e32 v[10:11], s[22:23], v[2:3]
	v_lshl_or_b32 v55, v1, 2, v24
	s_delay_alu instid0(VALU_DEP_4)
	v_lshl_or_b32 v56, v4, 2, v24
	v_and_b32_e32 v1, 15, v7
	v_and_b32_e32 v4, 15, v19
	;; [unrolled: 1-line block ×3, first 2 shown]
	v_bitop3_b32 v19, v2, 8, 15 bitop3:0x6c
	v_add_nc_u32_e32 v20, 9, v2
	v_lshl_or_b32 v57, v1, 2, v24
	v_mov_b32_e32 v1, v3
	v_mul_u64_e32 v[14:15], s[22:23], v[14:15]
	v_lshl_or_b32 v60, v19, 2, v24
	v_add_nc_u32_e32 v19, 11, v2
	v_lshl_or_b32 v59, v7, 2, v24
	v_add_nc_u32_e32 v7, 10, v2
	v_lshl_or_b32 v58, v4, 2, v24
	v_dual_add_nc_u32 v20, 12, v2 :: v_dual_bitop2_b32 v4, 15, v20 bitop3:0x40
	v_mul_u64_e32 v[0:1], s[20:21], v[0:1]
	v_mul_u64_e32 v[16:17], s[18:19], v[2:3]
	s_cselect_b32 s54, ttmp9, s30
	s_delay_alu instid0(VALU_DEP_3) | instskip(SKIP_4) | instid1(VALU_DEP_3)
	v_lshl_or_b32 v61, v4, 2, v24
	v_and_b32_e32 v4, 15, v7
	v_dual_add_nc_u32 v21, 14, v2 :: v_dual_bitop2_b32 v7, 15, v19 bitop3:0x40
	v_dual_add_nc_u32 v20, 13, v2 :: v_dual_bitop2_b32 v19, 15, v20 bitop3:0x40
	;; [unrolled: 1-line block ×3, first 2 shown]
	v_lshl_or_b32 v63, v7, 2, v24
	v_mov_b32_e32 v7, v3
	s_cselect_b32 s55, s27, s29
	s_lshl_b32 s30, s54, 5
	s_add_nc_u64 s[26:27], s[20:21], 1
	s_ashr_i32 s31, s30, 31
	v_lshl_or_b32 v62, v4, 2, v24
	s_mul_u64 s[40:41], s[26:27], s[30:31]
	s_mul_u64 s[36:37], s[22:23], s[30:31]
	;; [unrolled: 1-line block ×3, first 2 shown]
	v_lshl_or_b32 v64, v19, 2, v24
	v_dual_add_nc_u32 v2, -1, v2 :: v_dual_bitop2_b32 v4, 15, v20 bitop3:0x40
	s_lshl_b64 s[30:31], s[30:31], 2
	s_delay_alu instid0(SALU_CYCLE_1)
	v_dual_mov_b32 v3, s31 :: v_dual_bitop2_b32 v25, 15, v21 bitop3:0x40
	v_mad_nc_u64_u32 v[18:19], s20, v26, v[6:7]
	v_mad_nc_u64_u32 v[20:21], s20, v27, v[6:7]
	;; [unrolled: 1-line block ×3, first 2 shown]
	v_and_b32_e32 v29, 15, v2
	v_or_b32_e32 v2, s30, v6
	v_lshl_or_b32 v65, v4, 2, v24
	v_lshl_or_b32 v66, v25, 2, v24
	v_or_b32_e32 v48, 0x800, v6
	v_lshl_or_b32 v67, v29, 2, v24
	v_add_nc_u64_e32 v[24:25], 0xc0, v[2:3]
	s_add_nc_u64 s[2:3], s[2:3], 0x80
	v_mad_u32 v19, s21, v26, v19
	v_mad_u32 v21, s21, v27, v21
	;; [unrolled: 1-line block ×3, first 2 shown]
	v_add_nc_u64_e32 v[26:27], 0x80, v[2:3]
	v_lshl_add_u64 v[28:29], v[0:1], 4, v[6:7]
	s_not_b32 s56, s54
	s_lshl_b32 s57, s55, 5
	s_lshl_b64 s[26:27], s[22:23], 7
	s_lshl_b64 s[28:29], s[18:19], 7
	;; [unrolled: 1-line block ×9, first 2 shown]
	s_branch .LBB144_3
.LBB144_2:                              ;   in Loop: Header=BB144_3 Depth=1
	s_wait_xcnt 0x0
	s_or_b32 exec_lo, exec_lo, s58
	s_add_co_i32 s4, s4, 0x10000
	s_delay_alu instid0(SALU_CYCLE_1)
	s_cmp_lt_u32 s4, s1
	s_cbranch_scc0 .LBB144_29
.LBB144_3:                              ; =>This Loop Header: Depth=1
                                        ;     Child Loop BB144_17 Depth 2
	s_and_b32 vcc_lo, exec_lo, s33
	s_mov_b32 s42, -1
                                        ; implicit-def: $vgpr69
	s_cbranch_vccz .LBB144_5
; %bb.4:                                ;   in Loop: Header=BB144_3 Depth=1
	s_wait_loadcnt 0x0
	ds_load_b64 v[0:1], v46
	s_mul_u64 s[42:43], s[6:7], s[4:5]
	s_wait_dscnt 0x0
	v_lshl_add_u64 v[0:1], s[42:43], 2, v[0:1]
	s_mov_b32 s42, 0
	flat_load_b32 v69, v[0:1]
.LBB144_5:                              ;   in Loop: Header=BB144_3 Depth=1
	s_and_not1_b32 vcc_lo, exec_lo, s42
	s_cbranch_vccnz .LBB144_7
; %bb.6:                                ;   in Loop: Header=BB144_3 Depth=1
	s_wait_loadcnt_dscnt 0x0
	ds_load_b32 v69, v46
.LBB144_7:                              ;   in Loop: Header=BB144_3 Depth=1
	s_mov_b32 s58, exec_lo
	s_wait_loadcnt_dscnt 0x0
	s_wait_xcnt 0x0
	v_cmpx_neq_f32_e32 0, v69
	s_cbranch_execz .LBB144_2
; %bb.8:                                ;   in Loop: Header=BB144_3 Depth=1
	s_load_b64 s[42:43], s[2:3], 0x0
	s_wait_kmcnt 0x0
	s_add_co_i32 s44, s42, -1
	s_delay_alu instid0(SALU_CYCLE_1)
	s_cmp_eq_u32 s54, s44
	s_cbranch_scc1 .LBB144_2
; %bb.9:                                ;   in Loop: Header=BB144_3 Depth=1
	v_mov_b32_e32 v4, s4
	s_clause 0x1
	global_load_b64 v[2:3], v4, s[12:13] scale_offset
	global_load_b64 v[0:1], v4, s[8:9] scale_offset
	s_wait_loadcnt 0x1
	v_readfirstlane_b32 s44, v2
	v_readfirstlane_b32 s45, v3
	s_add_nc_u64 s[44:45], s[44:45], s[14:15]
	s_delay_alu instid0(SALU_CYCLE_1)
	s_add_nc_u64 s[46:47], s[44:45], s[36:37]
	s_wait_xcnt 0x0
	s_and_saveexec_b32 s48, s0
	s_cbranch_execz .LBB144_11
; %bb.10:                               ;   in Loop: Header=BB144_3 Depth=1
	v_lshl_add_u64 v[2:3], v[10:11], 2, s[46:47]
	flat_load_b32 v2, v[2:3]
	s_wait_loadcnt_dscnt 0x0
	ds_store_b32 v47, v2
.LBB144_11:                             ;   in Loop: Header=BB144_3 Depth=1
	s_wait_xcnt 0x0
	s_or_b32 exec_lo, exec_lo, s48
	s_cvt_f32_u32 s48, s43
	s_sub_co_i32 s49, 0, s43
	s_add_co_i32 s42, s42, s56
	s_delay_alu instid0(SALU_CYCLE_1) | instskip(SKIP_1) | instid1(TRANS32_DEP_1)
	v_rcp_iflag_f32_e32 v2, s48
	v_nop
	v_readfirstlane_b32 s48, v2
	s_mul_f32 s48, s48, 0x4f7ffffe
	s_delay_alu instid0(SALU_CYCLE_3) | instskip(NEXT) | instid1(SALU_CYCLE_3)
	s_cvt_u32_f32 s48, s48
	s_mul_i32 s49, s49, s48
	s_delay_alu instid0(SALU_CYCLE_1) | instskip(NEXT) | instid1(SALU_CYCLE_1)
	s_mul_hi_u32 s49, s48, s49
	s_add_co_i32 s50, s48, s49
	s_load_b64 s[48:49], s[24:25], s4 offset:0x0 scale_offset
	s_mul_hi_u32 s50, s42, s50
	s_delay_alu instid0(SALU_CYCLE_1) | instskip(SKIP_2) | instid1(SALU_CYCLE_1)
	s_mul_i32 s51, s50, s43
	s_add_co_i32 s52, s50, 1
	s_sub_co_i32 s51, s42, s51
	s_sub_co_i32 s53, s51, s43
	s_cmp_ge_u32 s51, s43
	s_cselect_b32 s50, s52, s50
	s_cselect_b32 s51, s53, s51
	s_add_co_i32 s52, s50, 1
	s_cmp_ge_u32 s51, s43
	s_cselect_b32 s50, s52, s50
	s_add_co_i32 s51, s43, -1
	s_mov_b32 s59, s50
	s_cmp_lg_u32 s55, s51
	s_cbranch_scc1 .LBB144_13
; %bb.12:                               ;   in Loop: Header=BB144_3 Depth=1
	s_mul_i32 s43, s50, s43
	s_delay_alu instid0(SALU_CYCLE_1) | instskip(NEXT) | instid1(SALU_CYCLE_1)
	s_sub_co_i32 s42, s42, s43
	s_add_co_i32 s59, s42, s50
.LBB144_13:                             ;   in Loop: Header=BB144_3 Depth=1
	s_delay_alu instid0(SALU_CYCLE_1)
	s_cmp_eq_u32 s59, 0
	s_cbranch_scc1 .LBB144_2
; %bb.14:                               ;   in Loop: Header=BB144_3 Depth=1
	s_wait_kmcnt 0x0
	s_add_nc_u64 s[42:43], s[48:49], s[16:17]
	s_cmp_lt_i32 s59, 1
	s_add_nc_u64 s[42:43], s[42:43], s[38:39]
	s_wait_loadcnt_dscnt 0x0
	s_barrier_signal -1
	s_barrier_wait -1
	s_cbranch_scc1 .LBB144_21
; %bb.15:                               ;   in Loop: Header=BB144_3 Depth=1
	v_add_nc_u64_e32 v[0:1], s[10:11], v[0:1]
	s_mul_i32 s48, s57, s50
	s_delay_alu instid0(SALU_CYCLE_1) | instskip(NEXT) | instid1(SALU_CYCLE_1)
	s_ashr_i32 s49, s48, 31
	s_lshl_b64 s[50:51], s[48:49], 2
	s_mul_u64 s[52:53], s[18:19], s[48:49]
	s_delay_alu instid0(VALU_DEP_1) | instskip(SKIP_3) | instid1(VALU_DEP_1)
	v_add_nc_u64_e32 v[0:1], s[40:41], v[0:1]
	s_lshl_b64 s[52:53], s[52:53], 2
	s_cmp_eq_u32 s59, 1
	s_add_nc_u64 s[52:53], s[42:43], s[52:53]
	v_add_nc_u64_e32 v[36:37], s[50:51], v[0:1]
	s_delay_alu instid0(VALU_DEP_1) | instskip(NEXT) | instid1(VALU_DEP_1)
	v_lshl_add_u64 v[0:1], v[8:9], 2, v[36:37]
	v_lshl_add_u64 v[2:3], s[20:21], 2, v[0:1]
	s_delay_alu instid0(VALU_DEP_1) | instskip(NEXT) | instid1(VALU_DEP_1)
	v_add_nc_u64_e32 v[6:7], s[34:35], v[2:3]
	v_add_nc_u64_e32 v[30:31], s[34:35], v[6:7]
	s_clause 0x3
	flat_load_b32 v4, v[0:1] offset:128
	flat_load_b32 v5, v[2:3] offset:128
	;; [unrolled: 1-line block ×4, first 2 shown]
	s_cbranch_scc1 .LBB144_22
; %bb.16:                               ;   in Loop: Header=BB144_3 Depth=1
	v_add_nc_u64_e32 v[0:1], s[50:51], v[24:25]
	v_add_nc_u64_e32 v[2:3], s[50:51], v[26:27]
	s_wait_xcnt 0x0
	v_mov_b32_e32 v30, 0
	v_mov_b64_e32 v[34:35], s[52:53]
	s_add_nc_u64 s[46:47], s[30:31], s[50:51]
	s_add_co_i32 s48, s59, -1
	s_mul_u64 s[46:47], s[22:23], s[46:47]
	v_mul_u64_e32 v[38:39], s[22:23], v[0:1]
	v_mul_u64_e32 v[40:41], s[22:23], v[2:3]
	v_dual_mov_b32 v31, v30 :: v_dual_mov_b32 v32, v30
	v_mov_b32_e32 v33, v30
.LBB144_17:                             ;   Parent Loop BB144_3 Depth=1
                                        ; =>  This Inner Loop Header: Depth=2
	v_add_nc_u64_e32 v[74:75], v[36:37], v[28:29]
	v_add_nc_u64_e32 v[0:1], v[36:37], v[22:23]
	;; [unrolled: 1-line block ×6, first 2 shown]
	s_clause 0x3
	flat_load_b32 v42, v[74:75] offset:192
	flat_load_b32 v72, v[76:77] offset:192
	;; [unrolled: 1-line block ×4, first 2 shown]
	s_clause 0x1
	flat_load_b32 v44, v[2:3]
	flat_load_b32 v2, v[80:81]
	s_clause 0x3
	flat_load_b32 v3, v[78:79] offset:256
	flat_load_b32 v71, v[76:77] offset:256
	;; [unrolled: 1-line block ×4, first 2 shown]
	s_wait_xcnt 0x0
	ds_load_b128 v[74:77], v49
	s_wait_loadcnt_dscnt 0x0
	s_barrier_signal -1
	s_barrier_wait -1
	v_fma_f32 v45, v4, v74, 0
	s_delay_alu instid0(VALU_DEP_1) | instskip(SKIP_1) | instid1(VALU_DEP_2)
	v_fmac_f32_e32 v45, v5, v75
	v_fma_f32 v73, v42, v74, 0
	v_dual_fmac_f32 v45, v70, v76 :: v_dual_add_nc_u32 v74, v48, v50
	s_delay_alu instid0(VALU_DEP_2) | instskip(NEXT) | instid1(VALU_DEP_2)
	v_fmac_f32_e32 v73, v43, v75
	v_fmac_f32_e32 v45, v6, v77
	s_delay_alu instid0(VALU_DEP_2) | instskip(NEXT) | instid1(VALU_DEP_1)
	v_fmac_f32_e32 v73, v72, v76
	v_fmac_f32_e32 v73, v7, v77
	ds_store_2addr_b32 v74, v45, v73 offset1:16
	s_wait_dscnt 0x0
	s_barrier_signal -1
	s_barrier_wait -1
	s_and_saveexec_b32 s49, s0
	s_cbranch_execz .LBB144_19
; %bb.18:                               ;   in Loop: Header=BB144_17 Depth=2
	ds_load_2addr_b32 v[74:75], v51 offset1:32
	ds_load_2addr_b32 v[76:77], v51 offset0:64 offset1:96
	ds_load_2addr_b32 v[78:79], v51 offset0:128 offset1:160
	v_add_nc_u64_e32 v[34:35], s[28:29], v[34:35]
	s_wait_dscnt 0x2
	v_add_f32_e32 v45, 0, v74
	s_delay_alu instid0(VALU_DEP_1) | instskip(SKIP_3) | instid1(VALU_DEP_1)
	v_add_f32_e32 v45, v45, v75
	ds_load_2addr_b32 v[74:75], v51 offset0:192 offset1:224
	s_wait_dscnt 0x2
	v_add_f32_e32 v45, v45, v76
	v_add_f32_e32 v45, v45, v77
	s_wait_dscnt 0x1
	s_delay_alu instid0(VALU_DEP_1) | instskip(NEXT) | instid1(VALU_DEP_1)
	v_add_f32_e32 v45, v45, v78
	v_add_f32_e32 v45, v45, v79
	s_wait_dscnt 0x0
	s_delay_alu instid0(VALU_DEP_1) | instskip(NEXT) | instid1(VALU_DEP_1)
	v_add_f32_e32 v45, v45, v74
	v_add_f32_e32 v45, v45, v75
	v_lshl_add_u64 v[74:75], v[16:17], 2, v[34:35]
	s_delay_alu instid0(VALU_DEP_2)
	v_mul_f32_e32 v45, v69, v45
	flat_atomic_add_f32 v[74:75], v45 scope:SCOPE_DEV
.LBB144_19:                             ;   in Loop: Header=BB144_17 Depth=2
	s_wait_xcnt 0x0
	s_or_b32 exec_lo, exec_lo, s49
	v_dual_mov_b32 v45, v2 :: v_dual_mul_f32 v74, v44, v70
	v_add_nc_u64_e32 v[36:37], 0x80, v[36:37]
	s_add_co_i32 s48, s48, -1
	s_add_nc_u64 s[44:45], s[44:45], s[26:27]
	s_delay_alu instid0(VALU_DEP_2) | instskip(SKIP_2) | instid1(VALU_DEP_2)
	v_pk_mul_f32 v[6:7], v[44:45], v[6:7]
	v_pk_fma_f32 v[4:5], v[44:45], v[4:5], v[30:31] op_sel_hi:[0,1,1]
	s_cmp_eq_u32 s48, 0
	v_mov_b32_e32 v75, v6
	v_mul_f32_e32 v6, v2, v72
	s_delay_alu instid0(VALU_DEP_3) | instskip(NEXT) | instid1(VALU_DEP_3)
	v_pk_fma_f32 v[30:31], v[2:3], v[42:43], v[4:5] op_sel_hi:[0,1,1]
	v_pk_add_f32 v[32:33], v[32:33], v[74:75]
	s_delay_alu instid0(VALU_DEP_1)
	v_pk_add_f32 v[32:33], v[32:33], v[6:7]
	s_cbranch_scc1 .LBB144_23
; %bb.20:                               ;   in Loop: Header=BB144_17 Depth=2
	v_dual_mov_b32 v4, v0 :: v_dual_mov_b32 v5, v1
	v_dual_mov_b32 v70, v71 :: v_dual_mov_b32 v6, v3
	s_branch .LBB144_17
.LBB144_21:                             ;   in Loop: Header=BB144_3 Depth=1
	v_mov_b32_e32 v1, 0
	s_delay_alu instid0(VALU_DEP_1)
	v_dual_mov_b32 v0, v1 :: v_dual_mov_b32 v3, v1
	v_mov_b32_e32 v2, v1
	s_branch .LBB144_27
.LBB144_22:                             ;   in Loop: Header=BB144_3 Depth=1
	s_wait_loadcnt_dscnt 0x0
	v_dual_mov_b32 v33, 0 :: v_dual_mov_b32 v7, v6
	v_mov_b64_e32 v[0:1], v[4:5]
	v_mov_b64_e32 v[34:35], s[52:53]
	s_mul_u64 s[44:45], s[22:23], s[48:49]
	s_wait_xcnt 0x0
	v_dual_mov_b32 v32, v33 :: v_dual_mov_b32 v31, v33
	v_mov_b64_e32 v[2:3], v[6:7]
	v_mov_b32_e32 v30, v33
	s_lshl_b64 s[44:45], s[44:45], 2
	s_delay_alu instid0(SALU_CYCLE_1)
	s_add_nc_u64 s[44:45], s[46:47], s[44:45]
	s_branch .LBB144_24
.LBB144_23:                             ;   in Loop: Header=BB144_3 Depth=1
	v_dual_mov_b32 v6, v3 :: v_dual_mov_b32 v70, v71
	v_dual_mov_b32 v5, v1 :: v_dual_mov_b32 v4, v0
	s_add_nc_u64 s[44:45], s[44:45], s[46:47]
.LBB144_24:                             ;   in Loop: Header=BB144_3 Depth=1
	v_lshl_add_u64 v[36:37], v[8:9], 2, v[36:37]
	s_add_nc_u64 s[44:45], s[44:45], s[26:27]
	s_delay_alu instid0(SALU_CYCLE_1) | instskip(NEXT) | instid1(VALU_DEP_2)
	v_lshl_add_u64 v[44:45], v[14:15], 2, s[44:45]
	v_lshl_add_u64 v[38:39], s[20:21], 2, v[36:37]
	flat_load_b32 v36, v[36:37] offset:192
	v_add_nc_u64_e32 v[42:43], s[34:35], v[38:39]
	flat_load_b32 v37, v[38:39] offset:192
	s_wait_xcnt 0x0
	v_add_nc_u64_e32 v[38:39], s[34:35], v[42:43]
	s_clause 0x1
	flat_load_b32 v40, v[42:43] offset:192
	flat_load_b32 v7, v[38:39] offset:192
	s_wait_xcnt 0x1
	v_lshl_add_u64 v[42:43], v[12:13], 2, s[44:45]
	s_clause 0x1
	flat_load_b32 v38, v[42:43]
	flat_load_b32 v2, v[44:45]
	s_wait_xcnt 0x0
	ds_load_b128 v[42:45], v49
	s_wait_storecnt 0x0
	s_wait_loadcnt_dscnt 0x0
	s_barrier_signal -1
	s_barrier_wait -1
	v_fma_f32 v4, v4, v42, 0
	v_fma_f32 v39, v36, v42, 0
	s_delay_alu instid0(VALU_DEP_1) | instskip(NEXT) | instid1(VALU_DEP_1)
	v_fmac_f32_e32 v39, v37, v43
	v_dual_fmac_f32 v4, v5, v43 :: v_dual_fmac_f32 v39, v40, v44
	s_delay_alu instid0(VALU_DEP_1) | instskip(NEXT) | instid1(VALU_DEP_1)
	v_dual_fmac_f32 v4, v70, v44 :: v_dual_add_nc_u32 v5, v48, v50
	v_dual_fmac_f32 v39, v7, v45 :: v_dual_fmac_f32 v4, v6, v45
	ds_store_2addr_b32 v5, v4, v39 offset1:16
	s_wait_dscnt 0x0
	s_barrier_signal -1
	s_barrier_wait -1
	s_and_saveexec_b32 s44, s0
	s_cbranch_execz .LBB144_26
; %bb.25:                               ;   in Loop: Header=BB144_3 Depth=1
	ds_load_2addr_b32 v[4:5], v51 offset1:32
	ds_load_2addr_b32 v[42:43], v51 offset0:64 offset1:96
	ds_load_2addr_b32 v[44:45], v51 offset0:128 offset1:160
	v_add_nc_u64_e32 v[34:35], s[28:29], v[34:35]
	s_wait_dscnt 0x2
	v_add_f32_e32 v4, 0, v4
	s_delay_alu instid0(VALU_DEP_1) | instskip(SKIP_1) | instid1(VALU_DEP_1)
	v_add_f32_e32 v4, v4, v5
	s_wait_dscnt 0x1
	v_add_f32_e32 v6, v4, v42
	ds_load_2addr_b32 v[4:5], v51 offset0:192 offset1:224
	v_add_f32_e32 v6, v6, v43
	s_wait_dscnt 0x1
	s_delay_alu instid0(VALU_DEP_1) | instskip(NEXT) | instid1(VALU_DEP_1)
	v_add_f32_e32 v6, v6, v44
	v_add_f32_e32 v6, v6, v45
	s_wait_dscnt 0x0
	s_delay_alu instid0(VALU_DEP_1) | instskip(NEXT) | instid1(VALU_DEP_1)
	v_add_f32_e32 v4, v6, v4
	v_add_f32_e32 v6, v4, v5
	v_lshl_add_u64 v[4:5], v[16:17], 2, v[34:35]
	s_delay_alu instid0(VALU_DEP_2)
	v_mul_f32_e32 v6, v69, v6
	flat_atomic_add_f32 v[4:5], v6 scope:SCOPE_DEV
.LBB144_26:                             ;   in Loop: Header=BB144_3 Depth=1
	s_wait_xcnt 0x0
	s_or_b32 exec_lo, exec_lo, s44
	v_dual_mov_b32 v39, v2 :: v_dual_mov_b32 v6, v3
	s_delay_alu instid0(VALU_DEP_1) | instskip(NEXT) | instid1(VALU_DEP_2)
	v_pk_fma_f32 v[30:31], v[38:39], v[0:1], v[30:31] op_sel_hi:[0,1,1]
	v_pk_mul_f32 v[4:5], v[38:39], v[6:7]
	s_delay_alu instid0(VALU_DEP_1) | instskip(SKIP_1) | instid1(VALU_DEP_4)
	v_dual_mul_f32 v6, v38, v70 :: v_dual_mov_b32 v7, v4
	v_mul_f32_e32 v4, v2, v40
	v_pk_fma_f32 v[2:3], v[2:3], v[36:37], v[30:31] op_sel_hi:[0,1,1]
	s_delay_alu instid0(VALU_DEP_3) | instskip(NEXT) | instid1(VALU_DEP_1)
	v_pk_add_f32 v[6:7], v[32:33], v[6:7]
	v_pk_add_f32 v[0:1], v[6:7], v[4:5]
.LBB144_27:                             ;   in Loop: Header=BB144_3 Depth=1
	ds_store_2addr_b32 v68, v2, v3 offset1:16
	ds_store_2addr_b32 v68, v0, v1 offset0:32 offset1:48
	s_wait_storecnt_dscnt 0x0
	s_barrier_signal -1
	s_barrier_wait -1
	s_and_b32 exec_lo, exec_lo, s0
	s_cbranch_execz .LBB144_2
; %bb.28:                               ;   in Loop: Header=BB144_3 Depth=1
	ds_load_b32 v0, v52
	ds_load_b32 v1, v53
	ds_load_b32 v2, v54
	ds_load_b32 v3, v55
	ds_load_b32 v4, v56
	ds_load_b32 v5, v57
	ds_load_b32 v6, v58
	ds_load_b32 v7, v59
	s_wait_dscnt 0x7
	v_add_f32_e32 v0, 0, v0
	s_wait_dscnt 0x6
	s_delay_alu instid0(VALU_DEP_1)
	v_add_f32_e32 v0, v0, v1
	ds_load_b32 v1, v60
	s_wait_dscnt 0x6
	v_add_f32_e32 v0, v0, v2
	ds_load_b32 v2, v61
	s_wait_dscnt 0x6
	;; [unrolled: 3-line block ×3, first 2 shown]
	v_add_f32_e32 v0, v0, v4
	s_wait_dscnt 0x5
	s_delay_alu instid0(VALU_DEP_1) | instskip(SKIP_1) | instid1(VALU_DEP_1)
	v_add_f32_e32 v0, v0, v5
	s_wait_dscnt 0x4
	v_add_f32_e32 v0, v0, v6
	s_wait_dscnt 0x3
	s_delay_alu instid0(VALU_DEP_1)
	v_add_f32_e32 v0, v0, v7
	ds_load_b32 v4, v63
	ds_load_b32 v5, v64
	;; [unrolled: 1-line block ×5, first 2 shown]
	s_wait_dscnt 0x7
	v_add_f32_e32 v0, v0, v1
	s_wait_dscnt 0x6
	s_delay_alu instid0(VALU_DEP_1) | instskip(SKIP_1) | instid1(VALU_DEP_1)
	v_add_f32_e32 v0, v0, v2
	s_wait_dscnt 0x5
	v_add_f32_e32 v0, v0, v3
	s_wait_dscnt 0x4
	s_delay_alu instid0(VALU_DEP_1) | instskip(SKIP_1) | instid1(VALU_DEP_1)
	v_add_f32_e32 v0, v0, v4
	;; [unrolled: 5-line block ×3, first 2 shown]
	s_wait_dscnt 0x1
	v_add_f32_e32 v0, v0, v7
	s_wait_dscnt 0x0
	s_delay_alu instid0(VALU_DEP_1) | instskip(SKIP_1) | instid1(VALU_DEP_2)
	v_add_f32_e32 v2, v0, v30
	v_lshl_add_u64 v[0:1], v[16:17], 2, s[42:43]
	v_mul_f32_e32 v2, v69, v2
	flat_atomic_add_f32 v[0:1], v2 scope:SCOPE_DEV
	s_branch .LBB144_2
.LBB144_29:
	s_sendmsg sendmsg(MSG_DEALLOC_VGPRS)
	s_endpgm
	.section	.rodata,"a",@progbits
	.p2align	6, 0x0
	.amdhsa_kernel _ZL54rocblas_symv_kernel_lower_double_buffered_non_diagonalILi32ELi4ELi4E24rocblas_internal_val_ptrIfEPKPKfPKPfEvbiT2_lT3_lllSA_lllT4_llli
		.amdhsa_group_segment_fixed_size 4224
		.amdhsa_private_segment_fixed_size 0
		.amdhsa_kernarg_size 384
		.amdhsa_user_sgpr_count 4
		.amdhsa_user_sgpr_dispatch_ptr 1
		.amdhsa_user_sgpr_queue_ptr 0
		.amdhsa_user_sgpr_kernarg_segment_ptr 1
		.amdhsa_user_sgpr_dispatch_id 0
		.amdhsa_user_sgpr_kernarg_preload_length 0
		.amdhsa_user_sgpr_kernarg_preload_offset 0
		.amdhsa_user_sgpr_private_segment_size 0
		.amdhsa_wavefront_size32 1
		.amdhsa_uses_dynamic_stack 0
		.amdhsa_enable_private_segment 0
		.amdhsa_system_sgpr_workgroup_id_x 1
		.amdhsa_system_sgpr_workgroup_id_y 1
		.amdhsa_system_sgpr_workgroup_id_z 1
		.amdhsa_system_sgpr_workgroup_info 0
		.amdhsa_system_vgpr_workitem_id 2
		.amdhsa_next_free_vgpr 82
		.amdhsa_next_free_sgpr 60
		.amdhsa_named_barrier_count 0
		.amdhsa_reserve_vcc 1
		.amdhsa_float_round_mode_32 0
		.amdhsa_float_round_mode_16_64 0
		.amdhsa_float_denorm_mode_32 3
		.amdhsa_float_denorm_mode_16_64 3
		.amdhsa_fp16_overflow 0
		.amdhsa_memory_ordered 1
		.amdhsa_forward_progress 1
		.amdhsa_inst_pref_size 24
		.amdhsa_round_robin_scheduling 0
		.amdhsa_exception_fp_ieee_invalid_op 0
		.amdhsa_exception_fp_denorm_src 0
		.amdhsa_exception_fp_ieee_div_zero 0
		.amdhsa_exception_fp_ieee_overflow 0
		.amdhsa_exception_fp_ieee_underflow 0
		.amdhsa_exception_fp_ieee_inexact 0
		.amdhsa_exception_int_div_zero 0
	.end_amdhsa_kernel
	.section	.text._ZL54rocblas_symv_kernel_lower_double_buffered_non_diagonalILi32ELi4ELi4E24rocblas_internal_val_ptrIfEPKPKfPKPfEvbiT2_lT3_lllSA_lllT4_llli,"axG",@progbits,_ZL54rocblas_symv_kernel_lower_double_buffered_non_diagonalILi32ELi4ELi4E24rocblas_internal_val_ptrIfEPKPKfPKPfEvbiT2_lT3_lllSA_lllT4_llli,comdat
.Lfunc_end144:
	.size	_ZL54rocblas_symv_kernel_lower_double_buffered_non_diagonalILi32ELi4ELi4E24rocblas_internal_val_ptrIfEPKPKfPKPfEvbiT2_lT3_lllSA_lllT4_llli, .Lfunc_end144-_ZL54rocblas_symv_kernel_lower_double_buffered_non_diagonalILi32ELi4ELi4E24rocblas_internal_val_ptrIfEPKPKfPKPfEvbiT2_lT3_lllSA_lllT4_llli
                                        ; -- End function
	.set _ZL54rocblas_symv_kernel_lower_double_buffered_non_diagonalILi32ELi4ELi4E24rocblas_internal_val_ptrIfEPKPKfPKPfEvbiT2_lT3_lllSA_lllT4_llli.num_vgpr, 82
	.set _ZL54rocblas_symv_kernel_lower_double_buffered_non_diagonalILi32ELi4ELi4E24rocblas_internal_val_ptrIfEPKPKfPKPfEvbiT2_lT3_lllSA_lllT4_llli.num_agpr, 0
	.set _ZL54rocblas_symv_kernel_lower_double_buffered_non_diagonalILi32ELi4ELi4E24rocblas_internal_val_ptrIfEPKPKfPKPfEvbiT2_lT3_lllSA_lllT4_llli.numbered_sgpr, 60
	.set _ZL54rocblas_symv_kernel_lower_double_buffered_non_diagonalILi32ELi4ELi4E24rocblas_internal_val_ptrIfEPKPKfPKPfEvbiT2_lT3_lllSA_lllT4_llli.num_named_barrier, 0
	.set _ZL54rocblas_symv_kernel_lower_double_buffered_non_diagonalILi32ELi4ELi4E24rocblas_internal_val_ptrIfEPKPKfPKPfEvbiT2_lT3_lllSA_lllT4_llli.private_seg_size, 0
	.set _ZL54rocblas_symv_kernel_lower_double_buffered_non_diagonalILi32ELi4ELi4E24rocblas_internal_val_ptrIfEPKPKfPKPfEvbiT2_lT3_lllSA_lllT4_llli.uses_vcc, 1
	.set _ZL54rocblas_symv_kernel_lower_double_buffered_non_diagonalILi32ELi4ELi4E24rocblas_internal_val_ptrIfEPKPKfPKPfEvbiT2_lT3_lllSA_lllT4_llli.uses_flat_scratch, 1
	.set _ZL54rocblas_symv_kernel_lower_double_buffered_non_diagonalILi32ELi4ELi4E24rocblas_internal_val_ptrIfEPKPKfPKPfEvbiT2_lT3_lllSA_lllT4_llli.has_dyn_sized_stack, 0
	.set _ZL54rocblas_symv_kernel_lower_double_buffered_non_diagonalILi32ELi4ELi4E24rocblas_internal_val_ptrIfEPKPKfPKPfEvbiT2_lT3_lllSA_lllT4_llli.has_recursion, 0
	.set _ZL54rocblas_symv_kernel_lower_double_buffered_non_diagonalILi32ELi4ELi4E24rocblas_internal_val_ptrIfEPKPKfPKPfEvbiT2_lT3_lllSA_lllT4_llli.has_indirect_call, 0
	.section	.AMDGPU.csdata,"",@progbits
; Kernel info:
; codeLenInByte = 3032
; TotalNumSgprs: 62
; NumVgprs: 82
; ScratchSize: 0
; MemoryBound: 0
; FloatMode: 240
; IeeeMode: 1
; LDSByteSize: 4224 bytes/workgroup (compile time only)
; SGPRBlocks: 0
; VGPRBlocks: 5
; NumSGPRsForWavesPerEU: 62
; NumVGPRsForWavesPerEU: 82
; NamedBarCnt: 0
; Occupancy: 10
; WaveLimiterHint : 1
; COMPUTE_PGM_RSRC2:SCRATCH_EN: 0
; COMPUTE_PGM_RSRC2:USER_SGPR: 4
; COMPUTE_PGM_RSRC2:TRAP_HANDLER: 0
; COMPUTE_PGM_RSRC2:TGID_X_EN: 1
; COMPUTE_PGM_RSRC2:TGID_Y_EN: 1
; COMPUTE_PGM_RSRC2:TGID_Z_EN: 1
; COMPUTE_PGM_RSRC2:TIDIG_COMP_CNT: 2
	.section	.text._ZL58rocblas_symv_kernel_lower_double_buffered_diagonal_genericILi32ELi4E24rocblas_internal_val_ptrIfEPKPKfPKPfEvbiT1_lT2_lllSA_lllS9_lT3_lllii,"axG",@progbits,_ZL58rocblas_symv_kernel_lower_double_buffered_diagonal_genericILi32ELi4E24rocblas_internal_val_ptrIfEPKPKfPKPfEvbiT1_lT2_lllSA_lllS9_lT3_lllii,comdat
	.globl	_ZL58rocblas_symv_kernel_lower_double_buffered_diagonal_genericILi32ELi4E24rocblas_internal_val_ptrIfEPKPKfPKPfEvbiT1_lT2_lllSA_lllS9_lT3_lllii ; -- Begin function _ZL58rocblas_symv_kernel_lower_double_buffered_diagonal_genericILi32ELi4E24rocblas_internal_val_ptrIfEPKPKfPKPfEvbiT1_lT2_lllSA_lllS9_lT3_lllii
	.p2align	8
	.type	_ZL58rocblas_symv_kernel_lower_double_buffered_diagonal_genericILi32ELi4E24rocblas_internal_val_ptrIfEPKPKfPKPfEvbiT1_lT2_lllSA_lllS9_lT3_lllii,@function
_ZL58rocblas_symv_kernel_lower_double_buffered_diagonal_genericILi32ELi4E24rocblas_internal_val_ptrIfEPKPKfPKPfEvbiT1_lT2_lllSA_lllS9_lT3_lllii: ; @_ZL58rocblas_symv_kernel_lower_double_buffered_diagonal_genericILi32ELi4E24rocblas_internal_val_ptrIfEPKPKfPKPfEvbiT1_lT2_lllSA_lllS9_lT3_lllii
; %bb.0:
	s_load_b64 s[4:5], s[0:1], 0x4
	s_clause 0x1
	s_load_b256 s[12:19], s[2:3], 0x8
	s_load_b128 s[20:23], s[2:3], 0x58
	v_bfe_u32 v10, v0, 10, 10
	s_load_b64 s[10:11], s[2:3], 0x88
	v_and_b32_e32 v2, 0x3ff, v0
	v_bfe_u32 v0, v0, 20, 10
	s_wait_xcnt 0x0
	s_bfe_u32 s1, ttmp6, 0x40014
	s_lshr_b32 s0, ttmp7, 16
	s_add_co_i32 s1, s1, 1
	s_delay_alu instid0(SALU_CYCLE_1)
	s_mul_i32 s1, s0, s1
	s_wait_kmcnt 0x0
	v_mul_u32_u24_e32 v1, s5, v10
	s_lshr_b32 s4, s4, 16
	v_dual_mov_b32 v4, s12 :: v_dual_mov_b32 v5, s13
	s_mul_i32 s4, s4, s5
	s_bfe_u32 s5, ttmp6, 0x40008
	v_mad_u32_u24 v1, s4, v2, v1
	s_getreg_b32 s4, hwreg(HW_REG_IB_STS2, 6, 4)
	s_add_co_i32 s5, s5, s1
	s_cmp_eq_u32 s4, 0
	v_dual_mov_b32 v6, s20 :: v_dual_mov_b32 v7, s21
	v_add_lshl_u32 v0, v1, v0, 3
	s_cselect_b32 s12, s0, s5
	s_mov_b32 s21, 0
	s_cmp_ge_u32 s12, s11
	s_delay_alu instid0(VALU_DEP_1)
	v_add_nc_u32_e32 v1, 0x80, v0
	ds_store_2addr_stride64_b64 v1, v[6:7], v[4:5] offset0:10 offset1:12
	s_cbranch_scc1 .LBB145_80
; %bb.1:
	s_clause 0x5
	s_load_b32 s5, s[2:3], 0x0
	s_load_b64 s[34:35], s[2:3], 0x28
	s_load_b128 s[24:27], s[2:3], 0x38
	s_load_b64 s[6:7], s[2:3], 0x48
	s_load_b64 s[36:37], s[2:3], 0x68
	s_load_b128 s[28:31], s[2:3], 0x70
	v_dual_mov_b32 v3, 0 :: v_dual_add_nc_u32 v18, 0x1880, v0
	v_lshlrev_b32_e32 v12, 2, v2
	v_add_nc_u32_e32 v19, 0x1480, v0
	s_add_nc_u64 s[38:39], s[2:3], 0x90
	v_sub_co_u32 v13, s48, v2, v10
	v_mov_b32_e32 v11, v3
	v_mul_u32_u24_e32 v15, 0x7c, v2
	v_lshl_add_u32 v9, v10, 5, v2
	v_add_nc_u32_e32 v20, 0x1400, v12
	v_cmp_eq_u32_e64 s0, 0, v10
	v_cmp_gt_i32_e64 s33, s10, v2
	v_cmp_le_i32_e64 s1, s10, v2
	v_lshl_add_u32 v24, v9, 2, 0x1000
	v_or_b32_e32 v25, 0x1000, v12
	v_lshlrev_b32_e32 v14, 7, v10
	s_wait_kmcnt 0x0
	v_mul_u64_e32 v[6:7], s[6:7], v[2:3]
	v_mul_u64_e32 v[4:5], s[34:35], v[10:11]
	;; [unrolled: 1-line block ×3, first 2 shown]
	s_bitcmp1_b32 s5, 0
	v_sub_nc_u32_e32 v11, 0, v13
	s_cselect_b32 s2, -1, 0
	s_bfe_u32 s3, ttmp6, 0x4000c
	s_and_b32 s5, ttmp6, 15
	s_add_co_i32 s3, s3, 1
	s_xor_b32 s49, s2, -1
	s_mul_i32 s3, ttmp9, s3
	v_dual_lshlrev_b32 v8, 2, v10 :: v_dual_max_i32 v11, v13, v11
	s_add_co_i32 s5, s5, s3
	s_cmp_eq_u32 s4, 0
	s_add_nc_u64 s[2:3], s[34:35], 1
	s_cselect_b32 s50, ttmp9, s5
	s_lshl_b64 s[44:45], s[34:35], 4
	s_lshl_b32 s4, s50, 5
	s_lshr_b32 s51, s10, 2
	s_ashr_i32 s5, s4, 31
	s_cmp_gt_u32 s10, 3
	v_dual_add_nc_u32 v21, v14, v12 :: v_dual_mov_b32 v9, v3
	v_add3_u32 v22, v12, v15, v8
	v_add_nc_u32_e32 v15, 0x200, v14
	v_add_nc_u32_e32 v16, 0x400, v14
	;; [unrolled: 1-line block ×6, first 2 shown]
	v_dual_mov_b32 v13, v3 :: v_dual_add_nc_u32 v14, 0xc00, v14
	s_mul_u64 s[40:41], s[2:3], s[4:5]
	s_cselect_b32 s52, -1, 0
	s_and_b32 s2, s10, 3
	s_cmp_gt_u32 s10, 7
	s_mul_u64 s[30:31], s[30:31], s[4:5]
	s_cselect_b32 s53, -1, 0
	s_and_b32 s54, s51, 0x3ffffffe
	s_mul_u64 s[42:43], s[6:7], s[4:5]
	v_cmp_gt_u32_e64 s2, s2, v10
	v_cmp_gt_u32_e64 s3, 4, v11
	;; [unrolled: 1-line block ×8, first 2 shown]
	v_add_nc_u32_e32 v23, 0x1400, v8
	v_lshl_add_u64 v[10:11], s[40:41], 2, v[12:13]
	v_dual_lshlrev_b32 v2, 2, v2 :: v_dual_add_nc_u32 v27, v12, v27
	v_dual_add_nc_u32 v26, v12, v26 :: v_dual_add_nc_u32 v29, v12, v15
	v_dual_add_nc_u32 v28, v12, v14 :: v_dual_add_nc_u32 v30, v12, v16
	;; [unrolled: 1-line block ×3, first 2 shown]
	s_cmp_lg_u32 s51, s54
	s_mov_b32 s46, s34
	s_mov_b32 s47, s35
	s_cselect_b32 s55, -1, 0
	s_lshl_b64 s[18:19], s[18:19], 2
	s_branch .LBB145_4
.LBB145_2:                              ;   in Loop: Header=BB145_4 Depth=1
	s_wait_xcnt 0x0
	s_or_b32 exec_lo, exec_lo, s13
.LBB145_3:                              ;   in Loop: Header=BB145_4 Depth=1
	s_delay_alu instid0(SALU_CYCLE_1) | instskip(SKIP_1) | instid1(SALU_CYCLE_1)
	s_or_b32 exec_lo, exec_lo, s56
	s_add_co_i32 s12, s12, 0x10000
	s_cmp_lt_u32 s12, s11
	s_cbranch_scc0 .LBB145_80
.LBB145_4:                              ; =>This Loop Header: Depth=1
                                        ;     Child Loop BB145_47 Depth 2
                                        ;     Child Loop BB145_54 Depth 2
	s_and_b32 vcc_lo, exec_lo, s49
	s_mov_b32 s10, -1
                                        ; implicit-def: $vgpr33
	s_cbranch_vccnz .LBB145_49
; %bb.5:                                ;   in Loop: Header=BB145_4 Depth=1
	s_and_not1_b32 vcc_lo, exec_lo, s10
	s_cbranch_vccz .LBB145_50
.LBB145_6:                              ;   in Loop: Header=BB145_4 Depth=1
	s_and_b32 vcc_lo, exec_lo, s49
	s_mov_b32 s10, -1
                                        ; implicit-def: $vgpr34
	s_cbranch_vccnz .LBB145_51
.LBB145_7:                              ;   in Loop: Header=BB145_4 Depth=1
	s_and_not1_b32 vcc_lo, exec_lo, s10
	s_cbranch_vccnz .LBB145_9
.LBB145_8:                              ;   in Loop: Header=BB145_4 Depth=1
	s_wait_loadcnt_dscnt 0x0
	ds_load_b32 v34, v19
.LBB145_9:                              ;   in Loop: Header=BB145_4 Depth=1
	s_wait_loadcnt_dscnt 0x0
	v_cmp_neq_f32_e32 vcc_lo, 0, v33
	v_cmp_neq_f32_e64 s10, 1.0, v34
	s_or_b32 s10, vcc_lo, s10
	s_wait_xcnt 0x0
	s_and_saveexec_b32 s56, s10
	s_cbranch_execz .LBB145_3
; %bb.10:                               ;   in Loop: Header=BB145_4 Depth=1
	s_mov_b32 s13, s21
	v_cmp_neq_f32_e64 s10, 0, v33
	v_mov_b64_e32 v[12:13], s[12:13]
	v_cmp_eq_f32_e32 vcc_lo, 0, v33
	s_and_saveexec_b32 s20, vcc_lo
	s_delay_alu instid0(SALU_CYCLE_1)
	s_xor_b32 s20, exec_lo, s20
; %bb.11:                               ;   in Loop: Header=BB145_4 Depth=1
	v_mov_b64_e32 v[12:13], s[12:13]
; %bb.12:                               ;   in Loop: Header=BB145_4 Depth=1
	s_or_saveexec_b32 s20, s20
	v_mov_b64_e32 v[16:17], 0
	v_mov_b64_e32 v[14:15], 0
	s_xor_b32 exec_lo, exec_lo, s20
	s_cbranch_execz .LBB145_14
; %bb.13:                               ;   in Loop: Header=BB145_4 Depth=1
	s_lshl_b64 s[58:59], s[12:13], 3
	s_delay_alu instid0(SALU_CYCLE_1)
	s_add_nc_u64 s[58:59], s[16:17], s[58:59]
	global_load_b64 v[14:15], v3, s[58:59]
	s_wait_loadcnt 0x0
	v_add_nc_u64_e32 v[14:15], s[18:19], v[14:15]
.LBB145_14:                             ;   in Loop: Header=BB145_4 Depth=1
	s_wait_xcnt 0x0
	s_or_b32 exec_lo, exec_lo, s20
	s_and_saveexec_b32 s13, s10
	s_cbranch_execz .LBB145_16
; %bb.15:                               ;   in Loop: Header=BB145_4 Depth=1
	v_lshl_add_u64 v[16:17], v[12:13], 3, s[24:25]
	global_load_b64 v[16:17], v[16:17], off
	s_wait_loadcnt 0x0
	s_wait_xcnt 0x0
	v_lshl_add_u64 v[16:17], s[26:27], 2, v[16:17]
.LBB145_16:                             ;   in Loop: Header=BB145_4 Depth=1
	s_or_b32 exec_lo, exec_lo, s13
	v_lshl_add_u64 v[12:13], v[12:13], 3, s[36:37]
	global_load_b64 v[12:13], v[12:13], off
	s_wait_loadcnt 0x0
	s_wait_xcnt 0x0
	v_lshl_add_u64 v[12:13], s[28:29], 2, v[12:13]
	s_delay_alu instid0(VALU_DEP_1) | instskip(SKIP_1) | instid1(SALU_CYCLE_1)
	v_lshl_add_u64 v[12:13], s[30:31], 2, v[12:13]
	s_and_saveexec_b32 s10, vcc_lo
	s_xor_b32 s10, exec_lo, s10
	s_cbranch_execz .LBB145_23
; %bb.17:                               ;   in Loop: Header=BB145_4 Depth=1
	s_and_saveexec_b32 s13, s0
	s_cbranch_execz .LBB145_22
; %bb.18:                               ;   in Loop: Header=BB145_4 Depth=1
	s_mov_b32 s57, s33
	s_and_saveexec_b32 s20, s1
	s_cbranch_execz .LBB145_20
; %bb.19:                               ;   in Loop: Header=BB145_4 Depth=1
	s_load_b32 s57, s[38:39], 0x0
	s_wait_kmcnt 0x0
	s_add_co_i32 s57, s57, -1
	s_delay_alu instid0(SALU_CYCLE_1) | instskip(SKIP_3) | instid1(SALU_CYCLE_1)
	s_cmp_lt_u32 s50, s57
	s_cselect_b32 s57, -1, 0
	s_and_not1_b32 s58, s33, exec_lo
	s_and_b32 s57, s57, exec_lo
	s_or_b32 s57, s58, s57
.LBB145_20:                             ;   in Loop: Header=BB145_4 Depth=1
	s_or_b32 exec_lo, exec_lo, s20
	s_delay_alu instid0(SALU_CYCLE_1)
	s_and_b32 exec_lo, exec_lo, s57
	s_cbranch_execz .LBB145_22
; %bb.21:                               ;   in Loop: Header=BB145_4 Depth=1
	v_lshl_add_u64 v[12:13], v[0:1], 2, v[12:13]
	flat_load_b32 v14, v[12:13]
	s_wait_loadcnt_dscnt 0x0
	v_mul_f32_e32 v14, v34, v14
	flat_store_b32 v[12:13], v14
.LBB145_22:                             ;   in Loop: Header=BB145_4 Depth=1
	s_wait_xcnt 0x0
	s_or_b32 exec_lo, exec_lo, s13
                                        ; implicit-def: $vgpr33
                                        ; implicit-def: $vgpr34
                                        ; implicit-def: $vgpr12_vgpr13
                                        ; implicit-def: $vgpr14_vgpr15
                                        ; implicit-def: $vgpr16_vgpr17
.LBB145_23:                             ;   in Loop: Header=BB145_4 Depth=1
	s_and_not1_saveexec_b32 s10, s10
	s_cbranch_execz .LBB145_3
; %bb.24:                               ;   in Loop: Header=BB145_4 Depth=1
	s_load_b32 s10, s[38:39], 0x0
	v_lshl_add_u64 v[16:17], s[42:43], 2, v[16:17]
	s_mov_b32 s13, -1
                                        ; implicit-def: $vgpr35
	s_wait_kmcnt 0x0
	s_add_co_i32 s10, s10, -1
	s_delay_alu instid0(SALU_CYCLE_1) | instskip(SKIP_1) | instid1(SALU_CYCLE_1)
	s_cmp_lg_u32 s50, s10
	s_cselect_b32 s10, -1, 0
	s_and_b32 vcc_lo, exec_lo, s10
	s_cbranch_vccz .LBB145_30
; %bb.25:                               ;   in Loop: Header=BB145_4 Depth=1
	v_mov_b32_e32 v35, 0
	s_and_saveexec_b32 s13, s0
	s_cbranch_execz .LBB145_29
; %bb.26:                               ;   in Loop: Header=BB145_4 Depth=1
	v_lshl_add_u64 v[36:37], v[6:7], 2, v[16:17]
	v_mov_b32_e32 v35, 0
	s_mov_b32 s20, exec_lo
	flat_load_b32 v36, v[36:37]
	s_wait_loadcnt_dscnt 0x0
	ds_store_b32 v20, v36
	s_wait_xcnt 0x0
	v_cmpx_neq_f32_e32 0, v34
	s_cbranch_execz .LBB145_28
; %bb.27:                               ;   in Loop: Header=BB145_4 Depth=1
	v_lshl_add_u64 v[36:37], v[0:1], 2, v[12:13]
	flat_load_b32 v35, v[36:37]
	s_wait_loadcnt_dscnt 0x0
	v_mul_f32_e32 v35, v34, v35
.LBB145_28:                             ;   in Loop: Header=BB145_4 Depth=1
	s_wait_xcnt 0x0
	s_or_b32 exec_lo, exec_lo, s20
.LBB145_29:                             ;   in Loop: Header=BB145_4 Depth=1
	s_delay_alu instid0(SALU_CYCLE_1)
	s_or_b32 exec_lo, exec_lo, s13
	s_mov_b32 s13, 0
.LBB145_30:                             ;   in Loop: Header=BB145_4 Depth=1
	s_delay_alu instid0(SALU_CYCLE_1)
	s_and_not1_b32 vcc_lo, exec_lo, s13
	s_cbranch_vccnz .LBB145_40
; %bb.31:                               ;   in Loop: Header=BB145_4 Depth=1
	v_mov_b32_e32 v35, 0
	s_and_saveexec_b32 s13, s0
	s_cbranch_execz .LBB145_39
; %bb.32:                               ;   in Loop: Header=BB145_4 Depth=1
	s_and_saveexec_b32 s20, s1
	s_delay_alu instid0(SALU_CYCLE_1)
	s_xor_b32 s20, exec_lo, s20
; %bb.33:                               ;   in Loop: Header=BB145_4 Depth=1
	ds_store_b32 v20, v3
                                        ; implicit-def: $vgpr16_vgpr17
; %bb.34:                               ;   in Loop: Header=BB145_4 Depth=1
	s_or_saveexec_b32 s20, s20
	v_mov_b32_e32 v35, 0
	s_xor_b32 exec_lo, exec_lo, s20
	s_cbranch_execz .LBB145_38
; %bb.35:                               ;   in Loop: Header=BB145_4 Depth=1
	v_lshl_add_u64 v[16:17], v[6:7], 2, v[16:17]
	v_mov_b32_e32 v35, 0
	s_mov_b32 s57, exec_lo
	flat_load_b32 v16, v[16:17]
	s_wait_loadcnt_dscnt 0x0
	ds_store_b32 v20, v16
	s_wait_xcnt 0x0
	v_cmpx_neq_f32_e32 0, v34
	s_cbranch_execz .LBB145_37
; %bb.36:                               ;   in Loop: Header=BB145_4 Depth=1
	v_lshl_add_u64 v[16:17], v[0:1], 2, v[12:13]
	flat_load_b32 v16, v[16:17]
	s_wait_loadcnt_dscnt 0x0
	v_mul_f32_e32 v35, v34, v16
.LBB145_37:                             ;   in Loop: Header=BB145_4 Depth=1
	s_wait_xcnt 0x0
	s_or_b32 exec_lo, exec_lo, s57
.LBB145_38:                             ;   in Loop: Header=BB145_4 Depth=1
	s_delay_alu instid0(SALU_CYCLE_1)
	s_or_b32 exec_lo, exec_lo, s20
.LBB145_39:                             ;   in Loop: Header=BB145_4 Depth=1
	s_delay_alu instid0(SALU_CYCLE_1)
	s_or_b32 exec_lo, exec_lo, s13
.LBB145_40:                             ;   in Loop: Header=BB145_4 Depth=1
	v_lshl_add_u64 v[16:17], s[40:41], 2, v[14:15]
	s_and_not1_b32 vcc_lo, exec_lo, s10
	s_mov_b32 s13, -1
	s_delay_alu instid0(VALU_DEP_1) | instskip(NEXT) | instid1(VALU_DEP_1)
	v_lshl_add_u64 v[16:17], v[4:5], 2, v[16:17]
	v_add_nc_u64_e32 v[16:17], v[16:17], v[2:3]
	s_cbranch_vccnz .LBB145_42
; %bb.41:                               ;   in Loop: Header=BB145_4 Depth=1
	s_delay_alu instid0(VALU_DEP_1) | instskip(SKIP_1) | instid1(VALU_DEP_1)
	v_add_nc_u64_e32 v[36:37], s[44:45], v[16:17]
	s_mov_b32 s13, 0
	v_add_nc_u64_e32 v[38:39], s[44:45], v[36:37]
	s_delay_alu instid0(VALU_DEP_1) | instskip(NEXT) | instid1(VALU_DEP_1)
	v_add_nc_u64_e32 v[40:41], s[44:45], v[38:39]
	v_add_nc_u64_e32 v[42:43], s[44:45], v[40:41]
	s_delay_alu instid0(VALU_DEP_1) | instskip(NEXT) | instid1(VALU_DEP_1)
	v_add_nc_u64_e32 v[44:45], s[44:45], v[42:43]
	v_add_nc_u64_e32 v[46:47], s[44:45], v[44:45]
	s_delay_alu instid0(VALU_DEP_1)
	v_add_nc_u64_e32 v[48:49], s[44:45], v[46:47]
	s_clause 0x7
	flat_load_b32 v50, v[16:17]
	flat_load_b32 v36, v[36:37]
	;; [unrolled: 1-line block ×8, first 2 shown]
	s_wait_loadcnt_dscnt 0x606
	ds_store_2addr_stride64_b32 v21, v50, v36 offset1:2
	s_wait_loadcnt_dscnt 0x405
	ds_store_2addr_stride64_b32 v21, v37, v38 offset0:4 offset1:6
	s_wait_loadcnt_dscnt 0x204
	ds_store_2addr_stride64_b32 v21, v39, v40 offset0:8 offset1:10
	;; [unrolled: 2-line block ×3, first 2 shown]
.LBB145_42:                             ;   in Loop: Header=BB145_4 Depth=1
	s_and_not1_b32 vcc_lo, exec_lo, s13
	s_cbranch_vccnz .LBB145_58
; %bb.43:                               ;   in Loop: Header=BB145_4 Depth=1
	ds_store_2addr_stride64_b32 v21, v3, v3 offset1:2
	ds_store_2addr_stride64_b32 v21, v3, v3 offset0:4 offset1:6
	ds_store_2addr_stride64_b32 v21, v3, v3 offset0:8 offset1:10
	;; [unrolled: 1-line block ×3, first 2 shown]
	s_wait_xcnt 0x0
	s_and_saveexec_b32 s13, s33
	s_cbranch_execz .LBB145_57
; %bb.44:                               ;   in Loop: Header=BB145_4 Depth=1
	s_and_not1_b32 vcc_lo, exec_lo, s52
	s_mov_b32 s57, 0
	s_cbranch_vccnz .LBB145_55
; %bb.45:                               ;   in Loop: Header=BB145_4 Depth=1
	s_and_not1_b32 vcc_lo, exec_lo, s53
	s_cbranch_vccnz .LBB145_52
; %bb.46:                               ;   in Loop: Header=BB145_4 Depth=1
	s_mov_b32 s57, 1
	s_mov_b32 s58, 0
	;; [unrolled: 1-line block ×3, first 2 shown]
.LBB145_47:                             ;   Parent Loop BB145_4 Depth=1
                                        ; =>  This Inner Loop Header: Depth=2
	s_lshl_b32 s20, s58, 2
	s_lshl_b32 s60, s57, 2
	s_mov_b32 s61, s21
	s_mul_u64 s[62:63], s[34:35], s[20:21]
	s_mul_u64 s[60:61], s[46:47], s[60:61]
	v_lshl_add_u64 v[36:37], s[62:63], 2, v[16:17]
	v_lshl_add_u64 v[38:39], s[60:61], 2, v[16:17]
	s_add_co_i32 s59, s59, -2
	s_mov_b32 s60, s55
	s_clause 0x1
	flat_load_b32 v36, v[36:37]
	flat_load_b32 v37, v[38:39]
	s_wait_xcnt 0x0
	v_lshl_add_u32 v38, s58, 9, v21
	v_lshl_add_u32 v39, s57, 9, v21
	s_add_co_i32 s58, s58, 2
	s_add_co_i32 s57, s57, 2
	s_cmp_lg_u32 s59, 0
	s_mov_b32 s20, s54
	s_wait_loadcnt_dscnt 0x101
	ds_store_b32 v38, v36
	s_wait_loadcnt_dscnt 0x1
	ds_store_b32 v39, v37
	s_cbranch_scc1 .LBB145_47
; %bb.48:                               ;   in Loop: Header=BB145_4 Depth=1
	s_and_b32 vcc_lo, exec_lo, s60
	s_mov_b32 s57, s51
	s_cbranch_vccnz .LBB145_53
	s_branch .LBB145_55
.LBB145_49:                             ;   in Loop: Header=BB145_4 Depth=1
	ds_load_b64 v[12:13], v18
	s_mov_b32 s13, s21
	s_delay_alu instid0(SALU_CYCLE_1)
	s_mul_u64 s[56:57], s[14:15], s[12:13]
	s_wait_dscnt 0x0
	v_lshl_add_u64 v[12:13], s[56:57], 2, v[12:13]
	flat_load_b32 v33, v[12:13]
	s_cbranch_execnz .LBB145_6
.LBB145_50:                             ;   in Loop: Header=BB145_4 Depth=1
	s_wait_loadcnt_dscnt 0x0
	ds_load_b32 v33, v18
	s_and_b32 vcc_lo, exec_lo, s49
	s_mov_b32 s10, -1
                                        ; implicit-def: $vgpr34
	s_cbranch_vccz .LBB145_7
.LBB145_51:                             ;   in Loop: Header=BB145_4 Depth=1
	s_wait_xcnt 0x0
	ds_load_b64 v[12:13], v19
	s_mov_b32 s13, s21
	s_delay_alu instid0(SALU_CYCLE_1)
	s_mul_u64 s[56:57], s[22:23], s[12:13]
	s_wait_dscnt 0x0
	v_lshl_add_u64 v[12:13], s[56:57], 2, v[12:13]
	flat_load_b32 v34, v[12:13]
	s_cbranch_execz .LBB145_8
	s_branch .LBB145_9
.LBB145_52:                             ;   in Loop: Header=BB145_4 Depth=1
	s_mov_b32 s20, 0
	s_mov_b32 s57, s51
	s_cbranch_execz .LBB145_55
.LBB145_53:                             ;   in Loop: Header=BB145_4 Depth=1
	v_add_nc_u64_e32 v[14:15], v[14:15], v[10:11]
	v_lshl_add_u64 v[36:37], s[20:21], 4, v[8:9]
	s_delay_alu instid0(VALU_DEP_1) | instskip(NEXT) | instid1(VALU_DEP_1)
	v_mad_nc_u64_u32 v[14:15], s34, v36, v[14:15]
	v_mad_u32 v15, s35, v36, v15
	v_lshl_add_u32 v36, s20, 9, v21
	s_sub_co_i32 s20, s51, s20
	s_delay_alu instid0(VALU_DEP_2)
	v_mad_u32 v15, s34, v37, v15
.LBB145_54:                             ;   Parent Loop BB145_4 Depth=1
                                        ; =>  This Inner Loop Header: Depth=2
	flat_load_b32 v37, v[14:15]
	s_wait_xcnt 0x0
	v_add_nc_u64_e32 v[14:15], s[44:45], v[14:15]
	s_add_co_i32 s20, s20, -1
	s_mov_b32 s57, s51
	s_cmp_lg_u32 s20, 0
	s_wait_loadcnt_dscnt 0x0
	ds_store_b32 v36, v37
	v_add_nc_u32_e32 v36, 0x200, v36
	s_cbranch_scc1 .LBB145_54
.LBB145_55:                             ;   in Loop: Header=BB145_4 Depth=1
	s_and_b32 exec_lo, exec_lo, s2
	s_cbranch_execz .LBB145_57
; %bb.56:                               ;   in Loop: Header=BB145_4 Depth=1
	s_lshl_b32 s20, s57, 2
	s_delay_alu instid0(SALU_CYCLE_1) | instskip(NEXT) | instid1(SALU_CYCLE_1)
	s_mul_u64 s[58:59], s[34:35], s[20:21]
	v_lshl_add_u64 v[14:15], s[58:59], 2, v[16:17]
	flat_load_b32 v14, v[14:15]
	s_wait_xcnt 0x0
	v_lshl_add_u32 v15, s57, 9, v21
	s_wait_loadcnt_dscnt 0x0
	ds_store_b32 v15, v14
.LBB145_57:                             ;   in Loop: Header=BB145_4 Depth=1
	s_or_b32 exec_lo, exec_lo, s13
.LBB145_58:                             ;   in Loop: Header=BB145_4 Depth=1
	s_wait_storecnt_dscnt 0x0
	s_barrier_signal -1
	s_barrier_wait -1
	s_wait_xcnt 0x0
	s_and_saveexec_b32 s13, s48
	s_cbranch_execnz .LBB145_73
; %bb.59:                               ;   in Loop: Header=BB145_4 Depth=1
	s_or_b32 exec_lo, exec_lo, s13
	s_and_saveexec_b32 s13, s3
	s_cbranch_execnz .LBB145_74
.LBB145_60:                             ;   in Loop: Header=BB145_4 Depth=1
	s_or_b32 exec_lo, exec_lo, s13
	s_and_saveexec_b32 s13, s4
	s_cbranch_execnz .LBB145_75
.LBB145_61:                             ;   in Loop: Header=BB145_4 Depth=1
	s_or_b32 exec_lo, exec_lo, s13
	s_and_saveexec_b32 s13, s5
	s_cbranch_execnz .LBB145_76
.LBB145_62:                             ;   in Loop: Header=BB145_4 Depth=1
	s_or_b32 exec_lo, exec_lo, s13
	s_and_saveexec_b32 s13, s6
	s_cbranch_execnz .LBB145_77
.LBB145_63:                             ;   in Loop: Header=BB145_4 Depth=1
	s_or_b32 exec_lo, exec_lo, s13
	s_and_saveexec_b32 s13, s7
	s_cbranch_execnz .LBB145_78
.LBB145_64:                             ;   in Loop: Header=BB145_4 Depth=1
	s_or_b32 exec_lo, exec_lo, s13
	s_and_saveexec_b32 s13, s8
	s_cbranch_execnz .LBB145_79
.LBB145_65:                             ;   in Loop: Header=BB145_4 Depth=1
	s_or_b32 exec_lo, exec_lo, s13
	s_and_saveexec_b32 s13, s9
	s_cbranch_execz .LBB145_67
.LBB145_66:                             ;   in Loop: Header=BB145_4 Depth=1
	ds_load_b32 v14, v22 offset:112
	s_wait_dscnt 0x0
	ds_store_b32 v32, v14
.LBB145_67:                             ;   in Loop: Header=BB145_4 Depth=1
	s_or_b32 exec_lo, exec_lo, s13
	s_wait_dscnt 0x0
	s_barrier_signal -1
	s_barrier_wait -1
	ds_load_b32 v14, v21
	ds_load_b32 v15, v29
	ds_load_2addr_b32 v[16:17], v23 offset1:4
	ds_load_2addr_b32 v[36:37], v23 offset0:8 offset1:12
	ds_load_b32 v38, v30
	ds_load_b32 v39, v31
	ds_load_2addr_b32 v[40:41], v23 offset0:16 offset1:20
	ds_load_b32 v42, v26
	ds_load_b32 v43, v27
	;; [unrolled: 1-line block ×4, first 2 shown]
	s_wait_dscnt 0x8
	v_pk_mul_f32 v[14:15], v[14:15], v[16:17]
	ds_load_2addr_b32 v[16:17], v23 offset0:24 offset1:28
	s_wait_dscnt 0x6
	v_pk_mul_f32 v[36:37], v[38:39], v[36:37]
	v_add_f32_e32 v14, 0, v14
	s_delay_alu instid0(VALU_DEP_1) | instskip(NEXT) | instid1(VALU_DEP_1)
	v_add_f32_e32 v14, v14, v15
	v_add_f32_e32 v36, v14, v36
	s_wait_dscnt 0x3
	v_pk_mul_f32 v[14:15], v[42:43], v[40:41]
	s_delay_alu instid0(VALU_DEP_2) | instskip(SKIP_2) | instid1(VALU_DEP_2)
	v_add_f32_e32 v36, v36, v37
	s_wait_dscnt 0x0
	v_pk_mul_f32 v[16:17], v[44:45], v[16:17]
	v_add_f32_e32 v14, v36, v14
	s_delay_alu instid0(VALU_DEP_1) | instskip(NEXT) | instid1(VALU_DEP_1)
	v_add_f32_e32 v14, v14, v15
	v_add_f32_e32 v14, v14, v16
	s_delay_alu instid0(VALU_DEP_1)
	v_add_f32_e32 v14, v14, v17
	ds_store_b32 v24, v14
	s_wait_dscnt 0x0
	s_barrier_signal -1
	s_barrier_wait -1
	s_and_saveexec_b32 s13, s0
	s_cbranch_execz .LBB145_2
; %bb.68:                               ;   in Loop: Header=BB145_4 Depth=1
	ds_load_2addr_b32 v[14:15], v25 offset1:32
	ds_load_2addr_b32 v[16:17], v25 offset0:64 offset1:96
	v_cmp_neq_f32_e32 vcc_lo, 0, v34
	s_wait_dscnt 0x1
	v_add_f32_e32 v14, 0, v14
	s_delay_alu instid0(VALU_DEP_1) | instskip(SKIP_1) | instid1(VALU_DEP_1)
	v_add_f32_e32 v14, v14, v15
	s_wait_dscnt 0x0
	v_add_f32_e32 v14, v14, v16
	s_delay_alu instid0(VALU_DEP_1) | instskip(NEXT) | instid1(VALU_DEP_1)
	v_add_f32_e32 v14, v14, v17
	v_dual_mul_f32 v15, v33, v14 :: v_dual_fmac_f32 v35, v33, v14
	s_delay_alu instid0(VALU_DEP_1)
	v_cndmask_b32_e32 v14, v15, v35, vcc_lo
	s_and_b32 vcc_lo, exec_lo, s10
	s_mov_b32 s10, -1
	s_cbranch_vccz .LBB145_70
; %bb.69:                               ;   in Loop: Header=BB145_4 Depth=1
	v_lshl_add_u64 v[16:17], v[0:1], 2, v[12:13]
	s_mov_b32 s10, 0
	flat_store_b32 v[16:17], v14
.LBB145_70:                             ;   in Loop: Header=BB145_4 Depth=1
	s_and_not1_b32 vcc_lo, exec_lo, s10
	s_cbranch_vccnz .LBB145_2
; %bb.71:                               ;   in Loop: Header=BB145_4 Depth=1
	s_wait_xcnt 0x0
	s_and_b32 exec_lo, exec_lo, s33
	s_cbranch_execz .LBB145_2
; %bb.72:                               ;   in Loop: Header=BB145_4 Depth=1
	v_lshl_add_u64 v[12:13], v[0:1], 2, v[12:13]
	flat_store_b32 v[12:13], v14
	s_branch .LBB145_2
.LBB145_73:                             ;   in Loop: Header=BB145_4 Depth=1
	ds_load_b32 v14, v22
	s_wait_dscnt 0x0
	ds_store_b32 v21, v14
	s_or_b32 exec_lo, exec_lo, s13
	s_and_saveexec_b32 s13, s3
	s_cbranch_execz .LBB145_60
.LBB145_74:                             ;   in Loop: Header=BB145_4 Depth=1
	ds_load_b32 v14, v22 offset:16
	s_wait_dscnt 0x0
	ds_store_b32 v29, v14
	s_or_b32 exec_lo, exec_lo, s13
	s_and_saveexec_b32 s13, s4
	s_cbranch_execz .LBB145_61
.LBB145_75:                             ;   in Loop: Header=BB145_4 Depth=1
	ds_load_b32 v14, v22 offset:32
	s_wait_dscnt 0x0
	ds_store_b32 v30, v14
	s_or_b32 exec_lo, exec_lo, s13
	s_and_saveexec_b32 s13, s5
	s_cbranch_execz .LBB145_62
.LBB145_76:                             ;   in Loop: Header=BB145_4 Depth=1
	ds_load_b32 v14, v22 offset:48
	s_wait_dscnt 0x0
	ds_store_b32 v31, v14
	s_or_b32 exec_lo, exec_lo, s13
	s_and_saveexec_b32 s13, s6
	s_cbranch_execz .LBB145_63
.LBB145_77:                             ;   in Loop: Header=BB145_4 Depth=1
	ds_load_b32 v14, v22 offset:64
	s_wait_dscnt 0x0
	ds_store_b32 v21, v14 offset:2048
	s_or_b32 exec_lo, exec_lo, s13
	s_and_saveexec_b32 s13, s7
	s_cbranch_execz .LBB145_64
.LBB145_78:                             ;   in Loop: Header=BB145_4 Depth=1
	ds_load_b32 v14, v22 offset:80
	s_wait_dscnt 0x0
	ds_store_b32 v21, v14 offset:2560
	s_or_b32 exec_lo, exec_lo, s13
	s_and_saveexec_b32 s13, s8
	s_cbranch_execz .LBB145_65
.LBB145_79:                             ;   in Loop: Header=BB145_4 Depth=1
	ds_load_b32 v14, v22 offset:96
	s_wait_dscnt 0x0
	ds_store_b32 v21, v14 offset:3072
	s_or_b32 exec_lo, exec_lo, s13
	s_and_saveexec_b32 s13, s9
	s_cbranch_execnz .LBB145_66
	s_branch .LBB145_67
.LBB145_80:
	s_endpgm
	.section	.rodata,"a",@progbits
	.p2align	6, 0x0
	.amdhsa_kernel _ZL58rocblas_symv_kernel_lower_double_buffered_diagonal_genericILi32ELi4E24rocblas_internal_val_ptrIfEPKPKfPKPfEvbiT1_lT2_lllSA_lllS9_lT3_lllii
		.amdhsa_group_segment_fixed_size 7296
		.amdhsa_private_segment_fixed_size 0
		.amdhsa_kernarg_size 400
		.amdhsa_user_sgpr_count 4
		.amdhsa_user_sgpr_dispatch_ptr 1
		.amdhsa_user_sgpr_queue_ptr 0
		.amdhsa_user_sgpr_kernarg_segment_ptr 1
		.amdhsa_user_sgpr_dispatch_id 0
		.amdhsa_user_sgpr_kernarg_preload_length 0
		.amdhsa_user_sgpr_kernarg_preload_offset 0
		.amdhsa_user_sgpr_private_segment_size 0
		.amdhsa_wavefront_size32 1
		.amdhsa_uses_dynamic_stack 0
		.amdhsa_enable_private_segment 0
		.amdhsa_system_sgpr_workgroup_id_x 1
		.amdhsa_system_sgpr_workgroup_id_y 0
		.amdhsa_system_sgpr_workgroup_id_z 1
		.amdhsa_system_sgpr_workgroup_info 0
		.amdhsa_system_vgpr_workitem_id 2
		.amdhsa_next_free_vgpr 51
		.amdhsa_next_free_sgpr 64
		.amdhsa_named_barrier_count 0
		.amdhsa_reserve_vcc 1
		.amdhsa_float_round_mode_32 0
		.amdhsa_float_round_mode_16_64 0
		.amdhsa_float_denorm_mode_32 3
		.amdhsa_float_denorm_mode_16_64 3
		.amdhsa_fp16_overflow 0
		.amdhsa_memory_ordered 1
		.amdhsa_forward_progress 1
		.amdhsa_inst_pref_size 24
		.amdhsa_round_robin_scheduling 0
		.amdhsa_exception_fp_ieee_invalid_op 0
		.amdhsa_exception_fp_denorm_src 0
		.amdhsa_exception_fp_ieee_div_zero 0
		.amdhsa_exception_fp_ieee_overflow 0
		.amdhsa_exception_fp_ieee_underflow 0
		.amdhsa_exception_fp_ieee_inexact 0
		.amdhsa_exception_int_div_zero 0
	.end_amdhsa_kernel
	.section	.text._ZL58rocblas_symv_kernel_lower_double_buffered_diagonal_genericILi32ELi4E24rocblas_internal_val_ptrIfEPKPKfPKPfEvbiT1_lT2_lllSA_lllS9_lT3_lllii,"axG",@progbits,_ZL58rocblas_symv_kernel_lower_double_buffered_diagonal_genericILi32ELi4E24rocblas_internal_val_ptrIfEPKPKfPKPfEvbiT1_lT2_lllSA_lllS9_lT3_lllii,comdat
.Lfunc_end145:
	.size	_ZL58rocblas_symv_kernel_lower_double_buffered_diagonal_genericILi32ELi4E24rocblas_internal_val_ptrIfEPKPKfPKPfEvbiT1_lT2_lllSA_lllS9_lT3_lllii, .Lfunc_end145-_ZL58rocblas_symv_kernel_lower_double_buffered_diagonal_genericILi32ELi4E24rocblas_internal_val_ptrIfEPKPKfPKPfEvbiT1_lT2_lllSA_lllS9_lT3_lllii
                                        ; -- End function
	.set _ZL58rocblas_symv_kernel_lower_double_buffered_diagonal_genericILi32ELi4E24rocblas_internal_val_ptrIfEPKPKfPKPfEvbiT1_lT2_lllSA_lllS9_lT3_lllii.num_vgpr, 51
	.set _ZL58rocblas_symv_kernel_lower_double_buffered_diagonal_genericILi32ELi4E24rocblas_internal_val_ptrIfEPKPKfPKPfEvbiT1_lT2_lllSA_lllS9_lT3_lllii.num_agpr, 0
	.set _ZL58rocblas_symv_kernel_lower_double_buffered_diagonal_genericILi32ELi4E24rocblas_internal_val_ptrIfEPKPKfPKPfEvbiT1_lT2_lllSA_lllS9_lT3_lllii.numbered_sgpr, 64
	.set _ZL58rocblas_symv_kernel_lower_double_buffered_diagonal_genericILi32ELi4E24rocblas_internal_val_ptrIfEPKPKfPKPfEvbiT1_lT2_lllSA_lllS9_lT3_lllii.num_named_barrier, 0
	.set _ZL58rocblas_symv_kernel_lower_double_buffered_diagonal_genericILi32ELi4E24rocblas_internal_val_ptrIfEPKPKfPKPfEvbiT1_lT2_lllSA_lllS9_lT3_lllii.private_seg_size, 0
	.set _ZL58rocblas_symv_kernel_lower_double_buffered_diagonal_genericILi32ELi4E24rocblas_internal_val_ptrIfEPKPKfPKPfEvbiT1_lT2_lllSA_lllS9_lT3_lllii.uses_vcc, 1
	.set _ZL58rocblas_symv_kernel_lower_double_buffered_diagonal_genericILi32ELi4E24rocblas_internal_val_ptrIfEPKPKfPKPfEvbiT1_lT2_lllSA_lllS9_lT3_lllii.uses_flat_scratch, 1
	.set _ZL58rocblas_symv_kernel_lower_double_buffered_diagonal_genericILi32ELi4E24rocblas_internal_val_ptrIfEPKPKfPKPfEvbiT1_lT2_lllSA_lllS9_lT3_lllii.has_dyn_sized_stack, 0
	.set _ZL58rocblas_symv_kernel_lower_double_buffered_diagonal_genericILi32ELi4E24rocblas_internal_val_ptrIfEPKPKfPKPfEvbiT1_lT2_lllSA_lllS9_lT3_lllii.has_recursion, 0
	.set _ZL58rocblas_symv_kernel_lower_double_buffered_diagonal_genericILi32ELi4E24rocblas_internal_val_ptrIfEPKPKfPKPfEvbiT1_lT2_lllSA_lllS9_lT3_lllii.has_indirect_call, 0
	.section	.AMDGPU.csdata,"",@progbits
; Kernel info:
; codeLenInByte = 3040
; TotalNumSgprs: 66
; NumVgprs: 51
; ScratchSize: 0
; MemoryBound: 0
; FloatMode: 240
; IeeeMode: 1
; LDSByteSize: 7296 bytes/workgroup (compile time only)
; SGPRBlocks: 0
; VGPRBlocks: 3
; NumSGPRsForWavesPerEU: 66
; NumVGPRsForWavesPerEU: 51
; NamedBarCnt: 0
; Occupancy: 16
; WaveLimiterHint : 1
; COMPUTE_PGM_RSRC2:SCRATCH_EN: 0
; COMPUTE_PGM_RSRC2:USER_SGPR: 4
; COMPUTE_PGM_RSRC2:TRAP_HANDLER: 0
; COMPUTE_PGM_RSRC2:TGID_X_EN: 1
; COMPUTE_PGM_RSRC2:TGID_Y_EN: 0
; COMPUTE_PGM_RSRC2:TGID_Z_EN: 1
; COMPUTE_PGM_RSRC2:TIDIG_COMP_CNT: 2
	.section	.text._ZL62rocblas_symv_kernel_lower_double_buffered_non_diagonal_genericILi32ELi4ELi4E24rocblas_internal_val_ptrIfEPKPKfPKPfEvbiT2_lT3_lllSA_lllT4_lllii,"axG",@progbits,_ZL62rocblas_symv_kernel_lower_double_buffered_non_diagonal_genericILi32ELi4ELi4E24rocblas_internal_val_ptrIfEPKPKfPKPfEvbiT2_lT3_lllSA_lllT4_lllii,comdat
	.globl	_ZL62rocblas_symv_kernel_lower_double_buffered_non_diagonal_genericILi32ELi4ELi4E24rocblas_internal_val_ptrIfEPKPKfPKPfEvbiT2_lT3_lllSA_lllT4_lllii ; -- Begin function _ZL62rocblas_symv_kernel_lower_double_buffered_non_diagonal_genericILi32ELi4ELi4E24rocblas_internal_val_ptrIfEPKPKfPKPfEvbiT2_lT3_lllSA_lllT4_lllii
	.p2align	8
	.type	_ZL62rocblas_symv_kernel_lower_double_buffered_non_diagonal_genericILi32ELi4ELi4E24rocblas_internal_val_ptrIfEPKPKfPKPfEvbiT2_lT3_lllSA_lllT4_lllii,@function
_ZL62rocblas_symv_kernel_lower_double_buffered_non_diagonal_genericILi32ELi4ELi4E24rocblas_internal_val_ptrIfEPKPKfPKPfEvbiT2_lT3_lllSA_lllT4_lllii: ; @_ZL62rocblas_symv_kernel_lower_double_buffered_non_diagonal_genericILi32ELi4ELi4E24rocblas_internal_val_ptrIfEPKPKfPKPfEvbiT2_lT3_lllSA_lllT4_lllii
; %bb.0:
	s_load_b64 s[12:13], s[0:1], 0x4
	s_clause 0x1
	s_load_b256 s[4:11], s[2:3], 0x8
	s_load_b64 s[20:21], s[2:3], 0x78
	v_bfe_u32 v1, v0, 10, 10
	v_and_b32_e32 v2, 0x3ff, v0
	s_wait_xcnt 0x0
	s_bfe_u32 s0, ttmp6, 0x40014
	s_lshr_b32 s1, ttmp7, 16
	s_add_co_i32 s0, s0, 1
	v_bfe_u32 v0, v0, 20, 10
	s_wait_kmcnt 0x0
	v_mul_u32_u24_e32 v3, s13, v1
	s_lshr_b32 s12, s12, 16
	v_dual_mov_b32 v4, s4 :: v_dual_mov_b32 v5, s5
	s_mul_i32 s12, s12, s13
	s_mul_i32 s4, s1, s0
	v_mad_u32_u24 v3, s12, v2, v3
	s_bfe_u32 s5, ttmp6, 0x40008
	s_getreg_b32 s0, hwreg(HW_REG_IB_STS2, 6, 4)
	s_add_co_i32 s5, s5, s4
	s_cmp_eq_u32 s0, 0
	v_add_lshl_u32 v0, v3, v0, 3
	s_cselect_b32 s4, s1, s5
	s_mov_b32 s5, 0
	s_cmp_ge_u32 s4, s21
	ds_store_b64 v0, v[4:5] offset:3200
	s_cbranch_scc1 .LBB146_38
; %bb.1:
	s_clause 0x1
	s_load_b32 s1, s[2:3], 0x0
	s_load_b64 s[22:23], s[2:3], 0x28
	v_lshl_add_u32 v10, v1, 5, v2
	v_dual_mov_b32 v3, 0 :: v_dual_add_nc_u32 v46, 0xc80, v0
	s_clause 0x1
	s_load_b128 s[12:15], s[2:3], 0x38
	s_load_b64 s[24:25], s[2:3], 0x48
	v_dual_lshlrev_b32 v14, 2, v2 :: v_dual_bitop2_b32 v4, 15, v2 bitop3:0x40
	v_dual_mov_b32 v5, v3 :: v_dual_lshrrev_b32 v0, 4, v10
	s_clause 0x1
	s_load_b64 s[26:27], s[2:3], 0x58
	s_load_b128 s[16:19], s[2:3], 0x60
	s_add_nc_u64 s[28:29], s[2:3], 0x80
	v_dual_mov_b32 v17, v3 :: v_dual_lshlrev_b32 v11, 2, v0
	v_dual_lshlrev_b32 v28, 2, v4 :: v_dual_bitop2_b32 v16, 16, v4 bitop3:0x54
	v_and_b32_e32 v18, 0xfff0, v10
	v_lshlrev_b32_e32 v30, 8, v0
	v_add_nc_u32_e32 v47, 0xc00, v14
	v_add_nc_u32_e32 v49, 0x800, v14
	s_wait_kmcnt 0x0
	s_bitcmp1_b32 s1, 0
	v_mad_nc_u64_u32 v[6:7], s22, v11, v[4:5]
	s_cselect_b32 s1, -1, 0
	s_bfe_u32 s30, ttmp6, 0x40010
	s_bfe_u32 s34, ttmp6, 0x4000c
	s_and_b32 s2, ttmp7, 0xffff
	s_add_co_i32 s30, s30, 1
	s_add_co_i32 s34, s34, 1
	s_bfe_u32 s31, ttmp6, 0x40004
	s_and_b32 s33, ttmp6, 15
	s_xor_b32 s3, s1, -1
	s_mul_i32 s1, s2, s30
	s_mul_i32 s30, ttmp9, s34
	s_add_co_i32 s31, s31, s1
	s_add_co_i32 s33, s33, s30
	s_cmp_eq_u32 s0, 0
	s_add_nc_u64 s[0:1], s[22:23], 1
	s_cselect_b32 s33, ttmp9, s33
	s_cselect_b32 s66, s2, s31
	s_lshl_b32 s40, s33, 5
	v_mad_u32 v7, s23, v11, v7
	s_ashr_i32 s41, s40, 31
	v_mul_u64_e32 v[10:11], s[24:25], v[4:5]
	s_mul_u64 s[46:47], s[0:1], s[40:41]
	v_cmp_eq_u32_e64 s0, 0, v1
	v_or_b32_e32 v1, 0x800, v28
	v_lshlrev_b32_e32 v5, 7, v0
	v_cmp_gt_i32_e64 s1, s20, v4
	v_add_nc_u32_e32 v4, 1, v2
	v_mul_u64_e32 v[12:13], s[24:25], v[16:17]
	v_cmp_gt_i32_e64 s2, s20, v16
	v_dual_add_nc_u32 v16, 2, v2 :: v_dual_add_nc_u32 v50, v1, v5
	s_delay_alu instid0(VALU_DEP_4) | instskip(SKIP_1) | instid1(VALU_DEP_3)
	v_dual_lshlrev_b32 v5, 6, v2 :: v_dual_bitop2_b32 v1, 15, v4 bitop3:0x40
	v_add_nc_u32_e32 v48, 0xc00, v18
	v_dual_add_nc_u32 v16, 3, v2 :: v_dual_bitop2_b32 v4, 15, v16 bitop3:0x40
	s_delay_alu instid0(VALU_DEP_3) | instskip(NEXT) | instid1(VALU_DEP_4)
	v_or_b32_e32 v51, v5, v28
	v_lshl_or_b32 v52, v1, 2, v5
	v_dual_add_nc_u32 v1, 4, v2 :: v_dual_add_nc_u32 v19, 7, v2
	s_delay_alu instid0(VALU_DEP_4) | instskip(SKIP_1) | instid1(VALU_DEP_3)
	v_lshl_or_b32 v53, v4, 2, v5
	v_dual_add_nc_u32 v17, 6, v2 :: v_dual_bitop2_b32 v4, 15, v16 bitop3:0x40
	v_dual_add_nc_u32 v16, 5, v2 :: v_dual_bitop2_b32 v1, 15, v1 bitop3:0x40
	v_mul_u64_e32 v[8:9], s[24:25], v[2:3]
	s_delay_alu instid0(VALU_DEP_3) | instskip(SKIP_1) | instid1(VALU_DEP_4)
	v_lshl_or_b32 v54, v4, 2, v5
	v_mul_u64_e32 v[14:15], s[18:19], v[2:3]
	v_lshl_or_b32 v55, v1, 2, v5
	v_dual_mov_b32 v1, v3 :: v_dual_bitop2_b32 v4, 15, v16 bitop3:0x40
	v_and_b32_e32 v16, 15, v17
	v_dual_add_nc_u32 v19, 11, v2 :: v_dual_bitop2_b32 v17, 15, v19 bitop3:0x40
	s_delay_alu instid0(VALU_DEP_3) | instskip(SKIP_2) | instid1(VALU_DEP_2)
	v_mul_u64_e32 v[0:1], s[22:23], v[0:1]
	s_mul_u64 s[44:45], s[24:25], s[40:41]
	s_mul_u64 s[48:49], s[18:19], s[40:41]
	v_lshl_or_b32 v58, v17, 2, v5
	v_add_nc_u32_e32 v17, 10, v2
	v_lshl_or_b32 v57, v16, 2, v5
	v_add_nc_u32_e32 v16, 9, v2
	v_lshl_or_b32 v56, v4, 2, v5
	v_bitop3_b32 v4, v2, 8, 15 bitop3:0x6c
	v_dual_mov_b32 v29, v3 :: v_dual_add_nc_u32 v20, 12, v2
	v_or_b32_e32 v24, 12, v18
	v_or_b32_e32 v25, 4, v18
	s_delay_alu instid0(VALU_DEP_4) | instskip(SKIP_4) | instid1(VALU_DEP_4)
	v_lshl_or_b32 v59, v4, 2, v5
	v_and_b32_e32 v4, 15, v16
	v_and_b32_e32 v16, 15, v17
	;; [unrolled: 1-line block ×3, first 2 shown]
	v_dual_add_nc_u32 v20, 13, v2 :: v_dual_bitop2_b32 v19, 15, v20 bitop3:0x40
	v_lshl_or_b32 v60, v4, 2, v5
	s_delay_alu instid0(VALU_DEP_4)
	v_lshl_or_b32 v61, v16, 2, v5
	v_add_nc_u32_e32 v16, 14, v2
	s_lshl_b64 s[40:41], s[40:41], 2
	v_and_b32_e32 v4, 15, v20
	v_or_b32_e32 v3, 8, v18
	v_cmp_gt_i32_e32 vcc_lo, s20, v2
	v_dual_add_nc_u32 v67, v28, v30 :: v_dual_bitop2_b32 v22, 15, v16 bitop3:0x40
	v_lshl_or_b32 v62, v17, 2, v5
	v_add_nc_u32_e32 v2, -1, v2
	v_lshl_or_b32 v63, v19, 2, v5
	v_mad_nc_u64_u32 v[18:19], s22, v24, v[28:29]
	v_mad_nc_u64_u32 v[20:21], s22, v25, v[28:29]
	v_lshl_or_b32 v65, v22, 2, v5
	v_lshl_add_u64 v[22:23], v[0:1], 4, v[28:29]
	v_mov_b32_e32 v1, s41
	v_mad_nc_u64_u32 v[16:17], s22, v3, v[28:29]
	v_or_b32_e32 v0, s40, v28
	v_and_b32_e32 v2, 15, v2
	v_lshl_or_b32 v64, v4, 2, v5
	s_lshl_b64 s[52:53], s[24:25], 5
	s_lshl_b64 s[50:51], s[22:23], 2
	v_mad_u32 v19, s23, v24, v19
	v_mad_u32 v21, s23, v25, v21
	v_add_nc_u64_e32 v[24:25], 0x100, v[0:1]
	v_add_nc_u64_e32 v[26:27], 0xc0, v[0:1]
	v_lshl_or_b32 v66, v2, 2, v5
	v_mad_u32 v17, s23, v3, v17
	s_not_b32 s67, s33
	s_lshl_b32 s68, s66, 5
	s_lshl_b64 s[30:31], s[22:23], 3
	s_mul_u64 s[34:35], s[22:23], 12
	s_lshl_b64 s[36:37], s[18:19], 7
	s_mul_u64 s[38:39], s[22:23], 3
	s_and_b32 s20, s0, vcc_lo
	s_lshl_b64 s[42:43], s[24:25], 7
	s_lshl_b64 s[14:15], s[14:15], 2
	;; [unrolled: 1-line block ×7, first 2 shown]
	s_sub_nc_u64 s[50:51], 0, s[50:51]
	s_lshl_b64 s[52:53], s[52:53], 2
	s_branch .LBB146_3
.LBB146_2:                              ;   in Loop: Header=BB146_3 Depth=1
	s_wait_xcnt 0x0
	s_or_b32 exec_lo, exec_lo, s69
	s_add_co_i32 s4, s4, 0x10000
	s_delay_alu instid0(SALU_CYCLE_1)
	s_cmp_lt_u32 s4, s21
	s_cbranch_scc0 .LBB146_38
.LBB146_3:                              ; =>This Loop Header: Depth=1
                                        ;     Child Loop BB146_19 Depth 2
	s_and_b32 vcc_lo, exec_lo, s3
	s_wait_kmcnt 0x0
	s_mov_b32 s54, -1
                                        ; implicit-def: $vgpr68
	s_cbranch_vccz .LBB146_5
; %bb.4:                                ;   in Loop: Header=BB146_3 Depth=1
	s_wait_loadcnt 0x0
	ds_load_b64 v[0:1], v46
	s_mul_u64 s[54:55], s[6:7], s[4:5]
	s_wait_dscnt 0x0
	v_lshl_add_u64 v[0:1], s[54:55], 2, v[0:1]
	s_mov_b32 s54, 0
	flat_load_b32 v68, v[0:1]
.LBB146_5:                              ;   in Loop: Header=BB146_3 Depth=1
	s_and_not1_b32 vcc_lo, exec_lo, s54
	s_cbranch_vccnz .LBB146_7
; %bb.6:                                ;   in Loop: Header=BB146_3 Depth=1
	s_wait_loadcnt_dscnt 0x0
	ds_load_b32 v68, v46
.LBB146_7:                              ;   in Loop: Header=BB146_3 Depth=1
	s_mov_b32 s69, exec_lo
	s_wait_loadcnt_dscnt 0x0
	s_wait_xcnt 0x0
	v_cmpx_neq_f32_e32 0, v68
	s_cbranch_execz .LBB146_2
; %bb.8:                                ;   in Loop: Header=BB146_3 Depth=1
	s_load_b64 s[58:59], s[28:29], 0x0
	s_wait_kmcnt 0x0
	s_add_co_i32 s54, s58, -1
	s_delay_alu instid0(SALU_CYCLE_1)
	s_cmp_eq_u32 s33, s54
	s_cbranch_scc1 .LBB146_2
; %bb.9:                                ;   in Loop: Header=BB146_3 Depth=1
	v_mov_b32_e32 v0, s4
	s_clause 0x1
	global_load_b64 v[2:3], v0, s[12:13] scale_offset
	global_load_b64 v[0:1], v0, s[8:9] scale_offset
	s_wait_loadcnt 0x1
	v_readfirstlane_b32 s56, v2
	v_readfirstlane_b32 s57, v3
	s_add_nc_u64 s[56:57], s[56:57], s[14:15]
	s_delay_alu instid0(SALU_CYCLE_1)
	s_add_nc_u64 s[60:61], s[56:57], s[44:45]
	s_wait_xcnt 0x0
	s_and_saveexec_b32 s55, s0
	s_cbranch_execz .LBB146_11
; %bb.10:                               ;   in Loop: Header=BB146_3 Depth=1
	v_lshl_add_u64 v[2:3], v[8:9], 2, s[60:61]
	flat_load_b32 v2, v[2:3]
	s_wait_loadcnt_dscnt 0x0
	ds_store_b32 v47, v2
.LBB146_11:                             ;   in Loop: Header=BB146_3 Depth=1
	s_wait_xcnt 0x0
	s_or_b32 exec_lo, exec_lo, s55
	s_cvt_f32_u32 s55, s59
	s_sub_co_i32 s62, 0, s59
	s_add_co_i32 s63, s54, s67
	s_delay_alu instid0(SALU_CYCLE_1) | instskip(SKIP_1) | instid1(TRANS32_DEP_1)
	v_rcp_iflag_f32_e32 v2, s55
	v_nop
	v_readfirstlane_b32 s55, v2
	s_mul_f32 s55, s55, 0x4f7ffffe
	s_delay_alu instid0(SALU_CYCLE_3) | instskip(NEXT) | instid1(SALU_CYCLE_3)
	s_cvt_u32_f32 s55, s55
	s_mul_i32 s62, s62, s55
	s_delay_alu instid0(SALU_CYCLE_1) | instskip(NEXT) | instid1(SALU_CYCLE_1)
	s_mul_hi_u32 s62, s55, s62
	s_add_co_i32 s55, s55, s62
	s_delay_alu instid0(SALU_CYCLE_1) | instskip(SKIP_4) | instid1(SALU_CYCLE_1)
	s_mul_hi_u32 s62, s63, s55
	s_load_b64 s[54:55], s[26:27], s4 offset:0x0 scale_offset
	s_mul_i32 s64, s62, s59
	s_add_co_i32 s65, s62, 1
	s_sub_co_i32 s64, s63, s64
	s_sub_co_i32 s70, s64, s59
	s_cmp_ge_u32 s64, s59
	s_cselect_b32 s62, s65, s62
	s_cselect_b32 s64, s70, s64
	s_add_co_i32 s65, s62, 1
	s_cmp_ge_u32 s64, s59
	s_cselect_b32 s62, s65, s62
	s_add_co_i32 s64, s59, -1
	s_mov_b32 s71, s62
	s_cmp_eq_u32 s66, s64
	s_cselect_b32 s70, -1, 0
	s_cmp_lg_u32 s66, s64
	s_cbranch_scc1 .LBB146_13
; %bb.12:                               ;   in Loop: Header=BB146_3 Depth=1
	s_mul_i32 s59, s62, s59
	s_delay_alu instid0(SALU_CYCLE_1) | instskip(NEXT) | instid1(SALU_CYCLE_1)
	s_sub_co_i32 s59, s63, s59
	s_add_co_i32 s71, s59, s62
.LBB146_13:                             ;   in Loop: Header=BB146_3 Depth=1
	s_cmp_lg_u32 s66, s64
	s_cselect_b32 s59, -1, 0
	s_cmp_eq_u32 s71, 0
	s_cselect_b32 s63, -1, 0
	s_delay_alu instid0(SALU_CYCLE_1) | instskip(NEXT) | instid1(SALU_CYCLE_1)
	s_and_b32 s59, s59, s63
	s_and_b32 vcc_lo, exec_lo, s59
	s_cbranch_vccnz .LBB146_2
; %bb.14:                               ;   in Loop: Header=BB146_3 Depth=1
	s_wait_loadcnt 0x0
	v_add_nc_u64_e32 v[0:1], s[10:11], v[0:1]
	s_mul_i32 s64, s68, s62
	s_add_co_i32 s72, s58, -2
	s_ashr_i32 s65, s64, 31
	v_dual_mov_b32 v3, 0 :: v_dual_mov_b32 v28, 0
	s_lshl_b64 s[62:63], s[64:65], 2
	s_delay_alu instid0(VALU_DEP_2) | instskip(SKIP_4) | instid1(VALU_DEP_3)
	v_add_nc_u64_e32 v[4:5], s[46:47], v[0:1]
	s_mul_u64 s[58:59], s[24:25], s[64:65]
	v_dual_mov_b32 v0, 0 :: v_dual_mov_b32 v1, 0
	v_dual_mov_b32 v69, 0 :: v_dual_mov_b32 v38, 0
	s_lshl_b64 s[58:59], s[58:59], 2
	v_add_nc_u64_e32 v[32:33], s[62:63], v[4:5]
	s_add_nc_u64 s[58:59], s[60:61], s[58:59]
	s_cmp_ge_u32 s33, s72
	s_wait_dscnt 0x0
	s_barrier_signal -1
	s_barrier_wait -1
	s_cbranch_scc1 .LBB146_16
; %bb.15:                               ;   in Loop: Header=BB146_3 Depth=1
	v_lshl_add_u64 v[0:1], v[6:7], 2, v[32:33]
	s_add_nc_u64 s[60:61], s[58:59], s[52:53]
	s_delay_alu instid0(SALU_CYCLE_1) | instskip(NEXT) | instid1(VALU_DEP_2)
	v_lshl_add_u64 v[34:35], v[10:11], 2, s[60:61]
	v_add_nc_u64_e32 v[28:29], s[30:31], v[0:1]
	v_lshl_add_u64 v[4:5], s[22:23], 2, v[0:1]
	v_add_nc_u64_e32 v[30:31], s[34:35], v[0:1]
	s_clause 0x3
	flat_load_b32 v0, v[0:1] offset:128
	flat_load_b32 v1, v[4:5] offset:128
	;; [unrolled: 1-line block ×4, first 2 shown]
	flat_load_b32 v28, v[34:35]
.LBB146_16:                             ;   in Loop: Header=BB146_3 Depth=1
	s_wait_kmcnt 0x0
	s_add_nc_u64 s[54:55], s[54:55], s[16:17]
	s_mul_u64 s[60:61], s[18:19], s[64:65]
	s_add_nc_u64 s[54:55], s[54:55], s[48:49]
	s_lshl_b64 s[60:61], s[60:61], 2
	s_cmp_lt_i32 s71, 1
	s_add_nc_u64 s[60:61], s[54:55], s[60:61]
	s_cbranch_scc1 .LBB146_23
; %bb.17:                               ;   in Loop: Header=BB146_3 Depth=1
	s_cmp_eq_u32 s71, 1
	s_cbranch_scc1 .LBB146_24
; %bb.18:                               ;   in Loop: Header=BB146_3 Depth=1
	v_add_nc_u64_e32 v[2:3], s[62:63], v[24:25]
	v_add_nc_u64_e32 v[4:5], s[62:63], v[26:27]
	v_mov_b32_e32 v36, 0
	s_wait_xcnt 0x0
	v_mov_b64_e32 v[30:31], s[60:61]
	s_add_nc_u64 s[58:59], s[40:41], s[62:63]
	s_add_co_i32 s60, s71, -1
	s_mul_u64 s[58:59], s[24:25], s[58:59]
	v_mul_u64_e32 v[40:41], s[24:25], v[2:3]
	v_mul_u64_e32 v[42:43], s[24:25], v[4:5]
	v_dual_mov_b32 v37, v36 :: v_dual_mov_b32 v34, v36
	v_mov_b32_e32 v35, v36
.LBB146_19:                             ;   Parent Loop BB146_3 Depth=1
                                        ; =>  This Inner Loop Header: Depth=2
	v_add_nc_u64_e32 v[74:75], v[32:33], v[22:23]
	v_add_nc_u64_e32 v[2:3], v[32:33], v[20:21]
	;; [unrolled: 1-line block ×6, first 2 shown]
	s_clause 0x3
	flat_load_b32 v44, v[74:75] offset:192
	flat_load_b32 v45, v[2:3] offset:192
	;; [unrolled: 1-line block ×4, first 2 shown]
	flat_load_b32 v4, v[4:5]
	s_clause 0x3
	flat_load_b32 v5, v[76:77] offset:256
	flat_load_b32 v70, v[70:71] offset:256
	;; [unrolled: 1-line block ×4, first 2 shown]
	flat_load_b32 v71, v[78:79]
	s_wait_xcnt 0x1
	ds_load_b128 v[74:77], v48
	s_wait_loadcnt_dscnt 0x0
	s_barrier_signal -1
	s_barrier_wait -1
	v_fma_f32 v29, v0, v74, 0
	s_delay_alu instid0(VALU_DEP_1) | instskip(NEXT) | instid1(VALU_DEP_1)
	v_fmac_f32_e32 v29, v1, v75
	v_fmac_f32_e32 v29, v69, v76
	s_delay_alu instid0(VALU_DEP_1) | instskip(SKIP_1) | instid1(VALU_DEP_1)
	v_fmac_f32_e32 v29, v38, v77
	v_fma_f32 v73, v44, v74, 0
	v_fmac_f32_e32 v73, v45, v75
	s_delay_alu instid0(VALU_DEP_1) | instskip(NEXT) | instid1(VALU_DEP_1)
	v_fmac_f32_e32 v73, v72, v76
	v_fmac_f32_e32 v73, v39, v77
	ds_store_2addr_b32 v50, v29, v73 offset1:16
	s_wait_dscnt 0x0
	s_barrier_signal -1
	s_barrier_wait -1
	s_wait_xcnt 0x0
	s_and_saveexec_b32 s61, s0
	s_cbranch_execz .LBB146_21
; %bb.20:                               ;   in Loop: Header=BB146_19 Depth=2
	ds_load_2addr_b32 v[74:75], v49 offset1:32
	ds_load_2addr_b32 v[76:77], v49 offset0:64 offset1:96
	ds_load_2addr_b32 v[78:79], v49 offset0:128 offset1:160
	v_add_nc_u64_e32 v[30:31], s[36:37], v[30:31]
	s_wait_dscnt 0x2
	v_add_f32_e32 v29, 0, v74
	s_delay_alu instid0(VALU_DEP_1) | instskip(SKIP_3) | instid1(VALU_DEP_1)
	v_add_f32_e32 v29, v29, v75
	ds_load_2addr_b32 v[74:75], v49 offset0:192 offset1:224
	s_wait_dscnt 0x2
	v_add_f32_e32 v29, v29, v76
	v_add_f32_e32 v29, v29, v77
	s_wait_dscnt 0x1
	s_delay_alu instid0(VALU_DEP_1) | instskip(NEXT) | instid1(VALU_DEP_1)
	v_add_f32_e32 v29, v29, v78
	v_add_f32_e32 v29, v29, v79
	s_wait_dscnt 0x0
	s_delay_alu instid0(VALU_DEP_1) | instskip(NEXT) | instid1(VALU_DEP_1)
	v_add_f32_e32 v29, v29, v74
	v_add_f32_e32 v29, v29, v75
	v_lshl_add_u64 v[74:75], v[14:15], 2, v[30:31]
	s_delay_alu instid0(VALU_DEP_2)
	v_mul_f32_e32 v29, v68, v29
	flat_atomic_add_f32 v[74:75], v29 scope:SCOPE_DEV
.LBB146_21:                             ;   in Loop: Header=BB146_19 Depth=2
	s_wait_xcnt 0x0
	s_or_b32 exec_lo, exec_lo, s61
	v_mov_b32_e32 v29, v4
	v_mul_f32_e32 v74, v28, v69
	v_add_nc_u64_e32 v[32:33], 0x80, v[32:33]
	s_add_co_i32 s60, s60, -1
	s_add_nc_u64 s[56:57], s[56:57], s[42:43]
	v_pk_mul_f32 v[38:39], v[28:29], v[38:39]
	s_cmp_eq_u32 s60, 0
	s_delay_alu instid0(VALU_DEP_1) | instskip(SKIP_1) | instid1(VALU_DEP_2)
	v_dual_mov_b32 v75, v38 :: v_dual_mul_f32 v38, v4, v72
	v_pk_fma_f32 v[0:1], v[28:29], v[0:1], v[36:37] op_sel_hi:[0,1,1]
	v_pk_add_f32 v[28:29], v[34:35], v[74:75]
	s_delay_alu instid0(VALU_DEP_2) | instskip(NEXT) | instid1(VALU_DEP_2)
	v_pk_fma_f32 v[36:37], v[4:5], v[44:45], v[0:1] op_sel_hi:[0,1,1]
	v_pk_add_f32 v[34:35], v[28:29], v[38:39]
	s_cbranch_scc1 .LBB146_25
; %bb.22:                               ;   in Loop: Header=BB146_19 Depth=2
	v_dual_mov_b32 v28, v71 :: v_dual_mov_b32 v0, v2
	v_dual_mov_b32 v1, v3 :: v_dual_mov_b32 v69, v70
	v_mov_b32_e32 v38, v5
	s_branch .LBB146_19
.LBB146_23:                             ;   in Loop: Header=BB146_3 Depth=1
	s_wait_xcnt 0x0
	v_mov_b64_e32 v[30:31], s[60:61]
	s_wait_loadcnt_dscnt 0x303
	v_dual_mov_b32 v2, 0 :: v_dual_mov_b32 v1, 0
	v_dual_mov_b32 v0, 0 :: v_dual_mov_b32 v4, 0
	s_and_b32 vcc_lo, exec_lo, s70
	s_cbranch_vccnz .LBB146_29
	s_branch .LBB146_36
.LBB146_24:                             ;   in Loop: Header=BB146_3 Depth=1
	s_wait_loadcnt_dscnt 0x101
	s_wait_xcnt 0x0
	v_dual_mov_b32 v35, 0 :: v_dual_mov_b32 v3, v38
	v_mov_b64_e32 v[30:31], s[60:61]
	s_delay_alu instid0(VALU_DEP_2) | instskip(NEXT) | instid1(VALU_DEP_3)
	v_dual_mov_b32 v34, v35 :: v_dual_mov_b32 v37, v35
	v_mov_b64_e32 v[4:5], v[2:3]
	v_mov_b64_e32 v[2:3], v[0:1]
	v_mov_b32_e32 v36, v35
	s_branch .LBB146_26
.LBB146_25:                             ;   in Loop: Header=BB146_3 Depth=1
	v_dual_mov_b32 v38, v5 :: v_dual_mov_b32 v69, v70
	v_dual_mov_b32 v1, v3 :: v_dual_mov_b32 v0, v2
	v_mov_b32_e32 v28, v71
	s_add_nc_u64 s[58:59], s[56:57], s[58:59]
.LBB146_26:                             ;   in Loop: Header=BB146_3 Depth=1
	v_lshl_add_u64 v[44:45], v[6:7], 2, v[32:33]
	s_add_nc_u64 s[58:59], s[58:59], s[52:53]
	s_delay_alu instid0(VALU_DEP_1) | instskip(NEXT) | instid1(VALU_DEP_1)
	v_lshl_add_u64 v[70:71], s[38:39], 2, v[44:45]
	v_add_nc_u64_e32 v[40:41], s[50:51], v[70:71]
	s_delay_alu instid0(VALU_DEP_1)
	v_add_nc_u64_e32 v[72:73], s[50:51], v[40:41]
	s_clause 0x3
	flat_load_b32 v42, v[40:41] offset:192
	flat_load_b32 v41, v[72:73] offset:192
	;; [unrolled: 1-line block ×4, first 2 shown]
	s_wait_xcnt 0x1
	v_lshl_add_u64 v[44:45], v[12:13], 2, s[58:59]
	s_wait_xcnt 0x0
	ds_load_b128 v[70:73], v48
	flat_load_b32 v4, v[44:45]
	s_wait_storecnt 0x0
	s_wait_loadcnt_dscnt 0x0
	s_barrier_signal -1
	s_barrier_wait -1
	v_fma_f32 v0, v0, v70, 0
	v_fma_f32 v29, v40, v70, 0
	s_delay_alu instid0(VALU_DEP_1) | instskip(NEXT) | instid1(VALU_DEP_1)
	v_fmac_f32_e32 v29, v41, v71
	v_dual_fmac_f32 v0, v1, v71 :: v_dual_fmac_f32 v29, v42, v72
	s_delay_alu instid0(VALU_DEP_1) | instskip(NEXT) | instid1(VALU_DEP_1)
	v_dual_fmac_f32 v0, v69, v72 :: v_dual_fmac_f32 v29, v39, v73
	v_fmac_f32_e32 v0, v38, v73
	ds_store_2addr_b32 v50, v0, v29 offset1:16
	s_wait_dscnt 0x0
	s_barrier_signal -1
	s_barrier_wait -1
	s_and_saveexec_b32 s56, s0
	s_cbranch_execz .LBB146_28
; %bb.27:                               ;   in Loop: Header=BB146_3 Depth=1
	ds_load_2addr_b32 v[0:1], v49 offset1:32
	ds_load_2addr_b32 v[44:45], v49 offset0:64 offset1:96
	ds_load_2addr_b32 v[70:71], v49 offset0:128 offset1:160
	v_add_nc_u64_e32 v[30:31], s[36:37], v[30:31]
	s_wait_dscnt 0x2
	v_add_f32_e32 v0, 0, v0
	s_delay_alu instid0(VALU_DEP_1) | instskip(SKIP_1) | instid1(VALU_DEP_1)
	v_add_f32_e32 v0, v0, v1
	s_wait_dscnt 0x1
	v_add_f32_e32 v29, v0, v44
	ds_load_2addr_b32 v[0:1], v49 offset0:192 offset1:224
	v_add_f32_e32 v29, v29, v45
	s_wait_dscnt 0x1
	s_delay_alu instid0(VALU_DEP_1) | instskip(NEXT) | instid1(VALU_DEP_1)
	v_add_f32_e32 v29, v29, v70
	v_add_f32_e32 v29, v29, v71
	s_wait_dscnt 0x0
	s_delay_alu instid0(VALU_DEP_1) | instskip(NEXT) | instid1(VALU_DEP_1)
	v_add_f32_e32 v0, v29, v0
	v_add_f32_e32 v29, v0, v1
	v_lshl_add_u64 v[0:1], v[14:15], 2, v[30:31]
	s_delay_alu instid0(VALU_DEP_2)
	v_mul_f32_e32 v29, v68, v29
	flat_atomic_add_f32 v[0:1], v29 scope:SCOPE_DEV
.LBB146_28:                             ;   in Loop: Header=BB146_3 Depth=1
	s_wait_xcnt 0x0
	s_or_b32 exec_lo, exec_lo, s56
	v_dual_mov_b32 v29, v4 :: v_dual_mov_b32 v38, v5
	v_add_nc_u64_e32 v[32:33], 0x80, v[32:33]
	s_delay_alu instid0(VALU_DEP_2) | instskip(NEXT) | instid1(VALU_DEP_3)
	v_pk_fma_f32 v[36:37], v[28:29], v[2:3], v[36:37] op_sel_hi:[0,1,1]
	v_pk_mul_f32 v[0:1], v[28:29], v[38:39]
	v_mul_f32_e32 v38, v28, v69
	s_delay_alu instid0(VALU_DEP_2) | instskip(SKIP_1) | instid1(VALU_DEP_2)
	v_mov_b32_e32 v39, v0
	v_mul_f32_e32 v0, v4, v42
	v_pk_add_f32 v[34:35], v[34:35], v[38:39]
	s_delay_alu instid0(VALU_DEP_1)
	v_pk_add_f32 v[2:3], v[34:35], v[0:1]
	v_pk_fma_f32 v[0:1], v[4:5], v[40:41], v[36:37] op_sel_hi:[0,1,1]
	s_and_b32 vcc_lo, exec_lo, s70
	s_cbranch_vccz .LBB146_36
.LBB146_29:                             ;   in Loop: Header=BB146_3 Depth=1
	s_wait_loadcnt_dscnt 0x101
	v_dual_mov_b32 v34, 0 :: v_dual_mov_b32 v38, 0
	v_dual_mov_b32 v39, 0 :: v_dual_mov_b32 v5, 0
	v_mov_b32_e32 v36, 0
	s_add_nc_u64 s[56:57], s[58:59], s[52:53]
	s_and_saveexec_b32 s58, s1
	s_cbranch_execz .LBB146_31
; %bb.30:                               ;   in Loop: Header=BB146_3 Depth=1
	s_wait_loadcnt_dscnt 0x0
	v_lshl_add_u64 v[28:29], v[6:7], 2, v[32:33]
	v_lshl_add_u64 v[44:45], v[10:11], 2, s[56:57]
	s_delay_alu instid0(VALU_DEP_2)
	v_add_nc_u64_e32 v[36:37], s[30:31], v[28:29]
	v_add_nc_u64_e32 v[40:41], s[34:35], v[28:29]
	v_lshl_add_u64 v[42:43], s[22:23], 2, v[28:29]
	s_clause 0x3
	flat_load_b32 v38, v[28:29] offset:128
	flat_load_b32 v39, v[42:43] offset:128
	;; [unrolled: 1-line block ×4, first 2 shown]
	flat_load_b32 v28, v[44:45]
.LBB146_31:                             ;   in Loop: Header=BB146_3 Depth=1
	s_wait_xcnt 0x0
	s_or_b32 exec_lo, exec_lo, s58
	v_dual_mov_b32 v35, 0 :: v_dual_mov_b32 v40, 0
	v_mov_b32_e32 v37, 0
	s_and_saveexec_b32 s58, s2
	s_cbranch_execz .LBB146_33
; %bb.32:                               ;   in Loop: Header=BB146_3 Depth=1
	v_lshl_add_u64 v[32:33], v[6:7], 2, v[32:33]
	v_lshl_add_u64 v[70:71], v[12:13], 2, s[56:57]
	s_delay_alu instid0(VALU_DEP_2)
	v_add_nc_u64_e32 v[40:41], s[30:31], v[32:33]
	v_add_nc_u64_e32 v[42:43], s[34:35], v[32:33]
	v_lshl_add_u64 v[44:45], s[22:23], 2, v[32:33]
	s_clause 0x3
	flat_load_b32 v34, v[32:33] offset:192
	flat_load_b32 v35, v[44:45] offset:192
	;; [unrolled: 1-line block ×4, first 2 shown]
	flat_load_b32 v4, v[70:71]
.LBB146_33:                             ;   in Loop: Header=BB146_3 Depth=1
	s_wait_xcnt 0x0
	s_or_b32 exec_lo, exec_lo, s58
	ds_load_b128 v[42:45], v48
	s_wait_storecnt 0x0
	s_wait_loadcnt_dscnt 0x0
	s_barrier_signal -1
	s_barrier_wait -1
	v_fma_f32 v29, v34, v42, 0
	v_fma_f32 v32, v38, v42, 0
	s_delay_alu instid0(VALU_DEP_1) | instskip(NEXT) | instid1(VALU_DEP_1)
	v_fmac_f32_e32 v32, v39, v43
	v_dual_fmac_f32 v29, v35, v43 :: v_dual_fmac_f32 v32, v5, v44
	s_delay_alu instid0(VALU_DEP_1) | instskip(NEXT) | instid1(VALU_DEP_1)
	v_fmac_f32_e32 v29, v40, v44
	v_dual_fmac_f32 v32, v36, v45 :: v_dual_fmac_f32 v29, v37, v45
	ds_store_2addr_b32 v50, v32, v29 offset1:16
	s_wait_dscnt 0x0
	s_barrier_signal -1
	s_barrier_wait -1
	s_and_saveexec_b32 s56, s20
	s_cbranch_execz .LBB146_35
; %bb.34:                               ;   in Loop: Header=BB146_3 Depth=1
	ds_load_2addr_b32 v[32:33], v49 offset1:32
	ds_load_2addr_b32 v[42:43], v49 offset0:64 offset1:96
	ds_load_2addr_b32 v[44:45], v49 offset0:128 offset1:160
	v_add_nc_u64_e32 v[30:31], s[36:37], v[30:31]
	s_delay_alu instid0(VALU_DEP_1) | instskip(SKIP_2) | instid1(VALU_DEP_1)
	v_lshl_add_u64 v[30:31], v[14:15], 2, v[30:31]
	s_wait_dscnt 0x2
	v_add_f32_e32 v29, 0, v32
	v_add_f32_e32 v29, v29, v33
	ds_load_2addr_b32 v[32:33], v49 offset0:192 offset1:224
	s_wait_dscnt 0x2
	v_add_f32_e32 v29, v29, v42
	s_delay_alu instid0(VALU_DEP_1) | instskip(SKIP_1) | instid1(VALU_DEP_1)
	v_add_f32_e32 v29, v29, v43
	s_wait_dscnt 0x1
	v_add_f32_e32 v29, v29, v44
	s_delay_alu instid0(VALU_DEP_1) | instskip(SKIP_1) | instid1(VALU_DEP_1)
	v_add_f32_e32 v29, v29, v45
	s_wait_dscnt 0x0
	v_add_f32_e32 v29, v29, v32
	s_delay_alu instid0(VALU_DEP_1) | instskip(NEXT) | instid1(VALU_DEP_1)
	v_add_f32_e32 v29, v29, v33
	v_mul_f32_e32 v29, v68, v29
	flat_atomic_add_f32 v[30:31], v29 scope:SCOPE_DEV
.LBB146_35:                             ;   in Loop: Header=BB146_3 Depth=1
	s_wait_xcnt 0x0
	s_or_b32 exec_lo, exec_lo, s56
	v_pk_fma_f32 v[0:1], v[28:29], v[38:39], v[0:1] op_sel_hi:[0,1,1]
	v_mov_b32_e32 v29, v4
	s_delay_alu instid0(VALU_DEP_2) | instskip(NEXT) | instid1(VALU_DEP_2)
	v_pk_fma_f32 v[0:1], v[4:5], v[34:35], v[0:1] op_sel_hi:[0,1,1]
	v_pk_mul_f32 v[30:31], v[28:29], v[36:37]
	s_delay_alu instid0(VALU_DEP_1) | instskip(SKIP_1) | instid1(VALU_DEP_2)
	v_dual_mul_f32 v28, v28, v5 :: v_dual_mov_b32 v29, v30
	v_mul_f32_e32 v30, v4, v40
	v_pk_add_f32 v[2:3], v[2:3], v[28:29]
	s_delay_alu instid0(VALU_DEP_1)
	v_pk_add_f32 v[2:3], v[2:3], v[30:31]
.LBB146_36:                             ;   in Loop: Header=BB146_3 Depth=1
	ds_store_2addr_b32 v67, v0, v1 offset1:16
	ds_store_2addr_b32 v67, v2, v3 offset0:32 offset1:48
	s_wait_storecnt 0x0
	s_wait_loadcnt_dscnt 0x0
	s_barrier_signal -1
	s_barrier_wait -1
	s_and_b32 exec_lo, exec_lo, s0
	s_cbranch_execz .LBB146_2
; %bb.37:                               ;   in Loop: Header=BB146_3 Depth=1
	ds_load_b32 v0, v51
	ds_load_b32 v1, v52
	;; [unrolled: 1-line block ×8, first 2 shown]
	s_wait_dscnt 0x7
	v_add_f32_e32 v0, 0, v0
	s_wait_dscnt 0x6
	s_delay_alu instid0(VALU_DEP_1)
	v_add_f32_e32 v0, v0, v1
	ds_load_b32 v1, v59
	s_wait_dscnt 0x6
	v_add_f32_e32 v0, v0, v2
	ds_load_b32 v2, v60
	s_wait_dscnt 0x6
	;; [unrolled: 3-line block ×3, first 2 shown]
	v_add_f32_e32 v0, v0, v4
	s_wait_dscnt 0x5
	s_delay_alu instid0(VALU_DEP_1) | instskip(SKIP_1) | instid1(VALU_DEP_1)
	v_add_f32_e32 v0, v0, v5
	s_wait_dscnt 0x4
	v_add_f32_e32 v0, v0, v28
	s_wait_dscnt 0x3
	s_delay_alu instid0(VALU_DEP_1)
	v_add_f32_e32 v0, v0, v29
	ds_load_b32 v4, v62
	ds_load_b32 v5, v63
	;; [unrolled: 1-line block ×5, first 2 shown]
	s_wait_dscnt 0x7
	v_add_f32_e32 v0, v0, v1
	s_wait_dscnt 0x6
	s_delay_alu instid0(VALU_DEP_1) | instskip(SKIP_1) | instid1(VALU_DEP_1)
	v_add_f32_e32 v0, v0, v2
	s_wait_dscnt 0x5
	v_add_f32_e32 v0, v0, v3
	s_wait_dscnt 0x4
	s_delay_alu instid0(VALU_DEP_1) | instskip(SKIP_1) | instid1(VALU_DEP_1)
	v_add_f32_e32 v0, v0, v4
	;; [unrolled: 5-line block ×3, first 2 shown]
	s_wait_dscnt 0x1
	v_add_f32_e32 v0, v0, v29
	s_wait_dscnt 0x0
	s_delay_alu instid0(VALU_DEP_1) | instskip(SKIP_1) | instid1(VALU_DEP_2)
	v_add_f32_e32 v2, v0, v30
	v_lshl_add_u64 v[0:1], v[14:15], 2, s[54:55]
	v_mul_f32_e32 v2, v68, v2
	flat_atomic_add_f32 v[0:1], v2 scope:SCOPE_DEV
	s_branch .LBB146_2
.LBB146_38:
	s_sendmsg sendmsg(MSG_DEALLOC_VGPRS)
	s_endpgm
	.section	.rodata,"a",@progbits
	.p2align	6, 0x0
	.amdhsa_kernel _ZL62rocblas_symv_kernel_lower_double_buffered_non_diagonal_genericILi32ELi4ELi4E24rocblas_internal_val_ptrIfEPKPKfPKPfEvbiT2_lT3_lllSA_lllT4_lllii
		.amdhsa_group_segment_fixed_size 4224
		.amdhsa_private_segment_fixed_size 0
		.amdhsa_kernarg_size 384
		.amdhsa_user_sgpr_count 4
		.amdhsa_user_sgpr_dispatch_ptr 1
		.amdhsa_user_sgpr_queue_ptr 0
		.amdhsa_user_sgpr_kernarg_segment_ptr 1
		.amdhsa_user_sgpr_dispatch_id 0
		.amdhsa_user_sgpr_kernarg_preload_length 0
		.amdhsa_user_sgpr_kernarg_preload_offset 0
		.amdhsa_user_sgpr_private_segment_size 0
		.amdhsa_wavefront_size32 1
		.amdhsa_uses_dynamic_stack 0
		.amdhsa_enable_private_segment 0
		.amdhsa_system_sgpr_workgroup_id_x 1
		.amdhsa_system_sgpr_workgroup_id_y 1
		.amdhsa_system_sgpr_workgroup_id_z 1
		.amdhsa_system_sgpr_workgroup_info 0
		.amdhsa_system_vgpr_workitem_id 2
		.amdhsa_next_free_vgpr 80
		.amdhsa_next_free_sgpr 73
		.amdhsa_named_barrier_count 0
		.amdhsa_reserve_vcc 1
		.amdhsa_float_round_mode_32 0
		.amdhsa_float_round_mode_16_64 0
		.amdhsa_float_denorm_mode_32 3
		.amdhsa_float_denorm_mode_16_64 3
		.amdhsa_fp16_overflow 0
		.amdhsa_memory_ordered 1
		.amdhsa_forward_progress 1
		.amdhsa_inst_pref_size 30
		.amdhsa_round_robin_scheduling 0
		.amdhsa_exception_fp_ieee_invalid_op 0
		.amdhsa_exception_fp_denorm_src 0
		.amdhsa_exception_fp_ieee_div_zero 0
		.amdhsa_exception_fp_ieee_overflow 0
		.amdhsa_exception_fp_ieee_underflow 0
		.amdhsa_exception_fp_ieee_inexact 0
		.amdhsa_exception_int_div_zero 0
	.end_amdhsa_kernel
	.section	.text._ZL62rocblas_symv_kernel_lower_double_buffered_non_diagonal_genericILi32ELi4ELi4E24rocblas_internal_val_ptrIfEPKPKfPKPfEvbiT2_lT3_lllSA_lllT4_lllii,"axG",@progbits,_ZL62rocblas_symv_kernel_lower_double_buffered_non_diagonal_genericILi32ELi4ELi4E24rocblas_internal_val_ptrIfEPKPKfPKPfEvbiT2_lT3_lllSA_lllT4_lllii,comdat
.Lfunc_end146:
	.size	_ZL62rocblas_symv_kernel_lower_double_buffered_non_diagonal_genericILi32ELi4ELi4E24rocblas_internal_val_ptrIfEPKPKfPKPfEvbiT2_lT3_lllSA_lllT4_lllii, .Lfunc_end146-_ZL62rocblas_symv_kernel_lower_double_buffered_non_diagonal_genericILi32ELi4ELi4E24rocblas_internal_val_ptrIfEPKPKfPKPfEvbiT2_lT3_lllSA_lllT4_lllii
                                        ; -- End function
	.set _ZL62rocblas_symv_kernel_lower_double_buffered_non_diagonal_genericILi32ELi4ELi4E24rocblas_internal_val_ptrIfEPKPKfPKPfEvbiT2_lT3_lllSA_lllT4_lllii.num_vgpr, 80
	.set _ZL62rocblas_symv_kernel_lower_double_buffered_non_diagonal_genericILi32ELi4ELi4E24rocblas_internal_val_ptrIfEPKPKfPKPfEvbiT2_lT3_lllSA_lllT4_lllii.num_agpr, 0
	.set _ZL62rocblas_symv_kernel_lower_double_buffered_non_diagonal_genericILi32ELi4ELi4E24rocblas_internal_val_ptrIfEPKPKfPKPfEvbiT2_lT3_lllSA_lllT4_lllii.numbered_sgpr, 73
	.set _ZL62rocblas_symv_kernel_lower_double_buffered_non_diagonal_genericILi32ELi4ELi4E24rocblas_internal_val_ptrIfEPKPKfPKPfEvbiT2_lT3_lllSA_lllT4_lllii.num_named_barrier, 0
	.set _ZL62rocblas_symv_kernel_lower_double_buffered_non_diagonal_genericILi32ELi4ELi4E24rocblas_internal_val_ptrIfEPKPKfPKPfEvbiT2_lT3_lllSA_lllT4_lllii.private_seg_size, 0
	.set _ZL62rocblas_symv_kernel_lower_double_buffered_non_diagonal_genericILi32ELi4ELi4E24rocblas_internal_val_ptrIfEPKPKfPKPfEvbiT2_lT3_lllSA_lllT4_lllii.uses_vcc, 1
	.set _ZL62rocblas_symv_kernel_lower_double_buffered_non_diagonal_genericILi32ELi4ELi4E24rocblas_internal_val_ptrIfEPKPKfPKPfEvbiT2_lT3_lllSA_lllT4_lllii.uses_flat_scratch, 1
	.set _ZL62rocblas_symv_kernel_lower_double_buffered_non_diagonal_genericILi32ELi4ELi4E24rocblas_internal_val_ptrIfEPKPKfPKPfEvbiT2_lT3_lllSA_lllT4_lllii.has_dyn_sized_stack, 0
	.set _ZL62rocblas_symv_kernel_lower_double_buffered_non_diagonal_genericILi32ELi4ELi4E24rocblas_internal_val_ptrIfEPKPKfPKPfEvbiT2_lT3_lllSA_lllT4_lllii.has_recursion, 0
	.set _ZL62rocblas_symv_kernel_lower_double_buffered_non_diagonal_genericILi32ELi4ELi4E24rocblas_internal_val_ptrIfEPKPKfPKPfEvbiT2_lT3_lllSA_lllT4_lllii.has_indirect_call, 0
	.section	.AMDGPU.csdata,"",@progbits
; Kernel info:
; codeLenInByte = 3772
; TotalNumSgprs: 75
; NumVgprs: 80
; ScratchSize: 0
; MemoryBound: 0
; FloatMode: 240
; IeeeMode: 1
; LDSByteSize: 4224 bytes/workgroup (compile time only)
; SGPRBlocks: 0
; VGPRBlocks: 4
; NumSGPRsForWavesPerEU: 75
; NumVGPRsForWavesPerEU: 80
; NamedBarCnt: 0
; Occupancy: 12
; WaveLimiterHint : 1
; COMPUTE_PGM_RSRC2:SCRATCH_EN: 0
; COMPUTE_PGM_RSRC2:USER_SGPR: 4
; COMPUTE_PGM_RSRC2:TRAP_HANDLER: 0
; COMPUTE_PGM_RSRC2:TGID_X_EN: 1
; COMPUTE_PGM_RSRC2:TGID_Y_EN: 1
; COMPUTE_PGM_RSRC2:TGID_Z_EN: 1
; COMPUTE_PGM_RSRC2:TIDIG_COMP_CNT: 2
	.section	.text._ZL26rocblas_hemvn_kernel_lowerILb0ELi64ELi4ELi33ELi32ELi16ElPKfPKS1_PfEviT6_lT7_lT5_lS6_lS7_lS5_lT8_i,"axG",@progbits,_ZL26rocblas_hemvn_kernel_lowerILb0ELi64ELi4ELi33ELi32ELi16ElPKfPKS1_PfEviT6_lT7_lT5_lS6_lS7_lS5_lT8_i,comdat
	.globl	_ZL26rocblas_hemvn_kernel_lowerILb0ELi64ELi4ELi33ELi32ELi16ElPKfPKS1_PfEviT6_lT7_lT5_lS6_lS7_lS5_lT8_i ; -- Begin function _ZL26rocblas_hemvn_kernel_lowerILb0ELi64ELi4ELi33ELi32ELi16ElPKfPKS1_PfEviT6_lT7_lT5_lS6_lS7_lS5_lT8_i
	.p2align	8
	.type	_ZL26rocblas_hemvn_kernel_lowerILb0ELi64ELi4ELi33ELi32ELi16ElPKfPKS1_PfEviT6_lT7_lT5_lS6_lS7_lS5_lT8_i,@function
_ZL26rocblas_hemvn_kernel_lowerILb0ELi64ELi4ELi33ELi32ELi16ElPKfPKS1_PfEviT6_lT7_lT5_lS6_lS7_lS5_lT8_i: ; @_ZL26rocblas_hemvn_kernel_lowerILb0ELi64ELi4ELi33ELi32ELi16ElPKfPKS1_PfEviT6_lT7_lT5_lS6_lS7_lS5_lT8_i
; %bb.0:
	s_clause 0x1
	s_load_b64 s[4:5], s[0:1], 0x84
	s_load_b32 s21, s[0:1], 0x70
	s_bfe_u32 s2, ttmp6, 0x40014
	s_lshr_b32 s6, ttmp7, 16
	s_add_co_i32 s2, s2, 1
	s_bfe_u32 s7, ttmp6, 0x40008
	s_mul_i32 s2, s6, s2
	s_getreg_b32 s3, hwreg(HW_REG_IB_STS2, 6, 4)
	s_add_co_i32 s7, s7, s2
	s_mov_b32 s35, 0
	s_wait_kmcnt 0x0
	s_lshr_b32 s2, s4, 16
	s_and_b32 s4, s4, 0xffff
	s_and_b32 s5, s5, 0xffff
	s_mul_i32 s2, s2, s4
	s_cmp_eq_u32 s3, 0
	s_mul_i32 s2, s2, s5
	s_cselect_b32 s22, s6, s7
	s_cmp_lg_u32 s2, 0x100
	s_cselect_b32 s2, -1, 0
	s_cmp_ge_u32 s22, s21
	s_cselect_b32 s4, -1, 0
	s_delay_alu instid0(SALU_CYCLE_1) | instskip(NEXT) | instid1(SALU_CYCLE_1)
	s_or_b32 s2, s2, s4
	s_and_b32 vcc_lo, exec_lo, s2
	s_cbranch_vccnz .LBB147_81
; %bb.1:
	s_load_b32 s4, s[0:1], 0x0
	s_bfe_u32 s2, ttmp6, 0x4000c
	s_add_nc_u64 s[8:9], s[0:1], 0x78
	s_add_co_i32 s2, s2, 1
	s_clause 0x4
	s_load_b64 s[96:97], s[0:1], 0x28
	s_load_b128 s[36:39], s[0:1], 0x38
	s_load_b64 s[6:7], s[0:1], 0x68
	s_load_b64 s[44:45], s[0:1], 0x48
	s_load_b128 s[40:43], s[0:1], 0x58
	s_and_b32 s5, ttmp6, 15
	s_load_b32 s34, s[8:9], 0x0
	s_wait_xcnt 0x0
	s_mul_i32 s8, ttmp9, s2
	v_and_b32_e32 v16, 0x3ff, v0
	s_add_co_i32 s8, s5, s8
	v_bfe_u32 v1, v0, 10, 10
	v_dual_mov_b32 v19, 0 :: v_dual_bitop2_b32 v20, 31, v0 bitop3:0x40
                                        ; implicit-def: $vgpr90 : SGPR spill to VGPR lane
	s_mov_b64 s[98:99], 0xffffffffffffff7c
	v_lshlrev_b32_e32 v17, 2, v16
	s_delay_alu instid0(VALU_DEP_3) | instskip(NEXT) | instid1(VALU_DEP_3)
	v_lshl_add_u32 v2, v1, 6, v16
	v_mov_b32_e32 v21, v19
	v_mul_u32_u24_e32 v15, 33, v20
	v_cmp_eq_u32_e64 s2, 0, v1
	v_lshl_add_u32 v45, v1, 4, 0x10c0
	s_wait_kmcnt 0x0
	s_ashr_i32 s5, s4, 31
	s_cmp_eq_u32 s3, 0
	v_lshrrev_b32_e32 v3, 5, v2
	s_cselect_b32 s33, ttmp9, s8
	v_sub_nc_u64_e32 v[28:29], 0, v[20:21]
	s_lshl_b32 s100, s33, 6
	s_lshr_b32 s3, s5, 26
	v_add_nc_u32_e32 v22, s100, v16
	v_mad_nc_u64_u32 v[26:27], s96, v3, v[20:21]
	v_dual_add_nc_u32 v8, 24, v3 :: v_dual_lshlrev_b32 v9, 2, v3
	s_delay_alu instid0(VALU_DEP_3) | instskip(SKIP_2) | instid1(VALU_DEP_3)
	v_dual_lshlrev_b32 v10, 4, v3 :: v_dual_ashrrev_i32 v23, 31, v22
	v_lshlrev_b32_e32 v4, 2, v20
	s_add_co_i32 s3, s4, s3
	v_or_b32_e32 v11, 1, v9
	s_and_not1_b32 s3, s3, 63
	s_add_co_i32 s8, s34, -1
	v_lshl_or_b32 v21, v20, 7, v4
	s_sub_co_i32 s3, s4, s3
	s_cmp_eq_u32 s33, s8
	v_mul_u64_e32 v[24:25], s[44:45], v[22:23]
	s_delay_alu instid0(VALU_DEP_2) | instskip(SKIP_3) | instid1(VALU_DEP_2)
	v_dual_add_nc_u32 v40, v21, v10 :: v_dual_bitop2_b32 v13, 2, v9 bitop3:0x54
	s_cselect_b32 s46, s3, 0
	s_mul_i32 s8, s4, s33
	v_cmp_gt_i32_e32 vcc_lo, s46, v16
	v_cmp_lt_u32_e64 s10, v13, v20
	v_dual_lshlrev_b32 v18, 2, v1 :: v_dual_bitop2_b32 v13, 32, v20 bitop3:0x54
	s_cmp_eq_u32 s46, 0
	v_dual_add_nc_u32 v6, 8, v3 :: v_dual_add_nc_u32 v7, 16, v3
	s_cselect_b32 s3, -1, 0
	s_delay_alu instid0(VALU_DEP_2)
	v_mul_u64_e32 v[32:33], s[96:97], v[18:19]
	s_ashr_i32 s9, s8, 31
	s_ashr_i32 s101, s100, 31
	v_cndmask_b32_e64 v38, 0, 1, s3
	s_or_b32 s3, s3, vcc_lo
	s_lshl_b64 s[8:9], s[8:9], 2
	s_cmp_lg_u32 s46, 0
	s_mul_u64 s[24:25], s[44:45], s[100:101]
	s_cselect_b32 s14, -1, 0
	s_sub_co_i32 s15, s46, 32
	s_sub_nc_u64 s[62:63], 0, s[24:25]
	s_load_b256 s[24:31], s[0:1], 0x8
	v_writelane_b32 v90, s3, 0
	v_lshl_add_u32 v42, v15, 2, v9
	v_cmp_gt_i32_e64 s16, s15, v6
	v_mad_u32 v27, s97, v3, v27
	s_mul_u64 s[48:49], s[34:35], s[4:5]
	s_add_nc_u64 s[50:51], s[6:7], s[8:9]
	v_mul_u32_u24_e32 v5, 0x84, v3
	v_cmp_gt_i32_e64 s4, s46, v3
	v_cmp_gt_i32_e64 s5, s46, v6
	;; [unrolled: 1-line block ×3, first 2 shown]
	v_mul_u32_u24_e32 v12, 0x210, v3
	v_or_b32_e32 v14, 3, v9
	v_add_nc_u32_e32 v41, 0x11c0, v10
	v_cmp_gt_i32_e64 s102, s15, v3
	v_writelane_b32 v90, s16, 1
	v_cmp_gt_i32_e64 s16, s15, v7
	v_cmp_eq_u32_e64 s18, 1, v3
	v_mul_i32_i24_e32 v6, -12, v3
	v_mad_u32_u24 v43, v3, 12, v42
	v_dual_lshrrev_b32 v7, 2, v2 :: v_dual_bitop2_b32 v3, 15, v0 bitop3:0x40
	s_delay_alu instid0(VALU_DEP_3)
	v_dual_add_nc_u32 v52, v41, v6 :: v_dual_bitop2_b32 v0, 48, v0 bitop3:0x40
	v_cmp_le_i32_e32 vcc_lo, s46, v16
	v_cmp_gt_i32_e64 s7, s46, v8
	v_cmp_lt_u32_e64 s9, v11, v20
	v_mul_u32_u24_e32 v11, 0x84, v11
	v_cmp_gt_i32_e64 s13, s46, v13
	v_cmp_gt_i32_e64 s17, s15, v8
	v_mad_u32_u24 v46, 0x430, v1, v17
	v_and_b32_e32 v7, 0x1ffc, v7
	v_lshlrev_b32_e32 v0, 2, v0
	v_mul_u32_u24_e32 v8, 0x10c, v3
	v_dual_add_nc_u32 v55, v4, v12 :: v_dual_bitop2_b32 v10, 60, v17 bitop3:0x54
	v_and_b32_e32 v13, 0x7ff0, v2
	s_and_b32 s19, s14, vcc_lo
	v_sub_nc_u64_e32 v[30:31], 0, v[26:27]
	v_add_nc_u32_e32 v39, 0x11c0, v17
	s_lshl_b64 s[54:55], s[96:97], 5
	s_lshl_b64 s[56:57], s[96:97], 6
	v_cmp_gt_i32_e64 s3, s46, v20
	s_ashr_i32 s47, s46, 31
	v_cmp_lt_u32_e64 s8, v9, v20
	v_cmp_lt_u32_e64 s11, v14, v20
	v_cmp_gt_u32_e64 s12, 32, v2
	s_xor_b32 s14, s19, -1
	v_add_nc_u32_e32 v44, 0x10c0, v17
	v_mad_u32_u24 v47, 0x10c, v3, v7
	v_cmp_gt_u32_e64 s20, 64, v2
	v_mad_u32_u24 v48, 0x10c, v3, v0
	v_mad_u32_u24 v49, 0x10c, v3, v10
	v_mad_i32_i24 v50, 0xfffffcdc, v1, v46
	v_add_nc_u32_e32 v51, 0x11c0, v9
	v_add_nc_u32_e32 v53, v8, v13
	v_dual_add_nc_u32 v54, v4, v5 :: v_dual_add_nc_u32 v56, v4, v11
	s_mul_u64 s[52:53], s[96:97], s[100:101]
	s_cmp_gt_i32 s33, 0
	s_mul_u64 s[58:59], s[96:97], 0x60
	s_sub_nc_u64 s[60:61], 0, s[54:55]
	s_cselect_b32 s103, -1, 0
	s_sub_nc_u64 s[64:65], 0, s[52:53]
	s_and_b32 s104, s2, s14
	s_sub_nc_u64 s[66:67], 0, s[46:47]
	s_lshl_b64 s[68:69], s[96:97], 2
	s_lshl_b64 s[70:71], s[96:97], 3
	;; [unrolled: 1-line block ×3, first 2 shown]
	s_mul_u64 s[74:75], s[96:97], 12
	s_mul_u64 s[76:77], s[96:97], 0x48
	;; [unrolled: 1-line block ×3, first 2 shown]
	s_lshl_b64 s[80:81], s[96:97], 7
	s_mul_u64 s[82:83], s[96:97], 0x88
	s_mul_u64 s[84:85], s[96:97], 0x8c
	;; [unrolled: 1-line block ×8, first 2 shown]
	s_lshl_b64 s[100:101], s[100:101], 2
	s_lshl_b64 s[38:39], s[38:39], 2
	s_wait_kmcnt 0x0
	s_lshl_b64 s[30:31], s[30:31], 2
	s_branch .LBB147_4
.LBB147_2:                              ;   in Loop: Header=BB147_4 Depth=1
	s_wait_xcnt 0x0
	s_or_b32 exec_lo, exec_lo, s23
.LBB147_3:                              ;   in Loop: Header=BB147_4 Depth=1
	s_add_co_i32 s22, s22, 0x10000
	s_delay_alu instid0(SALU_CYCLE_1)
	s_cmp_lt_u32 s22, s21
	s_cbranch_scc0 .LBB147_81
.LBB147_4:                              ; =>This Loop Header: Depth=1
                                        ;     Child Loop BB147_69 Depth 2
	s_mov_b32 s23, s35
	s_delay_alu instid0(SALU_CYCLE_1)
	s_mul_u64 s[0:1], s[26:27], s[22:23]
	s_mul_u64 vcc, s[42:43], s[22:23]
	s_lshl_b64 s[0:1], s[0:1], 2
	s_lshl_b64 vcc, vcc, 2
	s_add_nc_u64 s[0:1], s[24:25], s[0:1]
	s_add_nc_u64 vcc, s[40:41], vcc
	s_clause 0x1
	global_load_b32 v0, v19, s[0:1]
	global_load_b32 v1, v19, vcc
	s_wait_loadcnt 0x1
	s_wait_xcnt 0x1
	v_cmp_eq_f32_e64 s0, 0, v0
	s_wait_loadcnt 0x0
	s_wait_xcnt 0x0
	v_cmp_eq_f32_e32 vcc_lo, 1.0, v1
	s_and_b32 s1, s0, vcc_lo
	s_delay_alu instid0(SALU_CYCLE_1)
	s_and_b32 vcc_lo, exec_lo, s1
	s_cbranch_vccnz .LBB147_3
; %bb.5:                                ;   in Loop: Header=BB147_4 Depth=1
	s_and_b32 vcc_lo, exec_lo, s0
	s_cbranch_vccz .LBB147_7
; %bb.6:                                ;   in Loop: Header=BB147_4 Depth=1
	s_cbranch_execnz .LBB147_3
	s_branch .LBB147_8
.LBB147_7:                              ;   in Loop: Header=BB147_4 Depth=1
.LBB147_8:                              ;   in Loop: Header=BB147_4 Depth=1
	s_lshl_b64 s[0:1], s[22:23], 3
	s_delay_alu instid0(SALU_CYCLE_1)
	s_add_nc_u64 vcc, s[36:37], s[0:1]
	s_add_nc_u64 s[0:1], s[28:29], s[0:1]
	s_clause 0x1
	global_load_b64 v[2:3], v19, vcc
	global_load_b64 v[0:1], v19, s[0:1]
	s_wait_loadcnt 0x1
	v_add_nc_u64_e32 v[2:3], s[38:39], v[2:3]
	s_delay_alu instid0(VALU_DEP_1)
	v_lshl_add_u64 v[4:5], v[24:25], 2, v[2:3]
	s_wait_xcnt 0x0
	s_and_saveexec_b32 s0, s2
	s_cbranch_execz .LBB147_12
; %bb.9:                                ;   in Loop: Header=BB147_4 Depth=1
	v_mov_b32_e32 v2, 0
	s_mov_b32 s1, exec_lo
	v_readlane_b32 s14, v90, 0
	s_and_b32 s14, s1, s14
	s_delay_alu instid0(SALU_CYCLE_1)
	s_mov_b32 exec_lo, s14
	s_cbranch_execz .LBB147_11
; %bb.10:                               ;   in Loop: Header=BB147_4 Depth=1
	flat_load_b32 v2, v[4:5]
.LBB147_11:                             ;   in Loop: Header=BB147_4 Depth=1
	s_wait_xcnt 0x0
	s_or_b32 exec_lo, exec_lo, s1
	s_wait_loadcnt_dscnt 0x0
	ds_store_b32 v39, v2
.LBB147_12:                             ;   in Loop: Header=BB147_4 Depth=1
	s_or_b32 exec_lo, exec_lo, s0
	s_wait_loadcnt 0x0
	v_add_nc_u64_e32 v[0:1], s[30:31], v[0:1]
	v_cmp_ne_u32_e32 vcc_lo, 1, v38
	s_mov_b32 s0, -1
	s_delay_alu instid0(VALU_DEP_2) | instskip(NEXT) | instid1(VALU_DEP_1)
	v_add_nc_u64_e32 v[0:1], s[100:101], v[0:1]
	v_lshl_add_u64 v[0:1], v[26:27], 2, v[0:1]
	s_delay_alu instid0(VALU_DEP_1)
	v_lshl_add_u64 v[0:1], s[52:53], 2, v[0:1]
	s_cbranch_vccnz .LBB147_14
; %bb.13:                               ;   in Loop: Header=BB147_4 Depth=1
	s_delay_alu instid0(VALU_DEP_1) | instskip(SKIP_1) | instid1(VALU_DEP_1)
	v_add_nc_u64_e32 v[2:3], s[54:55], v[0:1]
	s_mov_b32 s0, 0
	v_add_nc_u64_e32 v[6:7], s[54:55], v[2:3]
	s_delay_alu instid0(VALU_DEP_1)
	v_add_nc_u64_e32 v[8:9], s[54:55], v[6:7]
	s_clause 0x3
	flat_load_b32 v10, v[0:1]
	flat_load_b32 v2, v[2:3]
	;; [unrolled: 1-line block ×4, first 2 shown]
	s_wait_loadcnt_dscnt 0x303
	ds_store_b32 v54, v10
	s_wait_loadcnt_dscnt 0x203
	ds_store_b32 v54, v2 offset:1056
	s_wait_loadcnt_dscnt 0x103
	ds_store_b32 v54, v3 offset:2112
	;; [unrolled: 2-line block ×3, first 2 shown]
.LBB147_14:                             ;   in Loop: Header=BB147_4 Depth=1
	s_and_not1_b32 vcc_lo, exec_lo, s0
	s_cbranch_vccnz .LBB147_24
; %bb.15:                               ;   in Loop: Header=BB147_4 Depth=1
	s_delay_alu instid0(VALU_DEP_1) | instskip(SKIP_1) | instid1(VALU_DEP_2)
	v_lshl_add_u64 v[2:3], v[28:29], 2, v[0:1]
	v_mov_b32_e32 v6, 0
	v_lshl_add_u64 v[2:3], s[46:47], 2, v[2:3]
	s_delay_alu instid0(VALU_DEP_1) | instskip(NEXT) | instid1(VALU_DEP_1)
	v_add_nc_u64_e32 v[2:3], -4, v[2:3]
	v_dual_mov_b32 v7, 0 :: v_dual_cndmask_b32 v3, v3, v1, s3
	s_delay_alu instid0(VALU_DEP_2)
	v_cndmask_b32_e64 v2, v2, v0, s3
	s_wait_xcnt 0x0
	s_and_saveexec_b32 s0, s4
	s_cbranch_execz .LBB147_17
; %bb.16:                               ;   in Loop: Header=BB147_4 Depth=1
	flat_load_b32 v6, v[2:3]
.LBB147_17:                             ;   in Loop: Header=BB147_4 Depth=1
	s_wait_xcnt 0x0
	s_or_b32 exec_lo, exec_lo, s0
	s_wait_loadcnt_dscnt 0x0
	ds_store_b32 v54, v6
	s_and_saveexec_b32 s0, s5
	s_cbranch_execz .LBB147_19
; %bb.18:                               ;   in Loop: Header=BB147_4 Depth=1
	v_add_nc_u64_e32 v[6:7], s[54:55], v[2:3]
	flat_load_b32 v7, v[6:7]
.LBB147_19:                             ;   in Loop: Header=BB147_4 Depth=1
	s_wait_xcnt 0x0
	s_or_b32 exec_lo, exec_lo, s0
	v_dual_mov_b32 v6, 0 :: v_dual_mov_b32 v8, 0
	s_wait_loadcnt_dscnt 0x0
	ds_store_b32 v54, v7 offset:1056
	s_and_saveexec_b32 s0, s6
	s_cbranch_execz .LBB147_21
; %bb.20:                               ;   in Loop: Header=BB147_4 Depth=1
	v_add_nc_u64_e32 v[8:9], s[56:57], v[2:3]
	flat_load_b32 v8, v[8:9]
.LBB147_21:                             ;   in Loop: Header=BB147_4 Depth=1
	s_wait_xcnt 0x0
	s_or_b32 exec_lo, exec_lo, s0
	s_wait_loadcnt_dscnt 0x0
	ds_store_b32 v54, v8 offset:2112
	s_and_saveexec_b32 s0, s7
	s_cbranch_execz .LBB147_23
; %bb.22:                               ;   in Loop: Header=BB147_4 Depth=1
	v_add_nc_u64_e32 v[6:7], s[58:59], v[2:3]
	flat_load_b32 v6, v[6:7]
.LBB147_23:                             ;   in Loop: Header=BB147_4 Depth=1
	s_wait_xcnt 0x0
	s_or_b32 exec_lo, exec_lo, s0
	v_lshlrev_b32_e32 v18, 2, v20
	s_wait_loadcnt_dscnt 0x0
	ds_store_b32 v54, v6 offset:3168
	v_add_nc_u64_e32 v[2:3], v[2:3], v[18:19]
	s_delay_alu instid0(VALU_DEP_1) | instskip(NEXT) | instid1(VALU_DEP_1)
	v_lshl_add_u64 v[2:3], s[66:67], 2, v[2:3]
	v_add_nc_u64_e32 v[2:3], 4, v[2:3]
	s_delay_alu instid0(VALU_DEP_1)
	v_dual_cndmask_b32 v1, v3, v1, s3 :: v_dual_cndmask_b32 v0, v2, v0, s3
.LBB147_24:                             ;   in Loop: Header=BB147_4 Depth=1
	s_wait_dscnt 0x0
	s_barrier_signal -1
	s_barrier_wait -1
	s_wait_xcnt 0x0
	s_and_saveexec_b32 s0, s8
	s_cbranch_execnz .LBB147_75
; %bb.25:                               ;   in Loop: Header=BB147_4 Depth=1
	s_or_b32 exec_lo, exec_lo, s0
	s_and_saveexec_b32 s0, s9
	s_cbranch_execnz .LBB147_76
.LBB147_26:                             ;   in Loop: Header=BB147_4 Depth=1
	s_or_b32 exec_lo, exec_lo, s0
	s_and_saveexec_b32 s0, s10
	s_cbranch_execnz .LBB147_77
.LBB147_27:                             ;   in Loop: Header=BB147_4 Depth=1
	s_or_b32 exec_lo, exec_lo, s0
	s_and_saveexec_b32 s0, s11
	s_cbranch_execz .LBB147_29
.LBB147_28:                             ;   in Loop: Header=BB147_4 Depth=1
	ds_load_b32 v2, v56 offset:264
	s_wait_dscnt 0x0
	ds_store_b32 v40, v2 offset:12
.LBB147_29:                             ;   in Loop: Header=BB147_4 Depth=1
	s_or_b32 exec_lo, exec_lo, s0
	s_wait_dscnt 0x0
	s_barrier_signal -1
	s_barrier_wait -1
	ds_load_2addr_b32 v[2:3], v56 offset1:33
	ds_load_b32 v10, v55
	ds_load_b128 v[6:9], v41
	ds_load_b32 v13, v56 offset:264
	s_wait_dscnt 0x0
	s_barrier_signal -1
	s_barrier_wait -1
	v_dual_mov_b32 v57, 0 :: v_dual_mov_b32 v11, v2
	v_mov_b32_e32 v12, v3
	s_delay_alu instid0(VALU_DEP_2) | instskip(NEXT) | instid1(VALU_DEP_2)
	v_pk_mul_f32 v[6:7], v[10:11], v[6:7]
	v_pk_mul_f32 v[2:3], v[12:13], v[8:9]
	s_delay_alu instid0(VALU_DEP_2) | instskip(NEXT) | instid1(VALU_DEP_1)
	v_add_f32_e32 v6, 0, v6
	v_add_f32_e32 v6, v6, v7
	s_delay_alu instid0(VALU_DEP_1) | instskip(NEXT) | instid1(VALU_DEP_1)
	v_add_f32_e32 v2, v6, v2
	v_add_f32_e32 v2, v2, v3
	ds_store_b32 v42, v2
	s_wait_dscnt 0x0
	s_barrier_signal -1
	s_barrier_wait -1
	s_and_saveexec_b32 s0, s12
	s_cbranch_execz .LBB147_31
; %bb.30:                               ;   in Loop: Header=BB147_4 Depth=1
	ds_load_2addr_b32 v[2:3], v21 offset1:1
	ds_load_2addr_b32 v[6:7], v21 offset0:2 offset1:3
	ds_load_2addr_b32 v[8:9], v21 offset0:4 offset1:5
	;; [unrolled: 1-line block ×3, first 2 shown]
	s_wait_dscnt 0x3
	v_add_f32_e32 v2, v2, v3
	s_wait_dscnt 0x2
	s_delay_alu instid0(VALU_DEP_1) | instskip(NEXT) | instid1(VALU_DEP_1)
	v_add_f32_e32 v2, v2, v6
	v_add_f32_e32 v2, v2, v7
	s_wait_dscnt 0x1
	s_delay_alu instid0(VALU_DEP_1) | instskip(NEXT) | instid1(VALU_DEP_1)
	v_add_f32_e32 v2, v2, v8
	;; [unrolled: 4-line block ×3, first 2 shown]
	v_add_f32_e32 v57, v2, v11
.LBB147_31:                             ;   in Loop: Header=BB147_4 Depth=1
	s_or_b32 exec_lo, exec_lo, s0
	v_cmp_ne_u32_e32 vcc_lo, 1, v38
	v_lshl_add_u64 v[2:3], s[54:55], 2, v[0:1]
	s_mov_b32 s0, -1
	s_barrier_signal -1
	s_barrier_wait -1
	s_cbranch_vccnz .LBB147_33
; %bb.32:                               ;   in Loop: Header=BB147_4 Depth=1
	v_add_nc_u64_e32 v[0:1], s[54:55], v[2:3]
	s_mov_b32 s0, 0
	s_delay_alu instid0(VALU_DEP_1) | instskip(NEXT) | instid1(VALU_DEP_1)
	v_add_nc_u64_e32 v[6:7], s[54:55], v[0:1]
	v_add_nc_u64_e32 v[8:9], s[54:55], v[6:7]
	s_clause 0x3
	flat_load_b32 v10, v[2:3] offset:128
	flat_load_b32 v0, v[0:1] offset:128
	;; [unrolled: 1-line block ×4, first 2 shown]
	s_wait_loadcnt_dscnt 0x303
	ds_store_b32 v54, v10
	s_wait_loadcnt_dscnt 0x203
	ds_store_b32 v54, v0 offset:1056
	s_wait_loadcnt_dscnt 0x103
	ds_store_b32 v54, v1 offset:2112
	;; [unrolled: 2-line block ×3, first 2 shown]
.LBB147_33:                             ;   in Loop: Header=BB147_4 Depth=1
	v_add_nc_u64_e32 v[0:1], 0x80, v[2:3]
	s_and_not1_b32 vcc_lo, exec_lo, s0
	s_cbranch_vccnz .LBB147_43
; %bb.34:                               ;   in Loop: Header=BB147_4 Depth=1
	v_lshl_add_u64 v[2:3], v[28:29], 2, v[2:3]
	v_mov_b32_e32 v6, 0
	s_delay_alu instid0(VALU_DEP_2) | instskip(NEXT) | instid1(VALU_DEP_1)
	v_lshl_add_u64 v[2:3], s[46:47], 2, v[2:3]
	v_add_nc_u64_e32 v[2:3], -4, v[2:3]
	s_delay_alu instid0(VALU_DEP_1) | instskip(NEXT) | instid1(VALU_DEP_2)
	v_dual_mov_b32 v7, 0 :: v_dual_cndmask_b32 v3, v3, v1, s13
	v_cndmask_b32_e64 v2, v2, v0, s13
	s_wait_xcnt 0x0
	s_and_saveexec_b32 s0, s102
	s_cbranch_execz .LBB147_36
; %bb.35:                               ;   in Loop: Header=BB147_4 Depth=1
	flat_load_b32 v6, v[2:3]
.LBB147_36:                             ;   in Loop: Header=BB147_4 Depth=1
	s_wait_xcnt 0x0
	s_or_b32 exec_lo, exec_lo, s0
	s_wait_loadcnt_dscnt 0x0
	ds_store_b32 v54, v6
	s_mov_b32 s0, exec_lo
	v_readlane_b32 s1, v90, 1
	s_and_b32 s1, s0, s1
	s_delay_alu instid0(SALU_CYCLE_1)
	s_mov_b32 exec_lo, s1
	s_cbranch_execz .LBB147_38
; %bb.37:                               ;   in Loop: Header=BB147_4 Depth=1
	v_add_nc_u64_e32 v[6:7], s[54:55], v[2:3]
	flat_load_b32 v7, v[6:7]
.LBB147_38:                             ;   in Loop: Header=BB147_4 Depth=1
	s_wait_xcnt 0x0
	s_or_b32 exec_lo, exec_lo, s0
	v_dual_mov_b32 v6, 0 :: v_dual_mov_b32 v8, 0
	s_wait_loadcnt_dscnt 0x0
	ds_store_b32 v54, v7 offset:1056
	s_and_saveexec_b32 s0, s16
	s_cbranch_execz .LBB147_40
; %bb.39:                               ;   in Loop: Header=BB147_4 Depth=1
	v_add_nc_u64_e32 v[8:9], s[56:57], v[2:3]
	flat_load_b32 v8, v[8:9]
.LBB147_40:                             ;   in Loop: Header=BB147_4 Depth=1
	s_wait_xcnt 0x0
	s_or_b32 exec_lo, exec_lo, s0
	s_wait_loadcnt_dscnt 0x0
	ds_store_b32 v54, v8 offset:2112
	s_and_saveexec_b32 s0, s17
	s_cbranch_execz .LBB147_42
; %bb.41:                               ;   in Loop: Header=BB147_4 Depth=1
	v_add_nc_u64_e32 v[6:7], s[58:59], v[2:3]
	flat_load_b32 v6, v[6:7]
.LBB147_42:                             ;   in Loop: Header=BB147_4 Depth=1
	s_wait_xcnt 0x0
	s_or_b32 exec_lo, exec_lo, s0
	v_lshlrev_b32_e32 v18, 2, v20
	s_wait_loadcnt_dscnt 0x0
	ds_store_b32 v54, v6 offset:3168
	v_add_nc_u64_e32 v[2:3], v[2:3], v[18:19]
	s_delay_alu instid0(VALU_DEP_1) | instskip(NEXT) | instid1(VALU_DEP_1)
	v_lshl_add_u64 v[2:3], s[66:67], 2, v[2:3]
	v_add_nc_u64_e32 v[2:3], 0x84, v[2:3]
	s_delay_alu instid0(VALU_DEP_1)
	v_dual_cndmask_b32 v1, v3, v1, s13 :: v_dual_cndmask_b32 v0, v2, v0, s13
.LBB147_43:                             ;   in Loop: Header=BB147_4 Depth=1
	s_wait_dscnt 0x0
	s_barrier_signal -1
	s_barrier_wait -1
	s_wait_xcnt 0x0
	s_and_saveexec_b32 s0, s8
	s_cbranch_execnz .LBB147_78
; %bb.44:                               ;   in Loop: Header=BB147_4 Depth=1
	s_or_b32 exec_lo, exec_lo, s0
	s_and_saveexec_b32 s0, s9
	s_cbranch_execnz .LBB147_79
.LBB147_45:                             ;   in Loop: Header=BB147_4 Depth=1
	s_or_b32 exec_lo, exec_lo, s0
	s_and_saveexec_b32 s0, s10
	s_cbranch_execnz .LBB147_80
.LBB147_46:                             ;   in Loop: Header=BB147_4 Depth=1
	s_or_b32 exec_lo, exec_lo, s0
	s_and_saveexec_b32 s0, s11
	s_cbranch_execz .LBB147_48
.LBB147_47:                             ;   in Loop: Header=BB147_4 Depth=1
	ds_load_b32 v2, v56 offset:264
	s_wait_dscnt 0x0
	ds_store_b32 v40, v2 offset:12
.LBB147_48:                             ;   in Loop: Header=BB147_4 Depth=1
	s_or_b32 exec_lo, exec_lo, s0
	s_wait_dscnt 0x0
	s_barrier_signal -1
	s_barrier_wait -1
	ds_load_2addr_b32 v[2:3], v56 offset1:33
	ds_load_b32 v10, v55
	ds_load_b128 v[6:9], v41 offset:128
	ds_load_b32 v13, v56 offset:264
	s_wait_dscnt 0x0
	s_barrier_signal -1
	s_barrier_wait -1
	v_dual_mov_b32 v11, v2 :: v_dual_mov_b32 v12, v3
	s_delay_alu instid0(VALU_DEP_1) | instskip(NEXT) | instid1(VALU_DEP_2)
	v_pk_mul_f32 v[6:7], v[10:11], v[6:7]
	v_pk_mul_f32 v[2:3], v[12:13], v[8:9]
	s_delay_alu instid0(VALU_DEP_2) | instskip(NEXT) | instid1(VALU_DEP_1)
	v_add_f32_e32 v6, 0, v6
	v_add_f32_e32 v6, v6, v7
	s_delay_alu instid0(VALU_DEP_1) | instskip(NEXT) | instid1(VALU_DEP_1)
	v_add_f32_e32 v2, v6, v2
	v_add_f32_e32 v2, v2, v3
	ds_store_b32 v42, v2
	s_wait_dscnt 0x0
	s_barrier_signal -1
	s_barrier_wait -1
	s_and_saveexec_b32 s0, s18
	s_cbranch_execz .LBB147_50
; %bb.49:                               ;   in Loop: Header=BB147_4 Depth=1
	ds_load_2addr_b32 v[2:3], v21 offset1:1
	ds_load_2addr_b32 v[6:7], v21 offset0:2 offset1:3
	ds_load_2addr_b32 v[8:9], v21 offset0:4 offset1:5
	;; [unrolled: 1-line block ×3, first 2 shown]
	s_wait_dscnt 0x3
	v_add_f32_e32 v2, v2, v3
	s_wait_dscnt 0x2
	s_delay_alu instid0(VALU_DEP_1) | instskip(NEXT) | instid1(VALU_DEP_1)
	v_add_f32_e32 v2, v2, v6
	v_add_f32_e32 v2, v2, v7
	s_wait_dscnt 0x1
	s_delay_alu instid0(VALU_DEP_1) | instskip(NEXT) | instid1(VALU_DEP_1)
	v_add_f32_e32 v2, v2, v8
	v_add_f32_e32 v2, v2, v9
	s_wait_dscnt 0x0
	s_delay_alu instid0(VALU_DEP_1) | instskip(NEXT) | instid1(VALU_DEP_1)
	v_add_f32_e32 v2, v2, v10
	v_add_f32_e32 v57, v2, v11
.LBB147_50:                             ;   in Loop: Header=BB147_4 Depth=1
	s_or_b32 exec_lo, exec_lo, s0
	v_cmp_ne_u32_e32 vcc_lo, 1, v38
	v_lshl_add_u64 v[6:7], s[60:61], 2, v[0:1]
	s_mov_b32 s0, -1
	s_barrier_signal -1
	s_barrier_wait -1
	s_cbranch_vccnz .LBB147_52
; %bb.51:                               ;   in Loop: Header=BB147_4 Depth=1
	v_add_nc_u64_e32 v[0:1], s[54:55], v[6:7]
	s_mov_b32 s0, 0
	s_delay_alu instid0(VALU_DEP_1) | instskip(NEXT) | instid1(VALU_DEP_1)
	v_add_nc_u64_e32 v[2:3], s[54:55], v[0:1]
	v_add_nc_u64_e32 v[8:9], s[54:55], v[2:3]
	s_clause 0x3
	flat_load_b32 v10, v[6:7]
	flat_load_b32 v0, v[0:1]
	;; [unrolled: 1-line block ×4, first 2 shown]
	s_wait_loadcnt_dscnt 0x303
	ds_store_b32 v54, v10
	s_wait_loadcnt_dscnt 0x203
	ds_store_b32 v54, v0 offset:1056
	s_wait_loadcnt_dscnt 0x103
	ds_store_b32 v54, v1 offset:2112
	;; [unrolled: 2-line block ×3, first 2 shown]
.LBB147_52:                             ;   in Loop: Header=BB147_4 Depth=1
	s_and_not1_b32 vcc_lo, exec_lo, s0
	s_cbranch_vccnz .LBB147_62
; %bb.53:                               ;   in Loop: Header=BB147_4 Depth=1
	v_lshl_add_u64 v[0:1], v[28:29], 2, v[6:7]
	v_mov_b32_e32 v2, 0
	s_delay_alu instid0(VALU_DEP_2) | instskip(NEXT) | instid1(VALU_DEP_1)
	v_lshl_add_u64 v[0:1], s[46:47], 2, v[0:1]
	v_add_nc_u64_e32 v[0:1], s[98:99], v[0:1]
	s_delay_alu instid0(VALU_DEP_1) | instskip(NEXT) | instid1(VALU_DEP_2)
	v_dual_mov_b32 v3, 0 :: v_dual_cndmask_b32 v1, v1, v7, s13
	v_cndmask_b32_e64 v0, v0, v6, s13
	s_wait_xcnt 0x0
	s_and_saveexec_b32 s0, s4
	s_cbranch_execz .LBB147_55
; %bb.54:                               ;   in Loop: Header=BB147_4 Depth=1
	flat_load_b32 v2, v[0:1]
.LBB147_55:                             ;   in Loop: Header=BB147_4 Depth=1
	s_wait_xcnt 0x0
	s_or_b32 exec_lo, exec_lo, s0
	s_wait_loadcnt_dscnt 0x0
	ds_store_b32 v54, v2
	s_and_saveexec_b32 s0, s5
	s_cbranch_execz .LBB147_57
; %bb.56:                               ;   in Loop: Header=BB147_4 Depth=1
	v_add_nc_u64_e32 v[2:3], s[54:55], v[0:1]
	flat_load_b32 v3, v[2:3]
.LBB147_57:                             ;   in Loop: Header=BB147_4 Depth=1
	s_wait_xcnt 0x0
	s_or_b32 exec_lo, exec_lo, s0
	v_dual_mov_b32 v2, 0 :: v_dual_mov_b32 v8, 0
	s_wait_loadcnt_dscnt 0x0
	ds_store_b32 v54, v3 offset:1056
	s_and_saveexec_b32 s0, s6
	s_cbranch_execz .LBB147_59
; %bb.58:                               ;   in Loop: Header=BB147_4 Depth=1
	v_add_nc_u64_e32 v[8:9], s[56:57], v[0:1]
	flat_load_b32 v8, v[8:9]
.LBB147_59:                             ;   in Loop: Header=BB147_4 Depth=1
	s_wait_xcnt 0x0
	s_or_b32 exec_lo, exec_lo, s0
	s_wait_loadcnt_dscnt 0x0
	ds_store_b32 v54, v8 offset:2112
	s_and_saveexec_b32 s0, s7
	s_cbranch_execz .LBB147_61
; %bb.60:                               ;   in Loop: Header=BB147_4 Depth=1
	v_add_nc_u64_e32 v[2:3], s[58:59], v[0:1]
	flat_load_b32 v2, v[2:3]
.LBB147_61:                             ;   in Loop: Header=BB147_4 Depth=1
	s_wait_xcnt 0x0
	s_or_b32 exec_lo, exec_lo, s0
	v_lshlrev_b32_e32 v18, 2, v20
	s_wait_loadcnt_dscnt 0x0
	ds_store_b32 v54, v2 offset:3168
	v_add_nc_u64_e32 v[0:1], v[0:1], v[18:19]
	s_delay_alu instid0(VALU_DEP_1) | instskip(NEXT) | instid1(VALU_DEP_1)
	v_lshl_add_u64 v[0:1], s[66:67], 2, v[0:1]
	v_add_nc_u64_e32 v[0:1], 0x84, v[0:1]
	s_delay_alu instid0(VALU_DEP_1)
	v_dual_cndmask_b32 v7, v1, v7, s13 :: v_dual_cndmask_b32 v6, v0, v6, s13
.LBB147_62:                             ;   in Loop: Header=BB147_4 Depth=1
	s_wait_dscnt 0x0
	s_barrier_signal -1
	s_barrier_wait -1
	ds_load_2addr_b32 v[0:1], v51 offset0:8 offset1:16
	ds_load_b32 v2, v54
	ds_load_b32 v3, v54 offset:1056
	ds_load_b32 v12, v54 offset:2112
	;; [unrolled: 1-line block ×3, first 2 shown]
	s_wait_xcnt 0x0
	ds_load_b32 v8, v52
	ds_load_b32 v15, v51 offset:96
	s_wait_dscnt 0x6
	v_dual_mov_b32 v9, v0 :: v_dual_mov_b32 v14, v1
	s_wait_dscnt 0x1
	s_delay_alu instid0(VALU_DEP_1)
	v_pk_mul_f32 v[34:35], v[2:3], v[8:9]
	ds_load_2addr_b32 v[10:11], v43 offset1:1
	ds_load_b128 v[0:3], v41 offset:128
	ds_load_2addr_b32 v[8:9], v43 offset0:2 offset1:3
	s_wait_dscnt 0x3
	v_pk_mul_f32 v[12:13], v[12:13], v[14:15]
	s_wait_dscnt 0x0
	s_barrier_signal -1
	v_add_f32_e32 v18, 0, v34
	s_barrier_wait -1
	s_delay_alu instid0(VALU_DEP_1) | instskip(NEXT) | instid1(VALU_DEP_1)
	v_add_f32_e32 v14, v18, v35
	v_add_f32_e32 v12, v14, v12
	s_delay_alu instid0(VALU_DEP_1)
	v_add_f32_e32 v12, v12, v13
	ds_store_b32 v42, v12
	s_wait_dscnt 0x0
	s_barrier_signal -1
	s_barrier_wait -1
	s_and_saveexec_b32 s0, s18
	s_cbranch_execz .LBB147_64
; %bb.63:                               ;   in Loop: Header=BB147_4 Depth=1
	ds_load_2addr_b32 v[12:13], v21 offset1:1
	ds_load_2addr_b32 v[14:15], v21 offset0:2 offset1:3
	ds_load_2addr_b32 v[34:35], v21 offset0:4 offset1:5
	;; [unrolled: 1-line block ×3, first 2 shown]
	s_wait_dscnt 0x3
	v_add_f32_e32 v12, v57, v12
	s_delay_alu instid0(VALU_DEP_1) | instskip(SKIP_1) | instid1(VALU_DEP_1)
	v_add_f32_e32 v12, v12, v13
	s_wait_dscnt 0x2
	v_add_f32_e32 v12, v12, v14
	s_delay_alu instid0(VALU_DEP_1) | instskip(SKIP_1) | instid1(VALU_DEP_1)
	v_add_f32_e32 v12, v12, v15
	;; [unrolled: 4-line block ×3, first 2 shown]
	s_wait_dscnt 0x0
	v_add_f32_e32 v12, v12, v36
	s_delay_alu instid0(VALU_DEP_1)
	v_add_f32_e32 v57, v12, v37
.LBB147_64:                             ;   in Loop: Header=BB147_4 Depth=1
	s_or_b32 exec_lo, exec_lo, s0
	v_fma_f32 v0, v10, v0, 0
	s_barrier_signal -1
	s_barrier_wait -1
	s_delay_alu instid0(VALU_DEP_1) | instskip(NEXT) | instid1(VALU_DEP_1)
	v_fmac_f32_e32 v0, v11, v1
	v_fmac_f32_e32 v0, v8, v2
	s_delay_alu instid0(VALU_DEP_1)
	v_fmac_f32_e32 v0, v9, v3
	ds_store_b32 v42, v0
	s_wait_dscnt 0x0
	s_barrier_signal -1
	s_barrier_wait -1
	s_and_saveexec_b32 s0, s12
	s_cbranch_execz .LBB147_66
; %bb.65:                               ;   in Loop: Header=BB147_4 Depth=1
	ds_load_2addr_b32 v[0:1], v21 offset1:1
	ds_load_2addr_b32 v[2:3], v21 offset0:2 offset1:3
	ds_load_2addr_b32 v[8:9], v21 offset0:4 offset1:5
	;; [unrolled: 1-line block ×3, first 2 shown]
	s_wait_dscnt 0x3
	v_add_f32_e32 v0, v57, v0
	s_delay_alu instid0(VALU_DEP_1) | instskip(SKIP_1) | instid1(VALU_DEP_1)
	v_add_f32_e32 v0, v0, v1
	s_wait_dscnt 0x2
	v_add_f32_e32 v0, v0, v2
	s_delay_alu instid0(VALU_DEP_1) | instskip(SKIP_1) | instid1(VALU_DEP_1)
	v_add_f32_e32 v0, v0, v3
	;; [unrolled: 4-line block ×3, first 2 shown]
	s_wait_dscnt 0x0
	v_add_f32_e32 v0, v0, v10
	s_delay_alu instid0(VALU_DEP_1)
	v_add_f32_e32 v57, v0, v11
.LBB147_66:                             ;   in Loop: Header=BB147_4 Depth=1
	s_or_b32 exec_lo, exec_lo, s0
	s_mul_u64 s[0:1], s[48:49], s[22:23]
	s_and_not1_b32 vcc_lo, exec_lo, s103
	s_lshl_b64 s[0:1], s[0:1], 2
	s_delay_alu instid0(SALU_CYCLE_1)
	s_add_nc_u64 s[0:1], s[50:51], s[0:1]
	s_barrier_signal -1
	s_barrier_wait -1
	s_cbranch_vccnz .LBB147_73
; %bb.67:                               ;   in Loop: Header=BB147_4 Depth=1
	v_lshl_add_u64 v[0:1], s[64:65], 2, v[6:7]
	v_lshlrev_b32_e32 v18, 2, v16
	s_mov_b64 vcc, 0xffffffffffffff80
	v_lshl_add_u64 v[34:35], s[62:63], 2, v[4:5]
	s_mov_b32 s34, 0
	v_lshl_add_u64 v[0:1], v[30:31], 2, v[0:1]
	s_mov_b32 s23, s33
	s_delay_alu instid0(VALU_DEP_1) | instskip(NEXT) | instid1(VALU_DEP_1)
	v_lshl_add_u64 v[0:1], v[32:33], 2, v[0:1]
	v_add_nc_u64_e32 v[2:3], v[0:1], v[18:19]
	v_lshl_add_u64 v[0:1], s[46:47], 2, v[0:1]
	s_delay_alu instid0(VALU_DEP_1) | instskip(NEXT) | instid1(VALU_DEP_3)
	v_add_nc_u64_e32 v[0:1], s[98:99], v[0:1]
	v_add_nc_u64_e32 v[2:3], vcc, v[2:3]
	s_delay_alu instid0(VALU_DEP_1)
	v_dual_cndmask_b32 v37, v3, v1, s19 :: v_dual_cndmask_b32 v36, v2, v0, s19
	s_branch .LBB147_69
.LBB147_68:                             ;   in Loop: Header=BB147_69 Depth=2
	s_wait_xcnt 0x0
	s_or_b32 exec_lo, exec_lo, vcc_lo
	v_fmac_f32_e32 v57, v60, v0
	v_add_nc_u64_e32 v[36:37], s[72:73], v[36:37]
	s_add_co_i32 s23, s23, -1
	s_add_co_i32 s34, s34, 64
	s_cmp_eq_u32 s23, 0
	v_fmac_f32_e32 v57, v59, v1
	s_wait_storecnt 0x0
	s_barrier_signal -1
	s_barrier_wait -1
	s_delay_alu instid0(VALU_DEP_1) | instskip(NEXT) | instid1(VALU_DEP_1)
	v_fmac_f32_e32 v57, v58, v2
	v_fmac_f32_e32 v57, v18, v3
	s_delay_alu instid0(VALU_DEP_1) | instskip(NEXT) | instid1(VALU_DEP_1)
	v_fmac_f32_e32 v57, v64, v4
	v_fmac_f32_e32 v57, v63, v5
	;; [unrolled: 3-line block ×7, first 2 shown]
	s_cbranch_scc1 .LBB147_73
.LBB147_69:                             ;   Parent Loop BB147_4 Depth=1
                                        ; =>  This Inner Loop Header: Depth=2
	s_and_saveexec_b32 vcc_lo, s2
	s_cbranch_execz .LBB147_71
; %bb.70:                               ;   in Loop: Header=BB147_69 Depth=2
	s_mul_u64 s[14:15], s[44:45], s[34:35]
	s_delay_alu instid0(SALU_CYCLE_1)
	v_lshl_add_u64 v[0:1], s[14:15], 2, v[34:35]
	flat_load_b32 v0, v[0:1]
	s_wait_loadcnt_dscnt 0x0
	ds_store_b32 v44, v0
.LBB147_71:                             ;   in Loop: Header=BB147_69 Depth=2
	s_wait_xcnt 0x0
	s_or_b32 exec_lo, exec_lo, vcc_lo
	v_add_nc_u64_e32 v[0:1], s[68:69], v[36:37]
	v_add_nc_u64_e32 v[2:3], s[70:71], v[36:37]
	;; [unrolled: 1-line block ×3, first 2 shown]
	s_wait_dscnt 0x0
	s_barrier_signal -1
	s_barrier_wait -1
	s_clause 0x3
	flat_load_b32 v60, v[36:37]
	flat_load_b32 v59, v[0:1]
	;; [unrolled: 1-line block ×4, first 2 shown]
	ds_load_b32 v6, v39
	s_wait_xcnt 0x1
	ds_load_b128 v[0:3], v45
	s_wait_xcnt 0x0
	v_add_nc_u64_e32 v[4:5], s[56:57], v[36:37]
	v_add_nc_u64_e32 v[8:9], s[76:77], v[36:37]
	;; [unrolled: 1-line block ×5, first 2 shown]
	s_wait_loadcnt_dscnt 0x201
	v_dual_mul_f32 v12, v60, v6 :: v_dual_mul_f32 v13, v59, v6
	s_wait_loadcnt 0x1
	v_mul_f32_e32 v14, v58, v6
	s_wait_loadcnt 0x0
	v_mul_f32_e32 v15, v18, v6
	v_add_nc_u64_e32 v[6:7], s[96:97], v[36:37]
	ds_store_2addr_b32 v46, v12, v13 offset1:67
	ds_store_2addr_b32 v46, v14, v15 offset0:134 offset1:201
	s_wait_dscnt 0x0
	s_barrier_signal -1
	s_barrier_wait -1
	ds_load_2addr_b32 v[74:75], v53 offset1:1
	ds_load_2addr_b32 v[76:77], v53 offset0:2 offset1:3
	s_wait_dscnt 0x0
	s_barrier_signal -1
	s_barrier_wait -1
	s_clause 0x3
	flat_load_b32 v64, v[4:5]
	flat_load_b32 v63, v[6:7]
	;; [unrolled: 1-line block ×4, first 2 shown]
	s_wait_xcnt 0x0
	ds_load_b32 v10, v39
	ds_load_b128 v[4:7], v45 offset:64
	v_add_nc_u64_e32 v[8:9], s[80:81], v[36:37]
	v_add_nc_u64_e32 v[12:13], s[82:83], v[36:37]
	;; [unrolled: 1-line block ×3, first 2 shown]
	s_wait_loadcnt_dscnt 0x201
	v_dual_mul_f32 v65, v64, v10 :: v_dual_mul_f32 v66, v63, v10
	s_wait_loadcnt 0x0
	v_dual_mul_f32 v67, v62, v10 :: v_dual_mul_f32 v68, v61, v10
	v_add_nc_u64_e32 v[10:11], s[94:95], v[36:37]
	ds_store_2addr_b32 v46, v65, v66 offset1:67
	ds_store_2addr_b32 v46, v67, v68 offset0:134 offset1:201
	s_wait_dscnt 0x0
	s_barrier_signal -1
	s_barrier_wait -1
	ds_load_2addr_b32 v[78:79], v53 offset1:1
	ds_load_2addr_b32 v[80:81], v53 offset0:2 offset1:3
	s_wait_dscnt 0x0
	s_barrier_signal -1
	s_barrier_wait -1
	s_clause 0x3
	flat_load_b32 v68, v[8:9]
	flat_load_b32 v67, v[10:11]
	;; [unrolled: 1-line block ×4, first 2 shown]
	s_wait_xcnt 0x0
	ds_load_b32 v14, v39
	ds_load_b128 v[8:11], v45 offset:128
	v_add_nc_u64_e32 v[12:13], s[86:87], v[36:37]
	s_wait_loadcnt_dscnt 0x201
	v_dual_mul_f32 v69, v68, v14 :: v_dual_mul_f32 v70, v67, v14
	s_wait_loadcnt 0x0
	v_dual_mul_f32 v71, v66, v14 :: v_dual_mul_f32 v72, v65, v14
	v_add_nc_u64_e32 v[14:15], s[92:93], v[36:37]
	ds_store_2addr_b32 v46, v69, v70 offset1:67
	ds_store_2addr_b32 v46, v71, v72 offset0:134 offset1:201
	s_wait_dscnt 0x0
	s_barrier_signal -1
	s_barrier_wait -1
	ds_load_2addr_b32 v[86:87], v53 offset1:1
	ds_load_2addr_b32 v[88:89], v53 offset0:2 offset1:3
	s_wait_dscnt 0x0
	s_barrier_signal -1
	s_barrier_wait -1
	s_clause 0x3
	flat_load_b32 v72, v[12:13]
	flat_load_b32 v71, v[14:15]
	;; [unrolled: 1-line block ×4, first 2 shown]
	ds_load_b32 v73, v39
	s_wait_xcnt 0x2
	ds_load_b128 v[12:15], v45 offset:192
	s_wait_loadcnt_dscnt 0x201
	s_wait_xcnt 0x1
	v_dual_mul_f32 v82, v72, v73 :: v_dual_mul_f32 v83, v71, v73
	s_wait_loadcnt 0x0
	s_wait_xcnt 0x0
	v_dual_mul_f32 v84, v70, v73 :: v_dual_mul_f32 v73, v69, v73
	ds_store_2addr_b32 v46, v82, v83 offset1:67
	ds_store_2addr_b32 v46, v84, v73 offset0:134 offset1:201
	s_wait_dscnt 0x0
	s_barrier_signal -1
	s_barrier_wait -1
	ds_load_2addr_b32 v[82:83], v53 offset1:1
	ds_load_2addr_b32 v[84:85], v53 offset0:2 offset1:3
	v_add_f32_e32 v73, 0, v74
	v_add_f32_e32 v74, 0, v78
	s_wait_dscnt 0x0
	s_barrier_signal -1
	s_barrier_wait -1
	s_delay_alu instid0(VALU_DEP_1) | instskip(SKIP_1) | instid1(VALU_DEP_1)
	v_add_f32_e32 v74, v74, v79
	v_dual_add_f32 v73, v73, v75 :: v_dual_add_f32 v78, 0, v86
	v_dual_add_f32 v73, v73, v76 :: v_dual_add_f32 v75, v78, v87
	s_delay_alu instid0(VALU_DEP_1) | instskip(NEXT) | instid1(VALU_DEP_2)
	v_dual_add_f32 v74, v74, v80 :: v_dual_add_f32 v73, v73, v77
	v_dual_add_f32 v82, 0, v82 :: v_dual_add_f32 v75, v75, v88
	s_delay_alu instid0(VALU_DEP_2) | instskip(NEXT) | instid1(VALU_DEP_2)
	v_add_f32_e32 v74, v74, v81
	v_dual_add_f32 v78, v82, v83 :: v_dual_add_f32 v75, v75, v89
	s_delay_alu instid0(VALU_DEP_1) | instskip(NEXT) | instid1(VALU_DEP_1)
	v_add_f32_e32 v76, v78, v84
	v_add_f32_e32 v76, v76, v85
	ds_store_2addr_b32 v47, v73, v74 offset1:16
	ds_store_2addr_b32 v47, v75, v76 offset0:32 offset1:48
	s_wait_dscnt 0x0
	s_barrier_signal -1
	s_barrier_wait -1
	s_and_saveexec_b32 vcc_lo, s20
	s_cbranch_execz .LBB147_68
; %bb.72:                               ;   in Loop: Header=BB147_69 Depth=2
	ds_load_2addr_b32 v[74:75], v48 offset1:1
	ds_load_2addr_b32 v[76:77], v48 offset0:2 offset1:3
	ds_load_2addr_b32 v[78:79], v48 offset0:4 offset1:5
	;; [unrolled: 1-line block ×3, first 2 shown]
	s_wait_dscnt 0x3
	v_add_f32_e32 v73, v74, v75
	ds_load_2addr_b32 v[74:75], v48 offset0:8 offset1:9
	s_wait_dscnt 0x3
	v_add_f32_e32 v73, v73, v76
	s_delay_alu instid0(VALU_DEP_1) | instskip(SKIP_3) | instid1(VALU_DEP_1)
	v_add_f32_e32 v73, v73, v77
	ds_load_2addr_b32 v[76:77], v48 offset0:10 offset1:11
	s_wait_dscnt 0x3
	v_add_f32_e32 v73, v73, v78
	v_add_f32_e32 v73, v73, v79
	s_wait_dscnt 0x2
	s_delay_alu instid0(VALU_DEP_1) | instskip(SKIP_4) | instid1(VALU_DEP_1)
	v_add_f32_e32 v73, v73, v80
	ds_load_2addr_b32 v[78:79], v48 offset0:12 offset1:13
	ds_load_b32 v80, v48 offset:56
	v_add_f32_e32 v73, v73, v81
	s_wait_dscnt 0x3
	v_add_f32_e32 v73, v73, v74
	ds_load_b32 v74, v49
	v_add_f32_e32 v73, v73, v75
	s_wait_dscnt 0x3
	s_delay_alu instid0(VALU_DEP_1) | instskip(NEXT) | instid1(VALU_DEP_1)
	v_add_f32_e32 v73, v73, v76
	v_add_f32_e32 v73, v73, v77
	s_wait_dscnt 0x2
	s_delay_alu instid0(VALU_DEP_1) | instskip(NEXT) | instid1(VALU_DEP_1)
	v_add_f32_e32 v73, v73, v78
	v_add_f32_e32 v73, v73, v79
	s_wait_dscnt 0x1
	s_delay_alu instid0(VALU_DEP_1) | instskip(SKIP_1) | instid1(VALU_DEP_1)
	v_add_f32_e32 v73, v73, v80
	s_wait_dscnt 0x0
	v_dual_add_f32 v73, v73, v74 :: v_dual_add_nc_u32 v74, s34, v16
	global_store_b32 v74, v73, s[0:1] scale_offset
	s_branch .LBB147_68
.LBB147_73:                             ;   in Loop: Header=BB147_4 Depth=1
	ds_store_b32 v50, v57
	s_wait_dscnt 0x0
	s_barrier_signal -1
	s_barrier_wait -1
	s_and_saveexec_b32 s23, s104
	s_cbranch_execz .LBB147_2
; %bb.74:                               ;   in Loop: Header=BB147_4 Depth=1
	ds_load_2addr_b32 v[0:1], v17 offset1:67
	ds_load_2addr_b32 v[2:3], v17 offset0:134 offset1:201
	s_wait_dscnt 0x1
	v_add_f32_e32 v0, v0, v1
	s_wait_dscnt 0x0
	s_delay_alu instid0(VALU_DEP_1) | instskip(NEXT) | instid1(VALU_DEP_1)
	v_add_f32_e32 v0, v0, v2
	v_add_f32_e32 v2, v0, v3
	v_lshl_add_u64 v[0:1], v[22:23], 2, s[0:1]
	global_store_b32 v[0:1], v2, off
	s_branch .LBB147_2
.LBB147_75:                             ;   in Loop: Header=BB147_4 Depth=1
	ds_load_b32 v2, v55
	s_wait_dscnt 0x0
	ds_store_b32 v40, v2
	s_or_b32 exec_lo, exec_lo, s0
	s_and_saveexec_b32 s0, s9
	s_cbranch_execz .LBB147_26
.LBB147_76:                             ;   in Loop: Header=BB147_4 Depth=1
	ds_load_b32 v2, v56
	s_wait_dscnt 0x0
	ds_store_b32 v40, v2 offset:4
	s_or_b32 exec_lo, exec_lo, s0
	s_and_saveexec_b32 s0, s10
	s_cbranch_execz .LBB147_27
.LBB147_77:                             ;   in Loop: Header=BB147_4 Depth=1
	ds_load_b32 v2, v56 offset:132
	s_wait_dscnt 0x0
	ds_store_b32 v40, v2 offset:8
	s_or_b32 exec_lo, exec_lo, s0
	s_and_saveexec_b32 s0, s11
	s_cbranch_execnz .LBB147_28
	s_branch .LBB147_29
.LBB147_78:                             ;   in Loop: Header=BB147_4 Depth=1
	ds_load_b32 v2, v55
	s_wait_dscnt 0x0
	ds_store_b32 v40, v2
	s_or_b32 exec_lo, exec_lo, s0
	s_and_saveexec_b32 s0, s9
	s_cbranch_execz .LBB147_45
.LBB147_79:                             ;   in Loop: Header=BB147_4 Depth=1
	ds_load_b32 v2, v56
	s_wait_dscnt 0x0
	ds_store_b32 v40, v2 offset:4
	s_or_b32 exec_lo, exec_lo, s0
	s_and_saveexec_b32 s0, s10
	s_cbranch_execz .LBB147_46
.LBB147_80:                             ;   in Loop: Header=BB147_4 Depth=1
	ds_load_b32 v2, v56 offset:132
	s_wait_dscnt 0x0
	ds_store_b32 v40, v2 offset:8
	s_or_b32 exec_lo, exec_lo, s0
	s_and_saveexec_b32 s0, s11
	s_cbranch_execnz .LBB147_47
	s_branch .LBB147_48
.LBB147_81:
	s_sendmsg sendmsg(MSG_DEALLOC_VGPRS)
	s_endpgm
	.section	.rodata,"a",@progbits
	.p2align	6, 0x0
	.amdhsa_kernel _ZL26rocblas_hemvn_kernel_lowerILb0ELi64ELi4ELi33ELi32ELi16ElPKfPKS1_PfEviT6_lT7_lT5_lS6_lS7_lS5_lT8_i
		.amdhsa_group_segment_fixed_size 4800
		.amdhsa_private_segment_fixed_size 0
		.amdhsa_kernarg_size 376
		.amdhsa_user_sgpr_count 2
		.amdhsa_user_sgpr_dispatch_ptr 0
		.amdhsa_user_sgpr_queue_ptr 0
		.amdhsa_user_sgpr_kernarg_segment_ptr 1
		.amdhsa_user_sgpr_dispatch_id 0
		.amdhsa_user_sgpr_kernarg_preload_length 0
		.amdhsa_user_sgpr_kernarg_preload_offset 0
		.amdhsa_user_sgpr_private_segment_size 0
		.amdhsa_wavefront_size32 1
		.amdhsa_uses_dynamic_stack 0
		.amdhsa_enable_private_segment 0
		.amdhsa_system_sgpr_workgroup_id_x 1
		.amdhsa_system_sgpr_workgroup_id_y 0
		.amdhsa_system_sgpr_workgroup_id_z 1
		.amdhsa_system_sgpr_workgroup_info 0
		.amdhsa_system_vgpr_workitem_id 1
		.amdhsa_next_free_vgpr 91
		.amdhsa_next_free_sgpr 105
		.amdhsa_named_barrier_count 0
		.amdhsa_reserve_vcc 1
		.amdhsa_float_round_mode_32 0
		.amdhsa_float_round_mode_16_64 0
		.amdhsa_float_denorm_mode_32 3
		.amdhsa_float_denorm_mode_16_64 3
		.amdhsa_fp16_overflow 0
		.amdhsa_memory_ordered 1
		.amdhsa_forward_progress 1
		.amdhsa_inst_pref_size 44
		.amdhsa_round_robin_scheduling 0
		.amdhsa_exception_fp_ieee_invalid_op 0
		.amdhsa_exception_fp_denorm_src 0
		.amdhsa_exception_fp_ieee_div_zero 0
		.amdhsa_exception_fp_ieee_overflow 0
		.amdhsa_exception_fp_ieee_underflow 0
		.amdhsa_exception_fp_ieee_inexact 0
		.amdhsa_exception_int_div_zero 0
	.end_amdhsa_kernel
	.section	.text._ZL26rocblas_hemvn_kernel_lowerILb0ELi64ELi4ELi33ELi32ELi16ElPKfPKS1_PfEviT6_lT7_lT5_lS6_lS7_lS5_lT8_i,"axG",@progbits,_ZL26rocblas_hemvn_kernel_lowerILb0ELi64ELi4ELi33ELi32ELi16ElPKfPKS1_PfEviT6_lT7_lT5_lS6_lS7_lS5_lT8_i,comdat
.Lfunc_end147:
	.size	_ZL26rocblas_hemvn_kernel_lowerILb0ELi64ELi4ELi33ELi32ELi16ElPKfPKS1_PfEviT6_lT7_lT5_lS6_lS7_lS5_lT8_i, .Lfunc_end147-_ZL26rocblas_hemvn_kernel_lowerILb0ELi64ELi4ELi33ELi32ELi16ElPKfPKS1_PfEviT6_lT7_lT5_lS6_lS7_lS5_lT8_i
                                        ; -- End function
	.set _ZL26rocblas_hemvn_kernel_lowerILb0ELi64ELi4ELi33ELi32ELi16ElPKfPKS1_PfEviT6_lT7_lT5_lS6_lS7_lS5_lT8_i.num_vgpr, 91
	.set _ZL26rocblas_hemvn_kernel_lowerILb0ELi64ELi4ELi33ELi32ELi16ElPKfPKS1_PfEviT6_lT7_lT5_lS6_lS7_lS5_lT8_i.num_agpr, 0
	.set _ZL26rocblas_hemvn_kernel_lowerILb0ELi64ELi4ELi33ELi32ELi16ElPKfPKS1_PfEviT6_lT7_lT5_lS6_lS7_lS5_lT8_i.numbered_sgpr, 105
	.set _ZL26rocblas_hemvn_kernel_lowerILb0ELi64ELi4ELi33ELi32ELi16ElPKfPKS1_PfEviT6_lT7_lT5_lS6_lS7_lS5_lT8_i.num_named_barrier, 0
	.set _ZL26rocblas_hemvn_kernel_lowerILb0ELi64ELi4ELi33ELi32ELi16ElPKfPKS1_PfEviT6_lT7_lT5_lS6_lS7_lS5_lT8_i.private_seg_size, 0
	.set _ZL26rocblas_hemvn_kernel_lowerILb0ELi64ELi4ELi33ELi32ELi16ElPKfPKS1_PfEviT6_lT7_lT5_lS6_lS7_lS5_lT8_i.uses_vcc, 1
	.set _ZL26rocblas_hemvn_kernel_lowerILb0ELi64ELi4ELi33ELi32ELi16ElPKfPKS1_PfEviT6_lT7_lT5_lS6_lS7_lS5_lT8_i.uses_flat_scratch, 1
	.set _ZL26rocblas_hemvn_kernel_lowerILb0ELi64ELi4ELi33ELi32ELi16ElPKfPKS1_PfEviT6_lT7_lT5_lS6_lS7_lS5_lT8_i.has_dyn_sized_stack, 0
	.set _ZL26rocblas_hemvn_kernel_lowerILb0ELi64ELi4ELi33ELi32ELi16ElPKfPKS1_PfEviT6_lT7_lT5_lS6_lS7_lS5_lT8_i.has_recursion, 0
	.set _ZL26rocblas_hemvn_kernel_lowerILb0ELi64ELi4ELi33ELi32ELi16ElPKfPKS1_PfEviT6_lT7_lT5_lS6_lS7_lS5_lT8_i.has_indirect_call, 0
	.section	.AMDGPU.csdata,"",@progbits
; Kernel info:
; codeLenInByte = 5524
; TotalNumSgprs: 107
; NumVgprs: 91
; ScratchSize: 0
; MemoryBound: 0
; FloatMode: 240
; IeeeMode: 1
; LDSByteSize: 4800 bytes/workgroup (compile time only)
; SGPRBlocks: 0
; VGPRBlocks: 5
; NumSGPRsForWavesPerEU: 107
; NumVGPRsForWavesPerEU: 91
; NamedBarCnt: 0
; Occupancy: 10
; WaveLimiterHint : 1
; COMPUTE_PGM_RSRC2:SCRATCH_EN: 0
; COMPUTE_PGM_RSRC2:USER_SGPR: 2
; COMPUTE_PGM_RSRC2:TRAP_HANDLER: 0
; COMPUTE_PGM_RSRC2:TGID_X_EN: 1
; COMPUTE_PGM_RSRC2:TGID_Y_EN: 0
; COMPUTE_PGM_RSRC2:TGID_Z_EN: 1
; COMPUTE_PGM_RSRC2:TIDIG_COMP_CNT: 1
	.section	.text._ZL36rocblas_hemvn_kernel_lower_block_sumILi64ElPKfPKPffEviT1_lS5_lT2_lT0_lPT3_i,"axG",@progbits,_ZL36rocblas_hemvn_kernel_lower_block_sumILi64ElPKfPKPffEviT1_lS5_lT2_lT0_lPT3_i,comdat
	.globl	_ZL36rocblas_hemvn_kernel_lower_block_sumILi64ElPKfPKPffEviT1_lS5_lT2_lT0_lPT3_i ; -- Begin function _ZL36rocblas_hemvn_kernel_lower_block_sumILi64ElPKfPKPffEviT1_lS5_lT2_lT0_lPT3_i
	.p2align	8
	.type	_ZL36rocblas_hemvn_kernel_lower_block_sumILi64ElPKfPKPffEviT1_lS5_lT2_lT0_lPT3_i,@function
_ZL36rocblas_hemvn_kernel_lower_block_sumILi64ElPKfPKPffEviT1_lS5_lT2_lT0_lPT3_i: ; @_ZL36rocblas_hemvn_kernel_lower_block_sumILi64ElPKfPKPffEviT1_lS5_lT2_lT0_lPT3_i
; %bb.0:
	s_load_b32 s3, s[0:1], 0x50
	s_bfe_u32 s2, ttmp6, 0x40014
	s_lshr_b32 s4, ttmp7, 16
	s_add_co_i32 s2, s2, 1
	s_bfe_u32 s6, ttmp6, 0x40008
	s_mul_i32 s5, s4, s2
	s_getreg_b32 s2, hwreg(HW_REG_IB_STS2, 6, 4)
	s_add_co_i32 s6, s6, s5
	s_cmp_eq_u32 s2, 0
	s_mov_b32 s13, 0
	s_cselect_b32 s12, s4, s6
	s_wait_kmcnt 0x0
	s_cmp_ge_u32 s12, s3
	s_cbranch_scc1 .LBB148_25
; %bb.1:
	s_clause 0x1
	s_load_b128 s[20:23], s[0:1], 0x30
	s_load_b32 s18, s[0:1], 0x0
	s_bfe_u32 s4, ttmp6, 0x4000c
	s_and_b32 s5, ttmp6, 15
	s_add_co_i32 s4, s4, 1
	s_load_b64 s[16:17], s[0:1], 0x48
	s_mul_i32 s4, ttmp9, s4
	v_mov_b32_e32 v10, 0
	s_add_co_i32 s5, s5, s4
	s_cmp_eq_u32 s2, 0
	s_cselect_b32 s24, ttmp9, s5
	s_clause 0x1
	s_load_b64 s[14:15], s[0:1], 0x28
	s_load_b256 s[4:11], s[0:1], 0x8
	v_lshl_or_b32 v2, s24, 6, v0
	s_wait_kmcnt 0x0
	s_lshl_b64 s[20:21], s[20:21], 2
	s_delay_alu instid0(VALU_DEP_1) | instskip(SKIP_3) | instid1(SALU_CYCLE_1)
	v_mad_u32 v4, s18, s24, v2
	v_ashrrev_i32_e32 v3, 31, v2
	v_cmp_gt_i32_e64 s2, s18, v2
	s_ashr_i32 s19, s18, 31
	s_lshl_b64 s[18:19], s[18:19], 2
	v_ashrrev_i32_e32 v5, 31, v4
	v_mul_u64_e32 v[0:1], s[22:23], v[2:3]
	s_delay_alu instid0(VALU_DEP_2)
	v_lshl_add_u64 v[2:3], v[4:5], 2, s[16:17]
	s_add_nc_u64 s[16:17], s[0:1], 0x58
	s_branch .LBB148_4
.LBB148_2:                              ;   in Loop: Header=BB148_4 Depth=1
	s_wait_xcnt 0x0
	s_or_b32 exec_lo, exec_lo, s22
.LBB148_3:                              ;   in Loop: Header=BB148_4 Depth=1
	s_add_co_i32 s12, s12, 0x10000
	s_delay_alu instid0(SALU_CYCLE_1)
	s_cmp_lt_u32 s12, s3
	s_cbranch_scc0 .LBB148_25
.LBB148_4:                              ; =>This Loop Header: Depth=1
                                        ;     Child Loop BB148_16 Depth 2
	s_mul_u64 s[0:1], s[6:7], s[12:13]
	s_wait_xcnt 0x0
	s_mul_u64 s[22:23], s[10:11], s[12:13]
	s_lshl_b64 s[0:1], s[0:1], 2
	s_lshl_b64 s[22:23], s[22:23], 2
	s_add_nc_u64 s[0:1], s[4:5], s[0:1]
	s_add_nc_u64 s[22:23], s[8:9], s[22:23]
	s_clause 0x1
	global_load_b32 v4, v10, s[0:1]
	global_load_b32 v5, v10, s[22:23]
	s_wait_loadcnt 0x1
	v_cmp_eq_f32_e32 vcc_lo, 0, v4
	s_wait_loadcnt 0x0
	s_wait_xcnt 0x1
	v_cmp_eq_f32_e64 s0, 1.0, v5
	s_and_b32 s0, vcc_lo, s0
	s_delay_alu instid0(SALU_CYCLE_1)
	s_and_b32 vcc_lo, exec_lo, s0
	s_cbranch_vccnz .LBB148_3
; %bb.5:                                ;   in Loop: Header=BB148_4 Depth=1
	s_lshl_b64 s[0:1], s[12:13], 3
	v_cmp_neq_f32_e32 vcc_lo, 0, v4
	s_add_nc_u64 s[0:1], s[14:15], s[0:1]
	s_load_b64 s[0:1], s[0:1], 0x0
	s_wait_kmcnt 0x0
	s_wait_xcnt 0x0
	s_add_nc_u64 s[0:1], s[0:1], s[20:21]
	s_cbranch_vccnz .LBB148_9
; %bb.6:                                ;   in Loop: Header=BB148_4 Depth=1
	s_mov_b32 s22, 0
	s_mov_b32 s25, 0
                                        ; implicit-def: $vgpr7
	s_and_saveexec_b32 s23, s2
	s_cbranch_execz .LBB148_10
; %bb.7:                                ;   in Loop: Header=BB148_4 Depth=1
	v_cmp_eq_f32_e32 vcc_lo, 0, v5
	s_cbranch_vccnz .LBB148_11
; %bb.8:                                ;   in Loop: Header=BB148_4 Depth=1
	v_lshl_add_u64 v[6:7], v[0:1], 2, s[0:1]
	flat_load_b32 v6, v[6:7]
	s_wait_loadcnt_dscnt 0x0
	s_wait_xcnt 0x0
	v_mul_f32_e32 v7, v5, v6
	s_branch .LBB148_12
.LBB148_9:                              ;   in Loop: Header=BB148_4 Depth=1
	s_mov_b32 s25, 0
                                        ; implicit-def: $vgpr7
	s_cbranch_execnz .LBB148_13
	s_branch .LBB148_22
.LBB148_10:                             ;   in Loop: Header=BB148_4 Depth=1
	s_or_b32 exec_lo, exec_lo, s23
	s_delay_alu instid0(SALU_CYCLE_1)
	s_and_b32 vcc_lo, exec_lo, s22
	s_cbranch_vccnz .LBB148_13
	s_branch .LBB148_22
.LBB148_11:                             ;   in Loop: Header=BB148_4 Depth=1
	v_mov_b32_e32 v7, 0
.LBB148_12:                             ;   in Loop: Header=BB148_4 Depth=1
	s_mov_b32 s25, exec_lo
	s_or_b32 exec_lo, exec_lo, s23
	s_delay_alu instid0(SALU_CYCLE_1)
	s_and_b32 vcc_lo, exec_lo, s22
	s_cbranch_vccz .LBB148_22
.LBB148_13:                             ;   in Loop: Header=BB148_4 Depth=1
                                        ; implicit-def: $vgpr7
	s_and_saveexec_b32 s26, s2
	s_cbranch_execz .LBB148_21
; %bb.14:                               ;   in Loop: Header=BB148_4 Depth=1
	s_load_b32 s22, s[16:17], 0x0
	v_mov_b32_e32 v6, 0
	s_wait_kmcnt 0x0
	s_cmp_ge_i32 s24, s22
	s_cbranch_scc1 .LBB148_17
; %bb.15:                               ;   in Loop: Header=BB148_4 Depth=1
	s_mov_b32 s23, s13
	v_mov_b32_e32 v6, 0
	s_mul_u64 s[28:29], s[18:19], s[22:23]
	s_mov_b32 s23, s24
	v_mad_nc_u64_u32 v[8:9], s28, s12, v[2:3]
	s_delay_alu instid0(VALU_DEP_1)
	v_mad_u32 v9, s29, s12, v9
.LBB148_16:                             ;   Parent Loop BB148_4 Depth=1
                                        ; =>  This Inner Loop Header: Depth=2
	global_load_b32 v7, v[8:9], off
	s_wait_xcnt 0x0
	v_add_nc_u64_e32 v[8:9], s[18:19], v[8:9]
	s_add_co_i32 s23, s23, 1
	s_delay_alu instid0(SALU_CYCLE_1)
	s_cmp_ge_i32 s23, s22
	s_wait_loadcnt 0x0
	v_add_f32_e32 v6, v6, v7
	s_cbranch_scc0 .LBB148_16
.LBB148_17:                             ;   in Loop: Header=BB148_4 Depth=1
	v_cmp_eq_f32_e32 vcc_lo, 0, v5
	s_cbranch_vccz .LBB148_24
; %bb.18:                               ;   in Loop: Header=BB148_4 Depth=1
	s_delay_alu instid0(VALU_DEP_2)
	v_mul_f32_e32 v7, v4, v6
	s_cbranch_execnz .LBB148_20
.LBB148_19:                             ;   in Loop: Header=BB148_4 Depth=1
	v_lshl_add_u64 v[8:9], v[0:1], 2, s[0:1]
	flat_load_b32 v7, v[8:9]
	s_wait_loadcnt_dscnt 0x0
	v_pk_mul_f32 v[4:5], v[4:5], v[6:7]
	s_delay_alu instid0(VALU_DEP_1)
	v_add_f32_e32 v7, v4, v5
.LBB148_20:                             ;   in Loop: Header=BB148_4 Depth=1
	s_or_b32 s25, s25, exec_lo
.LBB148_21:                             ;   in Loop: Header=BB148_4 Depth=1
	s_wait_xcnt 0x0
	s_or_b32 exec_lo, exec_lo, s26
.LBB148_22:                             ;   in Loop: Header=BB148_4 Depth=1
	s_and_saveexec_b32 s22, s25
	s_cbranch_execz .LBB148_2
; %bb.23:                               ;   in Loop: Header=BB148_4 Depth=1
	v_lshl_add_u64 v[4:5], v[0:1], 2, s[0:1]
	flat_store_b32 v[4:5], v7
	s_branch .LBB148_2
.LBB148_24:                             ;   in Loop: Header=BB148_4 Depth=1
                                        ; implicit-def: $vgpr7
	s_branch .LBB148_19
.LBB148_25:
	s_endpgm
	.section	.rodata,"a",@progbits
	.p2align	6, 0x0
	.amdhsa_kernel _ZL36rocblas_hemvn_kernel_lower_block_sumILi64ElPKfPKPffEviT1_lS5_lT2_lT0_lPT3_i
		.amdhsa_group_segment_fixed_size 0
		.amdhsa_private_segment_fixed_size 0
		.amdhsa_kernarg_size 344
		.amdhsa_user_sgpr_count 2
		.amdhsa_user_sgpr_dispatch_ptr 0
		.amdhsa_user_sgpr_queue_ptr 0
		.amdhsa_user_sgpr_kernarg_segment_ptr 1
		.amdhsa_user_sgpr_dispatch_id 0
		.amdhsa_user_sgpr_kernarg_preload_length 0
		.amdhsa_user_sgpr_kernarg_preload_offset 0
		.amdhsa_user_sgpr_private_segment_size 0
		.amdhsa_wavefront_size32 1
		.amdhsa_uses_dynamic_stack 0
		.amdhsa_enable_private_segment 0
		.amdhsa_system_sgpr_workgroup_id_x 1
		.amdhsa_system_sgpr_workgroup_id_y 0
		.amdhsa_system_sgpr_workgroup_id_z 1
		.amdhsa_system_sgpr_workgroup_info 0
		.amdhsa_system_vgpr_workitem_id 0
		.amdhsa_next_free_vgpr 11
		.amdhsa_next_free_sgpr 30
		.amdhsa_named_barrier_count 0
		.amdhsa_reserve_vcc 1
		.amdhsa_float_round_mode_32 0
		.amdhsa_float_round_mode_16_64 0
		.amdhsa_float_denorm_mode_32 3
		.amdhsa_float_denorm_mode_16_64 3
		.amdhsa_fp16_overflow 0
		.amdhsa_memory_ordered 1
		.amdhsa_forward_progress 1
		.amdhsa_inst_pref_size 6
		.amdhsa_round_robin_scheduling 0
		.amdhsa_exception_fp_ieee_invalid_op 0
		.amdhsa_exception_fp_denorm_src 0
		.amdhsa_exception_fp_ieee_div_zero 0
		.amdhsa_exception_fp_ieee_overflow 0
		.amdhsa_exception_fp_ieee_underflow 0
		.amdhsa_exception_fp_ieee_inexact 0
		.amdhsa_exception_int_div_zero 0
	.end_amdhsa_kernel
	.section	.text._ZL36rocblas_hemvn_kernel_lower_block_sumILi64ElPKfPKPffEviT1_lS5_lT2_lT0_lPT3_i,"axG",@progbits,_ZL36rocblas_hemvn_kernel_lower_block_sumILi64ElPKfPKPffEviT1_lS5_lT2_lT0_lPT3_i,comdat
.Lfunc_end148:
	.size	_ZL36rocblas_hemvn_kernel_lower_block_sumILi64ElPKfPKPffEviT1_lS5_lT2_lT0_lPT3_i, .Lfunc_end148-_ZL36rocblas_hemvn_kernel_lower_block_sumILi64ElPKfPKPffEviT1_lS5_lT2_lT0_lPT3_i
                                        ; -- End function
	.set _ZL36rocblas_hemvn_kernel_lower_block_sumILi64ElPKfPKPffEviT1_lS5_lT2_lT0_lPT3_i.num_vgpr, 11
	.set _ZL36rocblas_hemvn_kernel_lower_block_sumILi64ElPKfPKPffEviT1_lS5_lT2_lT0_lPT3_i.num_agpr, 0
	.set _ZL36rocblas_hemvn_kernel_lower_block_sumILi64ElPKfPKPffEviT1_lS5_lT2_lT0_lPT3_i.numbered_sgpr, 30
	.set _ZL36rocblas_hemvn_kernel_lower_block_sumILi64ElPKfPKPffEviT1_lS5_lT2_lT0_lPT3_i.num_named_barrier, 0
	.set _ZL36rocblas_hemvn_kernel_lower_block_sumILi64ElPKfPKPffEviT1_lS5_lT2_lT0_lPT3_i.private_seg_size, 0
	.set _ZL36rocblas_hemvn_kernel_lower_block_sumILi64ElPKfPKPffEviT1_lS5_lT2_lT0_lPT3_i.uses_vcc, 1
	.set _ZL36rocblas_hemvn_kernel_lower_block_sumILi64ElPKfPKPffEviT1_lS5_lT2_lT0_lPT3_i.uses_flat_scratch, 0
	.set _ZL36rocblas_hemvn_kernel_lower_block_sumILi64ElPKfPKPffEviT1_lS5_lT2_lT0_lPT3_i.has_dyn_sized_stack, 0
	.set _ZL36rocblas_hemvn_kernel_lower_block_sumILi64ElPKfPKPffEviT1_lS5_lT2_lT0_lPT3_i.has_recursion, 0
	.set _ZL36rocblas_hemvn_kernel_lower_block_sumILi64ElPKfPKPffEviT1_lS5_lT2_lT0_lPT3_i.has_indirect_call, 0
	.section	.AMDGPU.csdata,"",@progbits
; Kernel info:
; codeLenInByte = 732
; TotalNumSgprs: 32
; NumVgprs: 11
; ScratchSize: 0
; MemoryBound: 0
; FloatMode: 240
; IeeeMode: 1
; LDSByteSize: 0 bytes/workgroup (compile time only)
; SGPRBlocks: 0
; VGPRBlocks: 0
; NumSGPRsForWavesPerEU: 32
; NumVGPRsForWavesPerEU: 11
; NamedBarCnt: 0
; Occupancy: 16
; WaveLimiterHint : 1
; COMPUTE_PGM_RSRC2:SCRATCH_EN: 0
; COMPUTE_PGM_RSRC2:USER_SGPR: 2
; COMPUTE_PGM_RSRC2:TRAP_HANDLER: 0
; COMPUTE_PGM_RSRC2:TGID_X_EN: 1
; COMPUTE_PGM_RSRC2:TGID_Y_EN: 0
; COMPUTE_PGM_RSRC2:TGID_Z_EN: 1
; COMPUTE_PGM_RSRC2:TIDIG_COMP_CNT: 0
	.section	.text._ZL26rocblas_hemvn_kernel_lowerILb0ELi64ELi4ELi33ELi32ELi16EiPKfPKS1_PfEviT6_lT7_lT5_lS6_lS7_lS5_lT8_i,"axG",@progbits,_ZL26rocblas_hemvn_kernel_lowerILb0ELi64ELi4ELi33ELi32ELi16EiPKfPKS1_PfEviT6_lT7_lT5_lS6_lS7_lS5_lT8_i,comdat
	.globl	_ZL26rocblas_hemvn_kernel_lowerILb0ELi64ELi4ELi33ELi32ELi16EiPKfPKS1_PfEviT6_lT7_lT5_lS6_lS7_lS5_lT8_i ; -- Begin function _ZL26rocblas_hemvn_kernel_lowerILb0ELi64ELi4ELi33ELi32ELi16EiPKfPKS1_PfEviT6_lT7_lT5_lS6_lS7_lS5_lT8_i
	.p2align	8
	.type	_ZL26rocblas_hemvn_kernel_lowerILb0ELi64ELi4ELi33ELi32ELi16EiPKfPKS1_PfEviT6_lT7_lT5_lS6_lS7_lS5_lT8_i,@function
_ZL26rocblas_hemvn_kernel_lowerILb0ELi64ELi4ELi33ELi32ELi16EiPKfPKS1_PfEviT6_lT7_lT5_lS6_lS7_lS5_lT8_i: ; @_ZL26rocblas_hemvn_kernel_lowerILb0ELi64ELi4ELi33ELi32ELi16EiPKfPKS1_PfEviT6_lT7_lT5_lS6_lS7_lS5_lT8_i
; %bb.0:
	s_clause 0x1
	s_load_b64 s[4:5], s[0:1], 0x84
	s_load_b32 s21, s[0:1], 0x70
	s_bfe_u32 s2, ttmp6, 0x40014
	s_lshr_b32 s6, ttmp7, 16
	s_add_co_i32 s2, s2, 1
	s_bfe_u32 s7, ttmp6, 0x40008
	s_mul_i32 s2, s6, s2
	s_getreg_b32 s3, hwreg(HW_REG_IB_STS2, 6, 4)
	s_add_co_i32 s7, s7, s2
	s_mov_b32 s23, 0
	s_wait_kmcnt 0x0
	s_lshr_b32 s2, s4, 16
	s_and_b32 s4, s4, 0xffff
	s_and_b32 s5, s5, 0xffff
	s_mul_i32 s2, s2, s4
	s_cmp_eq_u32 s3, 0
	s_mul_i32 s2, s2, s5
	s_cselect_b32 s22, s6, s7
	s_cmp_lg_u32 s2, 0x100
	s_cselect_b32 s2, -1, 0
	s_cmp_ge_u32 s22, s21
	s_cselect_b32 s4, -1, 0
	s_delay_alu instid0(SALU_CYCLE_1) | instskip(NEXT) | instid1(SALU_CYCLE_1)
	s_or_b32 s2, s2, s4
	s_and_b32 vcc_lo, exec_lo, s2
	s_cbranch_vccnz .LBB149_81
; %bb.1:
	s_clause 0x1
	s_load_b32 s8, s[0:1], 0x0
	s_load_b32 s24, s[0:1], 0x28
	s_add_nc_u64 s[6:7], s[0:1], 0x78
	s_clause 0x2
	s_load_b128 s[36:39], s[0:1], 0x38
	s_load_b32 s15, s[0:1], 0x48
	s_load_b64 s[4:5], s[0:1], 0x68
	s_load_b32 s10, s[6:7], 0x0
	s_bfe_u32 s2, ttmp6, 0x4000c
	s_and_b32 s9, ttmp6, 15
	s_add_co_i32 s2, s2, 1
	v_and_b32_e32 v16, 0x3ff, v0
	s_wait_xcnt 0x0
	s_mul_i32 s6, ttmp9, s2
	v_bfe_u32 v1, v0, 10, 10
	s_add_co_i32 s6, s9, s6
	v_mov_b32_e32 v27, 0
                                        ; implicit-def: $vgpr92 : SGPR spill to VGPR lane
	s_load_b128 s[40:43], s[0:1], 0x58
	s_mov_b32 s11, s23
	v_lshl_add_u32 v2, v1, 6, v16
	v_and_b32_e32 v18, 31, v0
	v_cmp_eq_u32_e64 s2, 0, v1
	v_lshl_add_u32 v46, v1, 4, 0x10c0
	v_mov_b32_e32 v17, v27
	s_wait_kmcnt 0x0
	s_ashr_i32 s9, s8, 31
	s_ashr_i32 s25, s24, 31
	s_cmp_eq_u32 s3, 0
	v_lshrrev_b32_e32 v3, 5, v2
	s_cselect_b32 s17, ttmp9, s6
	s_lshr_b32 s3, s9, 26
	s_add_co_i32 s6, s10, -1
	s_add_co_i32 s3, s8, s3
	s_lshl_b32 s26, s17, 6
	s_and_not1_b32 s3, s3, 63
	s_mul_i32 s48, s24, s26
	s_sub_co_i32 s3, s8, s3
	s_cmp_eq_u32 s17, s6
	s_mul_i32 s6, s8, s17
	s_cselect_b32 s34, s3, 0
	v_lshlrev_b32_e32 v4, 2, v18
	v_cmp_gt_i32_e32 vcc_lo, s34, v16
	s_cmp_eq_u32 s34, 0
	v_dual_mov_b32 v19, v27 :: v_dual_add_nc_u32 v6, 8, v3
	s_cselect_b32 s104, -1, 0
	s_ashr_i32 s7, s6, 31
	s_or_b32 s3, s104, vcc_lo
	s_lshl_b64 s[6:7], s[6:7], 2
	s_ashr_i32 s27, s26, 31
	s_ashr_i32 s49, s48, 31
	s_cmp_lg_u32 s34, 0
	v_writelane_b32 v92, s3, 0
	s_cselect_b32 s14, -1, 0
	s_sub_co_i32 s16, s34, 32
	v_dual_add_nc_u32 v7, 16, v3 :: v_dual_add_nc_u32 v8, 24, v3
	v_cmp_gt_i32_e64 s18, s16, v3
	v_cmp_le_i32_e32 vcc_lo, s34, v16
	v_dual_lshlrev_b32 v40, 2, v16 :: v_dual_add_nc_u32 v20, s26, v16
	s_lshl_b32 s50, s24, 3
	v_writelane_b32 v92, s18, 1
	v_cmp_gt_i32_e64 s18, s16, v6
	s_lshl_b32 s52, s24, 4
	s_mul_i32 s54, s24, 24
	s_lshl_b32 s56, s24, 5
	s_and_b32 s19, s14, vcc_lo
	v_writelane_b32 v92, s18, 2
	v_cmp_gt_i32_e64 s18, s16, v7
	v_cmp_gt_i32_e64 s16, s16, v8
	s_mul_i32 s28, s15, s26
	s_add_nc_u64 s[46:47], s[4:5], s[6:7]
	v_cmp_gt_i32_e64 s5, s34, v6
	v_writelane_b32 v92, s18, 3
	v_mul_lo_u32 v6, v1, s24
	s_ashr_i32 s51, s50, 31
	s_ashr_i32 s53, s52, 31
	;; [unrolled: 1-line block ×4, first 2 shown]
	v_dual_lshlrev_b32 v9, 2, v3 :: v_dual_lshlrev_b32 v10, 4, v3
	v_mul_u32_u24_e32 v15, 33, v18
	s_ashr_i32 s57, s56, 31
	v_writelane_b32 v92, s16, 4
	s_xor_b32 s16, s19, -1
	s_ashr_i32 s29, s28, 31
	s_cmp_gt_i32 s17, 0
	v_mul_lo_u32 v22, s15, v20
	v_mad_u32 v24, s24, v3, v18
	s_sub_nc_u64 s[60:61], 0, s[28:29]
	s_cselect_b32 s14, -1, 0
	s_lshl_b64 s[64:65], s[24:25], 5
	s_lshl_b64 s[68:69], s[24:25], 2
	;; [unrolled: 1-line block ×4, first 2 shown]
	s_mul_u64 s[74:75], s[24:25], 12
	s_lshl_b64 s[76:77], s[24:25], 6
	s_mul_u64 s[78:79], s[24:25], 0x48
	s_mul_u64 s[80:81], s[24:25], 0x4c
	s_lshl_b64 s[82:83], s[24:25], 7
	s_mul_u64 s[84:85], s[24:25], 0x88
	s_mul_u64 s[86:87], s[24:25], 0x8c
	;; [unrolled: 1-line block ×8, first 2 shown]
	s_lshl_b64 s[100:101], s[26:27], 2
	s_load_b256 s[24:31], s[0:1], 0x8
	v_sub_nc_u64_e32 v[28:29], 0, v[18:19]
	v_lshl_or_b32 v19, v18, 7, v4
	v_cmp_gt_i32_e64 s6, s34, v7
	v_add_nc_u32_e32 v43, 0x11c0, v10
	v_lshl_add_u32 v44, v15, 2, v9
	v_mul_i32_i24_e32 v7, -12, v3
	v_mul_u32_u24_e32 v5, 0x84, v3
	v_cmp_gt_i32_e64 s4, s34, v3
	v_dual_add_nc_u32 v42, v19, v10 :: v_dual_bitop2_b32 v11, 1, v9 bitop3:0x54
	v_mul_u32_u24_e32 v12, 0x210, v3
	v_or_b32_e32 v13, 2, v9
	v_cmp_eq_u32_e64 s18, 1, v3
	v_mad_u32_u24 v45, v3, 12, v44
	v_lshl_add_u32 v30, v6, 2, v16
	v_dual_lshrrev_b32 v6, 2, v2 :: v_dual_bitop2_b32 v3, 15, v0 bitop3:0x40
	v_dual_add_nc_u32 v53, v43, v7 :: v_dual_bitop2_b32 v0, 48, v0 bitop3:0x40
	v_or_b32_e32 v10, 32, v18
	v_dual_ashrrev_i32 v23, 31, v22 :: v_dual_ashrrev_i32 v25, 31, v24
	s_mul_u64 s[44:45], s[10:11], s[8:9]
	v_cmp_gt_i32_e64 s7, s34, v8
	v_dual_ashrrev_i32 v31, 31, v30 :: v_dual_bitop2_b32 v14, 3, v9 bitop3:0x54
	v_cmp_lt_u32_e64 s9, v11, v18
	v_mul_u32_u24_e32 v11, 0x84, v11
	v_cmp_lt_u32_e64 s10, v13, v18
	v_mad_u32_u24 v47, 0x430, v1, v40
	v_and_b32_e32 v6, 0x1ffc, v6
	v_mul_u32_u24_e32 v8, 0x10c, v3
	v_lshlrev_b32_e32 v0, 2, v0
	v_cmp_gt_i32_e64 s13, s34, v10
	v_and_b32_e32 v13, 0x7ff0, v2
	v_or_b32_e32 v10, 60, v40
	v_sub_nc_u64_e32 v[32:33], 0, v[24:25]
	v_sub_nc_u64_e32 v[34:35], 0, v[16:17]
	v_add_nc_u32_e32 v41, 0x11c0, v40
	v_cmp_gt_i32_e64 s3, s34, v18
	v_cmp_lt_u32_e64 s8, v9, v18
	v_cmp_lt_u32_e64 s11, v14, v18
	v_cmp_gt_u32_e64 s12, 32, v2
	v_add_nc_u32_e32 v17, 0x10c0, v40
	v_mad_u32_u24 v48, 0x10c, v3, v6
	v_cmp_gt_u32_e64 s20, 64, v2
	v_mad_u32_u24 v49, 0x10c, v3, v0
	v_mad_i32_i24 v51, 0xfffffcdc, v1, v47
	v_dual_ashrrev_i32 v21, 31, v20 :: v_dual_add_nc_u32 v55, v4, v5
	v_add_nc_u32_e32 v52, 0x11c0, v9
	v_add_nc_u32_e32 v54, v8, v13
	v_mad_u32_u24 v50, 0x10c, v3, v10
	v_dual_add_nc_u32 v56, v4, v12 :: v_dual_add_nc_u32 v57, v4, v11
	s_sub_nc_u64 s[58:59], 0, s[56:57]
	s_sub_nc_u64 s[62:63], 0, s[48:49]
	s_lshl_b32 s15, s15, 6
	s_and_b32 s16, s2, s16
	s_sub_nc_u64 s[66:67], 0, s[34:35]
	s_lshl_b64 s[38:39], s[38:39], 2
	s_wait_kmcnt 0x0
	s_lshl_b64 s[30:31], s[30:31], 2
	s_branch .LBB149_4
.LBB149_2:                              ;   in Loop: Header=BB149_4 Depth=1
	s_wait_xcnt 0x0
	s_or_b32 exec_lo, exec_lo, s33
.LBB149_3:                              ;   in Loop: Header=BB149_4 Depth=1
	s_add_co_i32 s22, s22, 0x10000
	s_delay_alu instid0(SALU_CYCLE_1)
	s_cmp_lt_u32 s22, s21
	s_cbranch_scc0 .LBB149_81
.LBB149_4:                              ; =>This Loop Header: Depth=1
                                        ;     Child Loop BB149_69 Depth 2
	s_mul_u64 s[0:1], s[26:27], s[22:23]
	s_wait_xcnt 0x0
	s_mul_u64 s[102:103], s[42:43], s[22:23]
	s_lshl_b64 s[0:1], s[0:1], 2
	s_lshl_b64 s[102:103], s[102:103], 2
	s_add_nc_u64 s[0:1], s[24:25], s[0:1]
	s_add_nc_u64 s[102:103], s[40:41], s[102:103]
	s_clause 0x1
	global_load_b32 v0, v27, s[0:1]
	global_load_b32 v1, v27, s[102:103]
	s_wait_loadcnt 0x1
	s_wait_xcnt 0x1
	v_cmp_eq_f32_e64 s0, 0, v0
	s_wait_loadcnt 0x0
	v_cmp_eq_f32_e32 vcc_lo, 1.0, v1
	s_and_b32 s1, s0, vcc_lo
	s_delay_alu instid0(SALU_CYCLE_1)
	s_and_b32 vcc_lo, exec_lo, s1
	s_cbranch_vccnz .LBB149_3
; %bb.5:                                ;   in Loop: Header=BB149_4 Depth=1
	s_and_b32 vcc_lo, exec_lo, s0
	s_cbranch_vccz .LBB149_7
; %bb.6:                                ;   in Loop: Header=BB149_4 Depth=1
	s_cbranch_execnz .LBB149_3
	s_branch .LBB149_8
.LBB149_7:                              ;   in Loop: Header=BB149_4 Depth=1
.LBB149_8:                              ;   in Loop: Header=BB149_4 Depth=1
	s_lshl_b64 s[0:1], s[22:23], 3
	s_wait_xcnt 0x0
	s_add_nc_u64 s[102:103], s[36:37], s[0:1]
	s_add_nc_u64 s[0:1], s[28:29], s[0:1]
	s_clause 0x1
	global_load_b64 v[2:3], v27, s[102:103]
	global_load_b64 v[0:1], v27, s[0:1]
	s_wait_loadcnt 0x1
	v_add_nc_u64_e32 v[2:3], s[38:39], v[2:3]
	s_delay_alu instid0(VALU_DEP_1)
	v_lshl_add_u64 v[4:5], v[22:23], 2, v[2:3]
	s_wait_xcnt 0x0
	s_and_saveexec_b32 s0, s2
	s_cbranch_execz .LBB149_12
; %bb.9:                                ;   in Loop: Header=BB149_4 Depth=1
	v_mov_b32_e32 v2, 0
	s_mov_b32 s1, exec_lo
	v_readlane_b32 s33, v92, 0
	s_and_b32 s33, s1, s33
	s_delay_alu instid0(SALU_CYCLE_1)
	s_mov_b32 exec_lo, s33
	s_cbranch_execz .LBB149_11
; %bb.10:                               ;   in Loop: Header=BB149_4 Depth=1
	flat_load_b32 v2, v[4:5]
.LBB149_11:                             ;   in Loop: Header=BB149_4 Depth=1
	s_wait_xcnt 0x0
	s_or_b32 exec_lo, exec_lo, s1
	s_wait_loadcnt_dscnt 0x0
	ds_store_b32 v41, v2
.LBB149_12:                             ;   in Loop: Header=BB149_4 Depth=1
	s_or_b32 exec_lo, exec_lo, s0
	s_wait_loadcnt 0x0
	v_add_nc_u64_e32 v[0:1], s[30:31], v[0:1]
	s_and_not1_b32 vcc_lo, exec_lo, s104
	s_mov_b32 s0, -1
	s_delay_alu instid0(VALU_DEP_1) | instskip(NEXT) | instid1(VALU_DEP_1)
	v_add_nc_u64_e32 v[0:1], s[100:101], v[0:1]
	v_lshl_add_u64 v[0:1], v[24:25], 2, v[0:1]
	s_delay_alu instid0(VALU_DEP_1)
	v_lshl_add_u64 v[0:1], s[48:49], 2, v[0:1]
	s_cbranch_vccnz .LBB149_14
; %bb.13:                               ;   in Loop: Header=BB149_4 Depth=1
	s_delay_alu instid0(VALU_DEP_1) | instskip(SKIP_1) | instid1(VALU_DEP_1)
	v_lshl_add_u64 v[2:3], s[50:51], 2, v[0:1]
	s_mov_b32 s0, 0
	v_add_nc_u64_e32 v[6:7], s[64:65], v[2:3]
	s_delay_alu instid0(VALU_DEP_1)
	v_add_nc_u64_e32 v[8:9], s[64:65], v[6:7]
	s_clause 0x3
	flat_load_b32 v10, v[0:1]
	flat_load_b32 v2, v[2:3]
	;; [unrolled: 1-line block ×4, first 2 shown]
	s_wait_loadcnt_dscnt 0x303
	ds_store_b32 v55, v10
	s_wait_loadcnt_dscnt 0x203
	ds_store_b32 v55, v2 offset:1056
	s_wait_loadcnt_dscnt 0x103
	ds_store_b32 v55, v3 offset:2112
	;; [unrolled: 2-line block ×3, first 2 shown]
.LBB149_14:                             ;   in Loop: Header=BB149_4 Depth=1
	s_and_not1_b32 vcc_lo, exec_lo, s0
	s_cbranch_vccnz .LBB149_24
; %bb.15:                               ;   in Loop: Header=BB149_4 Depth=1
	s_delay_alu instid0(VALU_DEP_1) | instskip(SKIP_1) | instid1(VALU_DEP_2)
	v_lshl_add_u64 v[2:3], v[28:29], 2, v[0:1]
	v_mov_b32_e32 v6, 0
	v_lshl_add_u64 v[2:3], s[34:35], 2, v[2:3]
	s_delay_alu instid0(VALU_DEP_1) | instskip(NEXT) | instid1(VALU_DEP_1)
	v_add_nc_u64_e32 v[2:3], -4, v[2:3]
	v_dual_mov_b32 v7, 0 :: v_dual_cndmask_b32 v3, v3, v1, s3
	s_delay_alu instid0(VALU_DEP_2)
	v_cndmask_b32_e64 v2, v2, v0, s3
	s_wait_xcnt 0x0
	s_and_saveexec_b32 s0, s4
	s_cbranch_execz .LBB149_17
; %bb.16:                               ;   in Loop: Header=BB149_4 Depth=1
	flat_load_b32 v6, v[2:3]
.LBB149_17:                             ;   in Loop: Header=BB149_4 Depth=1
	s_wait_xcnt 0x0
	s_or_b32 exec_lo, exec_lo, s0
	s_wait_loadcnt_dscnt 0x0
	ds_store_b32 v55, v6
	s_and_saveexec_b32 s0, s5
	s_cbranch_execz .LBB149_19
; %bb.18:                               ;   in Loop: Header=BB149_4 Depth=1
	v_lshl_add_u64 v[6:7], s[50:51], 2, v[2:3]
	flat_load_b32 v7, v[6:7]
.LBB149_19:                             ;   in Loop: Header=BB149_4 Depth=1
	s_wait_xcnt 0x0
	s_or_b32 exec_lo, exec_lo, s0
	v_dual_mov_b32 v6, 0 :: v_dual_mov_b32 v8, 0
	s_wait_loadcnt_dscnt 0x0
	ds_store_b32 v55, v7 offset:1056
	s_and_saveexec_b32 s0, s6
	s_cbranch_execz .LBB149_21
; %bb.20:                               ;   in Loop: Header=BB149_4 Depth=1
	v_lshl_add_u64 v[8:9], s[52:53], 2, v[2:3]
	flat_load_b32 v8, v[8:9]
.LBB149_21:                             ;   in Loop: Header=BB149_4 Depth=1
	s_wait_xcnt 0x0
	s_or_b32 exec_lo, exec_lo, s0
	s_wait_loadcnt_dscnt 0x0
	ds_store_b32 v55, v8 offset:2112
	s_and_saveexec_b32 s0, s7
	s_cbranch_execz .LBB149_23
; %bb.22:                               ;   in Loop: Header=BB149_4 Depth=1
	v_lshl_add_u64 v[6:7], s[54:55], 2, v[2:3]
	flat_load_b32 v6, v[6:7]
.LBB149_23:                             ;   in Loop: Header=BB149_4 Depth=1
	s_wait_xcnt 0x0
	s_or_b32 exec_lo, exec_lo, s0
	v_lshlrev_b32_e32 v26, 2, v18
	s_wait_loadcnt_dscnt 0x0
	ds_store_b32 v55, v6 offset:3168
	v_add_nc_u64_e32 v[2:3], v[2:3], v[26:27]
	s_delay_alu instid0(VALU_DEP_1) | instskip(NEXT) | instid1(VALU_DEP_1)
	v_lshl_add_u64 v[2:3], s[66:67], 2, v[2:3]
	v_add_nc_u64_e32 v[2:3], 4, v[2:3]
	s_delay_alu instid0(VALU_DEP_1)
	v_dual_cndmask_b32 v1, v3, v1, s3 :: v_dual_cndmask_b32 v0, v2, v0, s3
.LBB149_24:                             ;   in Loop: Header=BB149_4 Depth=1
	s_wait_dscnt 0x0
	s_barrier_signal -1
	s_barrier_wait -1
	s_wait_xcnt 0x0
	s_and_saveexec_b32 s0, s8
	s_cbranch_execnz .LBB149_75
; %bb.25:                               ;   in Loop: Header=BB149_4 Depth=1
	s_or_b32 exec_lo, exec_lo, s0
	s_and_saveexec_b32 s0, s9
	s_cbranch_execnz .LBB149_76
.LBB149_26:                             ;   in Loop: Header=BB149_4 Depth=1
	s_or_b32 exec_lo, exec_lo, s0
	s_and_saveexec_b32 s0, s10
	s_cbranch_execnz .LBB149_77
.LBB149_27:                             ;   in Loop: Header=BB149_4 Depth=1
	s_or_b32 exec_lo, exec_lo, s0
	s_and_saveexec_b32 s0, s11
	s_cbranch_execz .LBB149_29
.LBB149_28:                             ;   in Loop: Header=BB149_4 Depth=1
	ds_load_b32 v2, v57 offset:264
	s_wait_dscnt 0x0
	ds_store_b32 v42, v2 offset:12
.LBB149_29:                             ;   in Loop: Header=BB149_4 Depth=1
	s_or_b32 exec_lo, exec_lo, s0
	s_wait_dscnt 0x0
	s_barrier_signal -1
	s_barrier_wait -1
	ds_load_2addr_b32 v[2:3], v57 offset1:33
	ds_load_b32 v10, v56
	ds_load_b128 v[6:9], v43
	ds_load_b32 v13, v57 offset:264
	s_wait_dscnt 0x0
	s_barrier_signal -1
	s_barrier_wait -1
	v_dual_mov_b32 v58, 0 :: v_dual_mov_b32 v11, v2
	v_mov_b32_e32 v12, v3
	s_delay_alu instid0(VALU_DEP_2) | instskip(NEXT) | instid1(VALU_DEP_2)
	v_pk_mul_f32 v[6:7], v[10:11], v[6:7]
	v_pk_mul_f32 v[2:3], v[12:13], v[8:9]
	s_delay_alu instid0(VALU_DEP_2) | instskip(NEXT) | instid1(VALU_DEP_1)
	v_add_f32_e32 v6, 0, v6
	v_add_f32_e32 v6, v6, v7
	s_delay_alu instid0(VALU_DEP_1) | instskip(NEXT) | instid1(VALU_DEP_1)
	v_add_f32_e32 v2, v6, v2
	v_add_f32_e32 v2, v2, v3
	ds_store_b32 v44, v2
	s_wait_dscnt 0x0
	s_barrier_signal -1
	s_barrier_wait -1
	s_and_saveexec_b32 s0, s12
	s_cbranch_execz .LBB149_31
; %bb.30:                               ;   in Loop: Header=BB149_4 Depth=1
	ds_load_2addr_b32 v[2:3], v19 offset1:1
	ds_load_2addr_b32 v[6:7], v19 offset0:2 offset1:3
	ds_load_2addr_b32 v[8:9], v19 offset0:4 offset1:5
	;; [unrolled: 1-line block ×3, first 2 shown]
	s_wait_dscnt 0x3
	v_add_f32_e32 v2, v2, v3
	s_wait_dscnt 0x2
	s_delay_alu instid0(VALU_DEP_1) | instskip(NEXT) | instid1(VALU_DEP_1)
	v_add_f32_e32 v2, v2, v6
	v_add_f32_e32 v2, v2, v7
	s_wait_dscnt 0x1
	s_delay_alu instid0(VALU_DEP_1) | instskip(NEXT) | instid1(VALU_DEP_1)
	v_add_f32_e32 v2, v2, v8
	;; [unrolled: 4-line block ×3, first 2 shown]
	v_add_f32_e32 v58, v2, v11
.LBB149_31:                             ;   in Loop: Header=BB149_4 Depth=1
	s_or_b32 exec_lo, exec_lo, s0
	v_lshl_add_u64 v[2:3], s[56:57], 2, v[0:1]
	s_and_not1_b32 vcc_lo, exec_lo, s104
	s_mov_b32 s0, -1
	s_barrier_signal -1
	s_barrier_wait -1
	s_cbranch_vccnz .LBB149_33
; %bb.32:                               ;   in Loop: Header=BB149_4 Depth=1
	v_lshl_add_u64 v[0:1], s[50:51], 2, v[2:3]
	s_mov_b32 s0, 0
	s_delay_alu instid0(VALU_DEP_1) | instskip(NEXT) | instid1(VALU_DEP_1)
	v_add_nc_u64_e32 v[6:7], s[64:65], v[0:1]
	v_add_nc_u64_e32 v[8:9], s[64:65], v[6:7]
	s_clause 0x3
	flat_load_b32 v10, v[2:3] offset:128
	flat_load_b32 v0, v[0:1] offset:128
	;; [unrolled: 1-line block ×4, first 2 shown]
	s_wait_loadcnt_dscnt 0x303
	ds_store_b32 v55, v10
	s_wait_loadcnt_dscnt 0x203
	ds_store_b32 v55, v0 offset:1056
	s_wait_loadcnt_dscnt 0x103
	ds_store_b32 v55, v1 offset:2112
	;; [unrolled: 2-line block ×3, first 2 shown]
.LBB149_33:                             ;   in Loop: Header=BB149_4 Depth=1
	v_add_nc_u64_e32 v[0:1], 0x80, v[2:3]
	s_and_not1_b32 vcc_lo, exec_lo, s0
	s_cbranch_vccnz .LBB149_43
; %bb.34:                               ;   in Loop: Header=BB149_4 Depth=1
	v_lshl_add_u64 v[2:3], v[28:29], 2, v[2:3]
	v_mov_b32_e32 v6, 0
	s_delay_alu instid0(VALU_DEP_2) | instskip(NEXT) | instid1(VALU_DEP_1)
	v_lshl_add_u64 v[2:3], s[34:35], 2, v[2:3]
	v_add_nc_u64_e32 v[2:3], -4, v[2:3]
	s_delay_alu instid0(VALU_DEP_1) | instskip(NEXT) | instid1(VALU_DEP_2)
	v_dual_mov_b32 v7, 0 :: v_dual_cndmask_b32 v3, v3, v1, s13
	v_cndmask_b32_e64 v2, v2, v0, s13
	s_wait_xcnt 0x0
	s_mov_b32 s0, exec_lo
	v_readlane_b32 s1, v92, 1
	s_and_b32 s1, s0, s1
	s_delay_alu instid0(SALU_CYCLE_1)
	s_mov_b32 exec_lo, s1
	s_cbranch_execz .LBB149_36
; %bb.35:                               ;   in Loop: Header=BB149_4 Depth=1
	flat_load_b32 v6, v[2:3]
.LBB149_36:                             ;   in Loop: Header=BB149_4 Depth=1
	s_wait_xcnt 0x0
	s_or_b32 exec_lo, exec_lo, s0
	s_wait_loadcnt_dscnt 0x0
	ds_store_b32 v55, v6
	s_mov_b32 s0, exec_lo
	v_readlane_b32 s1, v92, 2
	s_and_b32 s1, s0, s1
	s_delay_alu instid0(SALU_CYCLE_1)
	s_mov_b32 exec_lo, s1
	s_cbranch_execz .LBB149_38
; %bb.37:                               ;   in Loop: Header=BB149_4 Depth=1
	v_lshl_add_u64 v[6:7], s[50:51], 2, v[2:3]
	flat_load_b32 v7, v[6:7]
.LBB149_38:                             ;   in Loop: Header=BB149_4 Depth=1
	s_wait_xcnt 0x0
	s_or_b32 exec_lo, exec_lo, s0
	v_dual_mov_b32 v6, 0 :: v_dual_mov_b32 v8, 0
	s_wait_loadcnt_dscnt 0x0
	ds_store_b32 v55, v7 offset:1056
	s_mov_b32 s0, exec_lo
	v_readlane_b32 s1, v92, 3
	s_and_b32 s1, s0, s1
	s_delay_alu instid0(SALU_CYCLE_1)
	s_mov_b32 exec_lo, s1
	s_cbranch_execz .LBB149_40
; %bb.39:                               ;   in Loop: Header=BB149_4 Depth=1
	v_lshl_add_u64 v[8:9], s[52:53], 2, v[2:3]
	flat_load_b32 v8, v[8:9]
.LBB149_40:                             ;   in Loop: Header=BB149_4 Depth=1
	s_wait_xcnt 0x0
	s_or_b32 exec_lo, exec_lo, s0
	s_wait_loadcnt_dscnt 0x0
	ds_store_b32 v55, v8 offset:2112
	s_mov_b32 s0, exec_lo
	v_readlane_b32 s1, v92, 4
	s_and_b32 s1, s0, s1
	s_delay_alu instid0(SALU_CYCLE_1)
	s_mov_b32 exec_lo, s1
	s_cbranch_execz .LBB149_42
; %bb.41:                               ;   in Loop: Header=BB149_4 Depth=1
	v_lshl_add_u64 v[6:7], s[54:55], 2, v[2:3]
	flat_load_b32 v6, v[6:7]
.LBB149_42:                             ;   in Loop: Header=BB149_4 Depth=1
	s_wait_xcnt 0x0
	s_or_b32 exec_lo, exec_lo, s0
	v_lshlrev_b32_e32 v26, 2, v18
	s_wait_loadcnt_dscnt 0x0
	ds_store_b32 v55, v6 offset:3168
	v_add_nc_u64_e32 v[2:3], v[2:3], v[26:27]
	s_delay_alu instid0(VALU_DEP_1) | instskip(NEXT) | instid1(VALU_DEP_1)
	v_lshl_add_u64 v[2:3], s[66:67], 2, v[2:3]
	v_add_nc_u64_e32 v[2:3], 0x84, v[2:3]
	s_delay_alu instid0(VALU_DEP_1)
	v_dual_cndmask_b32 v1, v3, v1, s13 :: v_dual_cndmask_b32 v0, v2, v0, s13
.LBB149_43:                             ;   in Loop: Header=BB149_4 Depth=1
	s_wait_dscnt 0x0
	s_barrier_signal -1
	s_barrier_wait -1
	s_wait_xcnt 0x0
	s_and_saveexec_b32 s0, s8
	s_cbranch_execnz .LBB149_78
; %bb.44:                               ;   in Loop: Header=BB149_4 Depth=1
	s_or_b32 exec_lo, exec_lo, s0
	s_and_saveexec_b32 s0, s9
	s_cbranch_execnz .LBB149_79
.LBB149_45:                             ;   in Loop: Header=BB149_4 Depth=1
	s_or_b32 exec_lo, exec_lo, s0
	s_and_saveexec_b32 s0, s10
	s_cbranch_execnz .LBB149_80
.LBB149_46:                             ;   in Loop: Header=BB149_4 Depth=1
	s_or_b32 exec_lo, exec_lo, s0
	s_and_saveexec_b32 s0, s11
	s_cbranch_execz .LBB149_48
.LBB149_47:                             ;   in Loop: Header=BB149_4 Depth=1
	ds_load_b32 v2, v57 offset:264
	s_wait_dscnt 0x0
	ds_store_b32 v42, v2 offset:12
.LBB149_48:                             ;   in Loop: Header=BB149_4 Depth=1
	s_or_b32 exec_lo, exec_lo, s0
	s_wait_dscnt 0x0
	s_barrier_signal -1
	s_barrier_wait -1
	ds_load_2addr_b32 v[2:3], v57 offset1:33
	ds_load_b32 v10, v56
	ds_load_b128 v[6:9], v43 offset:128
	ds_load_b32 v13, v57 offset:264
	s_wait_dscnt 0x0
	s_barrier_signal -1
	s_barrier_wait -1
	v_dual_mov_b32 v11, v2 :: v_dual_mov_b32 v12, v3
	s_delay_alu instid0(VALU_DEP_1) | instskip(NEXT) | instid1(VALU_DEP_2)
	v_pk_mul_f32 v[6:7], v[10:11], v[6:7]
	v_pk_mul_f32 v[2:3], v[12:13], v[8:9]
	s_delay_alu instid0(VALU_DEP_2) | instskip(NEXT) | instid1(VALU_DEP_1)
	v_add_f32_e32 v6, 0, v6
	v_add_f32_e32 v6, v6, v7
	s_delay_alu instid0(VALU_DEP_1) | instskip(NEXT) | instid1(VALU_DEP_1)
	v_add_f32_e32 v2, v6, v2
	v_add_f32_e32 v2, v2, v3
	ds_store_b32 v44, v2
	s_wait_dscnt 0x0
	s_barrier_signal -1
	s_barrier_wait -1
	s_and_saveexec_b32 s0, s18
	s_cbranch_execz .LBB149_50
; %bb.49:                               ;   in Loop: Header=BB149_4 Depth=1
	ds_load_2addr_b32 v[2:3], v19 offset1:1
	ds_load_2addr_b32 v[6:7], v19 offset0:2 offset1:3
	ds_load_2addr_b32 v[8:9], v19 offset0:4 offset1:5
	;; [unrolled: 1-line block ×3, first 2 shown]
	s_wait_dscnt 0x3
	v_add_f32_e32 v2, v2, v3
	s_wait_dscnt 0x2
	s_delay_alu instid0(VALU_DEP_1) | instskip(NEXT) | instid1(VALU_DEP_1)
	v_add_f32_e32 v2, v2, v6
	v_add_f32_e32 v2, v2, v7
	s_wait_dscnt 0x1
	s_delay_alu instid0(VALU_DEP_1) | instskip(NEXT) | instid1(VALU_DEP_1)
	v_add_f32_e32 v2, v2, v8
	;; [unrolled: 4-line block ×3, first 2 shown]
	v_add_f32_e32 v58, v2, v11
.LBB149_50:                             ;   in Loop: Header=BB149_4 Depth=1
	s_or_b32 exec_lo, exec_lo, s0
	v_lshl_add_u64 v[6:7], s[58:59], 2, v[0:1]
	s_and_not1_b32 vcc_lo, exec_lo, s104
	s_mov_b32 s0, -1
	s_barrier_signal -1
	s_barrier_wait -1
	s_cbranch_vccnz .LBB149_52
; %bb.51:                               ;   in Loop: Header=BB149_4 Depth=1
	v_lshl_add_u64 v[0:1], s[50:51], 2, v[6:7]
	s_mov_b32 s0, 0
	s_delay_alu instid0(VALU_DEP_1) | instskip(NEXT) | instid1(VALU_DEP_1)
	v_add_nc_u64_e32 v[2:3], s[64:65], v[0:1]
	v_add_nc_u64_e32 v[8:9], s[64:65], v[2:3]
	s_clause 0x3
	flat_load_b32 v10, v[6:7]
	flat_load_b32 v0, v[0:1]
	flat_load_b32 v1, v[2:3]
	flat_load_b32 v2, v[8:9]
	s_wait_loadcnt_dscnt 0x303
	ds_store_b32 v55, v10
	s_wait_loadcnt_dscnt 0x203
	ds_store_b32 v55, v0 offset:1056
	s_wait_loadcnt_dscnt 0x103
	ds_store_b32 v55, v1 offset:2112
	;; [unrolled: 2-line block ×3, first 2 shown]
.LBB149_52:                             ;   in Loop: Header=BB149_4 Depth=1
	s_and_not1_b32 vcc_lo, exec_lo, s0
	s_cbranch_vccnz .LBB149_62
; %bb.53:                               ;   in Loop: Header=BB149_4 Depth=1
	v_lshl_add_u64 v[0:1], v[28:29], 2, v[6:7]
	s_mov_b64 s[0:1], 0xffffffffffffff7c
	v_mov_b32_e32 v2, 0
	s_delay_alu instid0(VALU_DEP_2) | instskip(NEXT) | instid1(VALU_DEP_1)
	v_lshl_add_u64 v[0:1], s[34:35], 2, v[0:1]
	v_add_nc_u64_e32 v[0:1], s[0:1], v[0:1]
	s_delay_alu instid0(VALU_DEP_1) | instskip(NEXT) | instid1(VALU_DEP_2)
	v_dual_mov_b32 v3, 0 :: v_dual_cndmask_b32 v1, v1, v7, s13
	v_cndmask_b32_e64 v0, v0, v6, s13
	s_wait_xcnt 0x0
	s_and_saveexec_b32 s0, s4
	s_cbranch_execz .LBB149_55
; %bb.54:                               ;   in Loop: Header=BB149_4 Depth=1
	flat_load_b32 v2, v[0:1]
.LBB149_55:                             ;   in Loop: Header=BB149_4 Depth=1
	s_wait_xcnt 0x0
	s_or_b32 exec_lo, exec_lo, s0
	s_wait_loadcnt_dscnt 0x0
	ds_store_b32 v55, v2
	s_and_saveexec_b32 s0, s5
	s_cbranch_execz .LBB149_57
; %bb.56:                               ;   in Loop: Header=BB149_4 Depth=1
	v_lshl_add_u64 v[2:3], s[50:51], 2, v[0:1]
	flat_load_b32 v3, v[2:3]
.LBB149_57:                             ;   in Loop: Header=BB149_4 Depth=1
	s_wait_xcnt 0x0
	s_or_b32 exec_lo, exec_lo, s0
	v_dual_mov_b32 v2, 0 :: v_dual_mov_b32 v8, 0
	s_wait_loadcnt_dscnt 0x0
	ds_store_b32 v55, v3 offset:1056
	s_and_saveexec_b32 s0, s6
	s_cbranch_execz .LBB149_59
; %bb.58:                               ;   in Loop: Header=BB149_4 Depth=1
	v_lshl_add_u64 v[8:9], s[52:53], 2, v[0:1]
	flat_load_b32 v8, v[8:9]
.LBB149_59:                             ;   in Loop: Header=BB149_4 Depth=1
	s_wait_xcnt 0x0
	s_or_b32 exec_lo, exec_lo, s0
	s_wait_loadcnt_dscnt 0x0
	ds_store_b32 v55, v8 offset:2112
	s_and_saveexec_b32 s0, s7
	s_cbranch_execz .LBB149_61
; %bb.60:                               ;   in Loop: Header=BB149_4 Depth=1
	v_lshl_add_u64 v[2:3], s[54:55], 2, v[0:1]
	flat_load_b32 v2, v[2:3]
.LBB149_61:                             ;   in Loop: Header=BB149_4 Depth=1
	s_wait_xcnt 0x0
	s_or_b32 exec_lo, exec_lo, s0
	v_lshlrev_b32_e32 v26, 2, v18
	s_wait_loadcnt_dscnt 0x0
	ds_store_b32 v55, v2 offset:3168
	v_add_nc_u64_e32 v[0:1], v[0:1], v[26:27]
	s_delay_alu instid0(VALU_DEP_1) | instskip(NEXT) | instid1(VALU_DEP_1)
	v_lshl_add_u64 v[0:1], s[66:67], 2, v[0:1]
	v_add_nc_u64_e32 v[0:1], 0x84, v[0:1]
	s_delay_alu instid0(VALU_DEP_1)
	v_dual_cndmask_b32 v7, v1, v7, s13 :: v_dual_cndmask_b32 v6, v0, v6, s13
.LBB149_62:                             ;   in Loop: Header=BB149_4 Depth=1
	s_wait_dscnt 0x0
	s_barrier_signal -1
	s_barrier_wait -1
	ds_load_2addr_b32 v[0:1], v52 offset0:8 offset1:16
	ds_load_b32 v2, v55
	ds_load_b32 v3, v55 offset:1056
	ds_load_b32 v12, v55 offset:2112
	;; [unrolled: 1-line block ×3, first 2 shown]
	s_wait_xcnt 0x0
	ds_load_b32 v8, v53
	ds_load_b32 v15, v52 offset:96
	s_wait_dscnt 0x6
	v_dual_mov_b32 v9, v0 :: v_dual_mov_b32 v14, v1
	s_wait_dscnt 0x1
	s_delay_alu instid0(VALU_DEP_1)
	v_pk_mul_f32 v[36:37], v[2:3], v[8:9]
	ds_load_2addr_b32 v[10:11], v45 offset1:1
	ds_load_b128 v[0:3], v43 offset:128
	ds_load_2addr_b32 v[8:9], v45 offset0:2 offset1:3
	s_wait_dscnt 0x3
	v_pk_mul_f32 v[12:13], v[12:13], v[14:15]
	s_wait_dscnt 0x0
	s_barrier_signal -1
	v_add_f32_e32 v26, 0, v36
	s_barrier_wait -1
	s_delay_alu instid0(VALU_DEP_1) | instskip(NEXT) | instid1(VALU_DEP_1)
	v_add_f32_e32 v14, v26, v37
	v_add_f32_e32 v12, v14, v12
	s_delay_alu instid0(VALU_DEP_1)
	v_add_f32_e32 v12, v12, v13
	ds_store_b32 v44, v12
	s_wait_dscnt 0x0
	s_barrier_signal -1
	s_barrier_wait -1
	s_and_saveexec_b32 s0, s18
	s_cbranch_execz .LBB149_64
; %bb.63:                               ;   in Loop: Header=BB149_4 Depth=1
	ds_load_2addr_b32 v[12:13], v19 offset1:1
	ds_load_2addr_b32 v[14:15], v19 offset0:2 offset1:3
	ds_load_2addr_b32 v[36:37], v19 offset0:4 offset1:5
	ds_load_2addr_b32 v[38:39], v19 offset0:6 offset1:7
	s_wait_dscnt 0x3
	v_add_f32_e32 v12, v58, v12
	s_delay_alu instid0(VALU_DEP_1) | instskip(SKIP_1) | instid1(VALU_DEP_1)
	v_add_f32_e32 v12, v12, v13
	s_wait_dscnt 0x2
	v_add_f32_e32 v12, v12, v14
	s_delay_alu instid0(VALU_DEP_1) | instskip(SKIP_1) | instid1(VALU_DEP_1)
	v_add_f32_e32 v12, v12, v15
	;; [unrolled: 4-line block ×3, first 2 shown]
	s_wait_dscnt 0x0
	v_add_f32_e32 v12, v12, v38
	s_delay_alu instid0(VALU_DEP_1)
	v_add_f32_e32 v58, v12, v39
.LBB149_64:                             ;   in Loop: Header=BB149_4 Depth=1
	s_or_b32 exec_lo, exec_lo, s0
	v_fma_f32 v0, v10, v0, 0
	s_barrier_signal -1
	s_barrier_wait -1
	s_delay_alu instid0(VALU_DEP_1) | instskip(NEXT) | instid1(VALU_DEP_1)
	v_fmac_f32_e32 v0, v11, v1
	v_fmac_f32_e32 v0, v8, v2
	s_delay_alu instid0(VALU_DEP_1)
	v_fmac_f32_e32 v0, v9, v3
	ds_store_b32 v44, v0
	s_wait_dscnt 0x0
	s_barrier_signal -1
	s_barrier_wait -1
	s_and_saveexec_b32 s0, s12
	s_cbranch_execz .LBB149_66
; %bb.65:                               ;   in Loop: Header=BB149_4 Depth=1
	ds_load_2addr_b32 v[0:1], v19 offset1:1
	ds_load_2addr_b32 v[2:3], v19 offset0:2 offset1:3
	ds_load_2addr_b32 v[8:9], v19 offset0:4 offset1:5
	;; [unrolled: 1-line block ×3, first 2 shown]
	s_wait_dscnt 0x3
	v_add_f32_e32 v0, v58, v0
	s_delay_alu instid0(VALU_DEP_1) | instskip(SKIP_1) | instid1(VALU_DEP_1)
	v_add_f32_e32 v0, v0, v1
	s_wait_dscnt 0x2
	v_add_f32_e32 v0, v0, v2
	s_delay_alu instid0(VALU_DEP_1) | instskip(SKIP_1) | instid1(VALU_DEP_1)
	v_add_f32_e32 v0, v0, v3
	;; [unrolled: 4-line block ×3, first 2 shown]
	s_wait_dscnt 0x0
	v_add_f32_e32 v0, v0, v10
	s_delay_alu instid0(VALU_DEP_1)
	v_add_f32_e32 v58, v0, v11
.LBB149_66:                             ;   in Loop: Header=BB149_4 Depth=1
	s_or_b32 exec_lo, exec_lo, s0
	s_mul_u64 s[0:1], s[44:45], s[22:23]
	s_and_not1_b32 vcc_lo, exec_lo, s14
	s_lshl_b64 s[0:1], s[0:1], 2
	s_delay_alu instid0(SALU_CYCLE_1)
	s_add_nc_u64 s[0:1], s[46:47], s[0:1]
	s_barrier_signal -1
	s_barrier_wait -1
	s_cbranch_vccnz .LBB149_73
; %bb.67:                               ;   in Loop: Header=BB149_4 Depth=1
	v_lshl_add_u64 v[0:1], s[62:63], 2, v[6:7]
	s_mov_b64 s[102:103], 0xffffffffffffff80
	v_lshl_add_u64 v[36:37], s[60:61], 2, v[4:5]
	v_mov_b32_e32 v26, v16
	s_mov_b32 vcc_lo, 0
	v_lshl_add_u64 v[0:1], v[32:33], 2, v[0:1]
	s_mov_b32 s33, s17
	s_delay_alu instid0(VALU_DEP_1) | instskip(NEXT) | instid1(VALU_DEP_1)
	v_lshl_add_u64 v[0:1], v[30:31], 2, v[0:1]
	v_lshl_add_u64 v[2:3], v[34:35], 2, v[0:1]
	v_add_nc_u64_e32 v[0:1], s[102:103], v[0:1]
	s_mov_b64 s[102:103], 0xffffffffffffff7c
	s_delay_alu instid0(VALU_DEP_2) | instskip(NEXT) | instid1(VALU_DEP_1)
	v_lshl_add_u64 v[2:3], s[34:35], 2, v[2:3]
	v_add_nc_u64_e32 v[2:3], s[102:103], v[2:3]
	s_delay_alu instid0(VALU_DEP_1)
	v_dual_cndmask_b32 v39, v1, v3, s19 :: v_dual_cndmask_b32 v38, v0, v2, s19
	s_branch .LBB149_69
.LBB149_68:                             ;   in Loop: Header=BB149_69 Depth=2
	s_wait_xcnt 0x0
	s_or_b32 exec_lo, exec_lo, vcc_hi
	v_dual_fmac_f32 v58, v62, v0 :: v_dual_add_nc_u32 v26, 64, v26
	v_add_nc_u64_e32 v[38:39], s[72:73], v[38:39]
	s_add_co_i32 s33, s33, -1
	s_add_co_i32 vcc_lo, vcc_lo, s15
	s_delay_alu instid0(VALU_DEP_2)
	v_fmac_f32_e32 v58, v61, v1
	s_cmp_eq_u32 s33, 0
	s_wait_storecnt 0x0
	s_barrier_signal -1
	s_barrier_wait -1
	v_fmac_f32_e32 v58, v60, v2
	s_delay_alu instid0(VALU_DEP_1) | instskip(NEXT) | instid1(VALU_DEP_1)
	v_fmac_f32_e32 v58, v59, v3
	v_fmac_f32_e32 v58, v66, v4
	s_delay_alu instid0(VALU_DEP_1) | instskip(NEXT) | instid1(VALU_DEP_1)
	v_fmac_f32_e32 v58, v65, v5
	;; [unrolled: 3-line block ×6, first 2 shown]
	v_fmac_f32_e32 v58, v72, v14
	s_delay_alu instid0(VALU_DEP_1)
	v_fmac_f32_e32 v58, v71, v15
	s_cbranch_scc1 .LBB149_73
.LBB149_69:                             ;   Parent Loop BB149_4 Depth=1
                                        ; =>  This Inner Loop Header: Depth=2
	s_and_saveexec_b32 s102, s2
	s_cbranch_execz .LBB149_71
; %bb.70:                               ;   in Loop: Header=BB149_69 Depth=2
	s_ashr_i32 vcc_hi, vcc_lo, 31
	s_delay_alu instid0(SALU_CYCLE_1)
	v_lshl_add_u64 v[0:1], vcc, 2, v[36:37]
	flat_load_b32 v0, v[0:1]
	s_wait_loadcnt_dscnt 0x0
	ds_store_b32 v17, v0
.LBB149_71:                             ;   in Loop: Header=BB149_69 Depth=2
	s_wait_xcnt 0x0
	s_or_b32 exec_lo, exec_lo, s102
	v_add_nc_u64_e32 v[0:1], s[68:69], v[38:39]
	v_add_nc_u64_e32 v[2:3], s[70:71], v[38:39]
	;; [unrolled: 1-line block ×3, first 2 shown]
	s_wait_dscnt 0x0
	s_barrier_signal -1
	s_barrier_wait -1
	s_clause 0x3
	flat_load_b32 v62, v[38:39]
	flat_load_b32 v61, v[0:1]
	;; [unrolled: 1-line block ×4, first 2 shown]
	ds_load_b32 v6, v41
	s_wait_xcnt 0x1
	ds_load_b128 v[0:3], v46
	s_wait_xcnt 0x0
	v_add_nc_u64_e32 v[4:5], s[76:77], v[38:39]
	v_add_nc_u64_e32 v[8:9], s[78:79], v[38:39]
	;; [unrolled: 1-line block ×5, first 2 shown]
	s_wait_loadcnt_dscnt 0x201
	v_dual_mul_f32 v12, v62, v6 :: v_dual_mul_f32 v13, v61, v6
	s_wait_loadcnt 0x0
	v_dual_mul_f32 v14, v60, v6 :: v_dual_mul_f32 v15, v59, v6
	v_add_nc_u64_e32 v[6:7], s[98:99], v[38:39]
	ds_store_2addr_b32 v47, v12, v13 offset1:67
	ds_store_2addr_b32 v47, v14, v15 offset0:134 offset1:201
	s_wait_dscnt 0x0
	s_barrier_signal -1
	s_barrier_wait -1
	ds_load_2addr_b32 v[76:77], v54 offset1:1
	ds_load_2addr_b32 v[78:79], v54 offset0:2 offset1:3
	s_wait_dscnt 0x0
	s_barrier_signal -1
	s_barrier_wait -1
	s_clause 0x3
	flat_load_b32 v66, v[4:5]
	flat_load_b32 v65, v[6:7]
	;; [unrolled: 1-line block ×4, first 2 shown]
	s_wait_xcnt 0x0
	ds_load_b32 v10, v41
	ds_load_b128 v[4:7], v46 offset:64
	v_add_nc_u64_e32 v[8:9], s[82:83], v[38:39]
	v_add_nc_u64_e32 v[12:13], s[84:85], v[38:39]
	v_add_nc_u64_e32 v[14:15], s[86:87], v[38:39]
	s_wait_loadcnt_dscnt 0x201
	v_dual_mul_f32 v67, v66, v10 :: v_dual_mul_f32 v68, v65, v10
	s_wait_loadcnt 0x0
	v_dual_mul_f32 v69, v64, v10 :: v_dual_mul_f32 v70, v63, v10
	v_add_nc_u64_e32 v[10:11], s[96:97], v[38:39]
	ds_store_2addr_b32 v47, v67, v68 offset1:67
	ds_store_2addr_b32 v47, v69, v70 offset0:134 offset1:201
	s_wait_dscnt 0x0
	s_barrier_signal -1
	s_barrier_wait -1
	ds_load_2addr_b32 v[80:81], v54 offset1:1
	ds_load_2addr_b32 v[82:83], v54 offset0:2 offset1:3
	s_wait_dscnt 0x0
	s_barrier_signal -1
	s_barrier_wait -1
	s_clause 0x3
	flat_load_b32 v70, v[8:9]
	flat_load_b32 v69, v[10:11]
	;; [unrolled: 1-line block ×4, first 2 shown]
	s_wait_xcnt 0x0
	ds_load_b32 v14, v41
	ds_load_b128 v[8:11], v46 offset:128
	v_add_nc_u64_e32 v[12:13], s[88:89], v[38:39]
	s_wait_loadcnt_dscnt 0x201
	v_dual_mul_f32 v71, v70, v14 :: v_dual_mul_f32 v72, v69, v14
	s_wait_loadcnt 0x0
	v_dual_mul_f32 v73, v68, v14 :: v_dual_mul_f32 v74, v67, v14
	v_add_nc_u64_e32 v[14:15], s[94:95], v[38:39]
	ds_store_2addr_b32 v47, v71, v72 offset1:67
	ds_store_2addr_b32 v47, v73, v74 offset0:134 offset1:201
	s_wait_dscnt 0x0
	s_barrier_signal -1
	s_barrier_wait -1
	ds_load_2addr_b32 v[88:89], v54 offset1:1
	ds_load_2addr_b32 v[90:91], v54 offset0:2 offset1:3
	s_wait_dscnt 0x0
	s_barrier_signal -1
	s_barrier_wait -1
	s_clause 0x3
	flat_load_b32 v74, v[12:13]
	flat_load_b32 v73, v[14:15]
	;; [unrolled: 1-line block ×4, first 2 shown]
	ds_load_b32 v75, v41
	s_wait_xcnt 0x2
	ds_load_b128 v[12:15], v46 offset:192
	s_wait_loadcnt_dscnt 0x201
	s_wait_xcnt 0x1
	v_dual_mul_f32 v84, v74, v75 :: v_dual_mul_f32 v85, v73, v75
	s_wait_loadcnt 0x0
	s_wait_xcnt 0x0
	v_dual_mul_f32 v86, v72, v75 :: v_dual_mul_f32 v75, v71, v75
	ds_store_2addr_b32 v47, v84, v85 offset1:67
	ds_store_2addr_b32 v47, v86, v75 offset0:134 offset1:201
	s_wait_dscnt 0x0
	s_barrier_signal -1
	s_barrier_wait -1
	ds_load_2addr_b32 v[84:85], v54 offset1:1
	ds_load_2addr_b32 v[86:87], v54 offset0:2 offset1:3
	v_add_f32_e32 v75, 0, v76
	v_add_f32_e32 v76, 0, v80
	s_wait_dscnt 0x0
	s_barrier_signal -1
	s_barrier_wait -1
	s_delay_alu instid0(VALU_DEP_1) | instskip(SKIP_1) | instid1(VALU_DEP_1)
	v_add_f32_e32 v76, v76, v81
	v_dual_add_f32 v75, v75, v77 :: v_dual_add_f32 v80, 0, v88
	v_dual_add_f32 v75, v75, v78 :: v_dual_add_f32 v77, v80, v89
	s_delay_alu instid0(VALU_DEP_1) | instskip(NEXT) | instid1(VALU_DEP_2)
	v_dual_add_f32 v76, v76, v82 :: v_dual_add_f32 v75, v75, v79
	v_dual_add_f32 v84, 0, v84 :: v_dual_add_f32 v77, v77, v90
	s_delay_alu instid0(VALU_DEP_2) | instskip(NEXT) | instid1(VALU_DEP_2)
	v_add_f32_e32 v76, v76, v83
	v_dual_add_f32 v80, v84, v85 :: v_dual_add_f32 v77, v77, v91
	s_delay_alu instid0(VALU_DEP_1) | instskip(NEXT) | instid1(VALU_DEP_1)
	v_add_f32_e32 v78, v80, v86
	v_add_f32_e32 v78, v78, v87
	ds_store_2addr_b32 v48, v75, v76 offset1:16
	ds_store_2addr_b32 v48, v77, v78 offset0:32 offset1:48
	s_wait_dscnt 0x0
	s_barrier_signal -1
	s_barrier_wait -1
	s_and_saveexec_b32 vcc_hi, s20
	s_cbranch_execz .LBB149_68
; %bb.72:                               ;   in Loop: Header=BB149_69 Depth=2
	ds_load_2addr_b32 v[76:77], v49 offset1:1
	ds_load_2addr_b32 v[78:79], v49 offset0:2 offset1:3
	ds_load_2addr_b32 v[80:81], v49 offset0:4 offset1:5
	;; [unrolled: 1-line block ×3, first 2 shown]
	s_wait_dscnt 0x3
	v_add_f32_e32 v75, v76, v77
	ds_load_2addr_b32 v[76:77], v49 offset0:8 offset1:9
	s_wait_dscnt 0x3
	v_add_f32_e32 v75, v75, v78
	s_delay_alu instid0(VALU_DEP_1) | instskip(SKIP_3) | instid1(VALU_DEP_1)
	v_add_f32_e32 v75, v75, v79
	ds_load_2addr_b32 v[78:79], v49 offset0:10 offset1:11
	s_wait_dscnt 0x3
	v_add_f32_e32 v75, v75, v80
	v_add_f32_e32 v75, v75, v81
	s_wait_dscnt 0x2
	s_delay_alu instid0(VALU_DEP_1) | instskip(SKIP_4) | instid1(VALU_DEP_1)
	v_add_f32_e32 v75, v75, v82
	ds_load_2addr_b32 v[80:81], v49 offset0:12 offset1:13
	ds_load_b32 v82, v49 offset:56
	v_add_f32_e32 v75, v75, v83
	s_wait_dscnt 0x3
	v_add_f32_e32 v75, v75, v76
	ds_load_b32 v76, v50
	v_add_f32_e32 v75, v75, v77
	s_wait_dscnt 0x3
	s_delay_alu instid0(VALU_DEP_1) | instskip(NEXT) | instid1(VALU_DEP_1)
	v_add_f32_e32 v75, v75, v78
	v_add_f32_e32 v75, v75, v79
	s_wait_dscnt 0x2
	s_delay_alu instid0(VALU_DEP_1) | instskip(NEXT) | instid1(VALU_DEP_1)
	v_add_f32_e32 v75, v75, v80
	v_add_f32_e32 v75, v75, v81
	s_wait_dscnt 0x1
	s_delay_alu instid0(VALU_DEP_1) | instskip(SKIP_1) | instid1(VALU_DEP_1)
	v_add_f32_e32 v75, v75, v82
	s_wait_dscnt 0x0
	v_add_f32_e32 v75, v75, v76
	global_store_b32 v26, v75, s[0:1] scale_offset
	s_branch .LBB149_68
.LBB149_73:                             ;   in Loop: Header=BB149_4 Depth=1
	ds_store_b32 v51, v58
	s_wait_dscnt 0x0
	s_barrier_signal -1
	s_barrier_wait -1
	s_and_saveexec_b32 s33, s16
	s_cbranch_execz .LBB149_2
; %bb.74:                               ;   in Loop: Header=BB149_4 Depth=1
	ds_load_2addr_b32 v[0:1], v40 offset1:67
	ds_load_2addr_b32 v[2:3], v40 offset0:134 offset1:201
	s_wait_dscnt 0x1
	v_add_f32_e32 v0, v0, v1
	s_wait_dscnt 0x0
	s_delay_alu instid0(VALU_DEP_1) | instskip(NEXT) | instid1(VALU_DEP_1)
	v_add_f32_e32 v0, v0, v2
	v_add_f32_e32 v2, v0, v3
	v_lshl_add_u64 v[0:1], v[20:21], 2, s[0:1]
	global_store_b32 v[0:1], v2, off
	s_branch .LBB149_2
.LBB149_75:                             ;   in Loop: Header=BB149_4 Depth=1
	ds_load_b32 v2, v56
	s_wait_dscnt 0x0
	ds_store_b32 v42, v2
	s_or_b32 exec_lo, exec_lo, s0
	s_and_saveexec_b32 s0, s9
	s_cbranch_execz .LBB149_26
.LBB149_76:                             ;   in Loop: Header=BB149_4 Depth=1
	ds_load_b32 v2, v57
	s_wait_dscnt 0x0
	ds_store_b32 v42, v2 offset:4
	s_or_b32 exec_lo, exec_lo, s0
	s_and_saveexec_b32 s0, s10
	s_cbranch_execz .LBB149_27
.LBB149_77:                             ;   in Loop: Header=BB149_4 Depth=1
	ds_load_b32 v2, v57 offset:132
	s_wait_dscnt 0x0
	ds_store_b32 v42, v2 offset:8
	s_or_b32 exec_lo, exec_lo, s0
	s_and_saveexec_b32 s0, s11
	s_cbranch_execnz .LBB149_28
	s_branch .LBB149_29
.LBB149_78:                             ;   in Loop: Header=BB149_4 Depth=1
	ds_load_b32 v2, v56
	s_wait_dscnt 0x0
	ds_store_b32 v42, v2
	s_or_b32 exec_lo, exec_lo, s0
	s_and_saveexec_b32 s0, s9
	s_cbranch_execz .LBB149_45
.LBB149_79:                             ;   in Loop: Header=BB149_4 Depth=1
	ds_load_b32 v2, v57
	s_wait_dscnt 0x0
	ds_store_b32 v42, v2 offset:4
	s_or_b32 exec_lo, exec_lo, s0
	s_and_saveexec_b32 s0, s10
	s_cbranch_execz .LBB149_46
.LBB149_80:                             ;   in Loop: Header=BB149_4 Depth=1
	ds_load_b32 v2, v57 offset:132
	s_wait_dscnt 0x0
	ds_store_b32 v42, v2 offset:8
	s_or_b32 exec_lo, exec_lo, s0
	s_and_saveexec_b32 s0, s11
	s_cbranch_execnz .LBB149_47
	s_branch .LBB149_48
.LBB149_81:
	s_sendmsg sendmsg(MSG_DEALLOC_VGPRS)
	s_endpgm
	.section	.rodata,"a",@progbits
	.p2align	6, 0x0
	.amdhsa_kernel _ZL26rocblas_hemvn_kernel_lowerILb0ELi64ELi4ELi33ELi32ELi16EiPKfPKS1_PfEviT6_lT7_lT5_lS6_lS7_lS5_lT8_i
		.amdhsa_group_segment_fixed_size 4800
		.amdhsa_private_segment_fixed_size 0
		.amdhsa_kernarg_size 376
		.amdhsa_user_sgpr_count 2
		.amdhsa_user_sgpr_dispatch_ptr 0
		.amdhsa_user_sgpr_queue_ptr 0
		.amdhsa_user_sgpr_kernarg_segment_ptr 1
		.amdhsa_user_sgpr_dispatch_id 0
		.amdhsa_user_sgpr_kernarg_preload_length 0
		.amdhsa_user_sgpr_kernarg_preload_offset 0
		.amdhsa_user_sgpr_private_segment_size 0
		.amdhsa_wavefront_size32 1
		.amdhsa_uses_dynamic_stack 0
		.amdhsa_enable_private_segment 0
		.amdhsa_system_sgpr_workgroup_id_x 1
		.amdhsa_system_sgpr_workgroup_id_y 0
		.amdhsa_system_sgpr_workgroup_id_z 1
		.amdhsa_system_sgpr_workgroup_info 0
		.amdhsa_system_vgpr_workitem_id 1
		.amdhsa_next_free_vgpr 93
		.amdhsa_next_free_sgpr 105
		.amdhsa_named_barrier_count 0
		.amdhsa_reserve_vcc 1
		.amdhsa_float_round_mode_32 0
		.amdhsa_float_round_mode_16_64 0
		.amdhsa_float_denorm_mode_32 3
		.amdhsa_float_denorm_mode_16_64 3
		.amdhsa_fp16_overflow 0
		.amdhsa_memory_ordered 1
		.amdhsa_forward_progress 1
		.amdhsa_inst_pref_size 45
		.amdhsa_round_robin_scheduling 0
		.amdhsa_exception_fp_ieee_invalid_op 0
		.amdhsa_exception_fp_denorm_src 0
		.amdhsa_exception_fp_ieee_div_zero 0
		.amdhsa_exception_fp_ieee_overflow 0
		.amdhsa_exception_fp_ieee_underflow 0
		.amdhsa_exception_fp_ieee_inexact 0
		.amdhsa_exception_int_div_zero 0
	.end_amdhsa_kernel
	.section	.text._ZL26rocblas_hemvn_kernel_lowerILb0ELi64ELi4ELi33ELi32ELi16EiPKfPKS1_PfEviT6_lT7_lT5_lS6_lS7_lS5_lT8_i,"axG",@progbits,_ZL26rocblas_hemvn_kernel_lowerILb0ELi64ELi4ELi33ELi32ELi16EiPKfPKS1_PfEviT6_lT7_lT5_lS6_lS7_lS5_lT8_i,comdat
.Lfunc_end149:
	.size	_ZL26rocblas_hemvn_kernel_lowerILb0ELi64ELi4ELi33ELi32ELi16EiPKfPKS1_PfEviT6_lT7_lT5_lS6_lS7_lS5_lT8_i, .Lfunc_end149-_ZL26rocblas_hemvn_kernel_lowerILb0ELi64ELi4ELi33ELi32ELi16EiPKfPKS1_PfEviT6_lT7_lT5_lS6_lS7_lS5_lT8_i
                                        ; -- End function
	.set _ZL26rocblas_hemvn_kernel_lowerILb0ELi64ELi4ELi33ELi32ELi16EiPKfPKS1_PfEviT6_lT7_lT5_lS6_lS7_lS5_lT8_i.num_vgpr, 93
	.set _ZL26rocblas_hemvn_kernel_lowerILb0ELi64ELi4ELi33ELi32ELi16EiPKfPKS1_PfEviT6_lT7_lT5_lS6_lS7_lS5_lT8_i.num_agpr, 0
	.set _ZL26rocblas_hemvn_kernel_lowerILb0ELi64ELi4ELi33ELi32ELi16EiPKfPKS1_PfEviT6_lT7_lT5_lS6_lS7_lS5_lT8_i.numbered_sgpr, 105
	.set _ZL26rocblas_hemvn_kernel_lowerILb0ELi64ELi4ELi33ELi32ELi16EiPKfPKS1_PfEviT6_lT7_lT5_lS6_lS7_lS5_lT8_i.num_named_barrier, 0
	.set _ZL26rocblas_hemvn_kernel_lowerILb0ELi64ELi4ELi33ELi32ELi16EiPKfPKS1_PfEviT6_lT7_lT5_lS6_lS7_lS5_lT8_i.private_seg_size, 0
	.set _ZL26rocblas_hemvn_kernel_lowerILb0ELi64ELi4ELi33ELi32ELi16EiPKfPKS1_PfEviT6_lT7_lT5_lS6_lS7_lS5_lT8_i.uses_vcc, 1
	.set _ZL26rocblas_hemvn_kernel_lowerILb0ELi64ELi4ELi33ELi32ELi16EiPKfPKS1_PfEviT6_lT7_lT5_lS6_lS7_lS5_lT8_i.uses_flat_scratch, 1
	.set _ZL26rocblas_hemvn_kernel_lowerILb0ELi64ELi4ELi33ELi32ELi16EiPKfPKS1_PfEviT6_lT7_lT5_lS6_lS7_lS5_lT8_i.has_dyn_sized_stack, 0
	.set _ZL26rocblas_hemvn_kernel_lowerILb0ELi64ELi4ELi33ELi32ELi16EiPKfPKS1_PfEviT6_lT7_lT5_lS6_lS7_lS5_lT8_i.has_recursion, 0
	.set _ZL26rocblas_hemvn_kernel_lowerILb0ELi64ELi4ELi33ELi32ELi16EiPKfPKS1_PfEviT6_lT7_lT5_lS6_lS7_lS5_lT8_i.has_indirect_call, 0
	.section	.AMDGPU.csdata,"",@progbits
; Kernel info:
; codeLenInByte = 5704
; TotalNumSgprs: 107
; NumVgprs: 93
; ScratchSize: 0
; MemoryBound: 0
; FloatMode: 240
; IeeeMode: 1
; LDSByteSize: 4800 bytes/workgroup (compile time only)
; SGPRBlocks: 0
; VGPRBlocks: 5
; NumSGPRsForWavesPerEU: 107
; NumVGPRsForWavesPerEU: 93
; NamedBarCnt: 0
; Occupancy: 10
; WaveLimiterHint : 1
; COMPUTE_PGM_RSRC2:SCRATCH_EN: 0
; COMPUTE_PGM_RSRC2:USER_SGPR: 2
; COMPUTE_PGM_RSRC2:TRAP_HANDLER: 0
; COMPUTE_PGM_RSRC2:TGID_X_EN: 1
; COMPUTE_PGM_RSRC2:TGID_Y_EN: 0
; COMPUTE_PGM_RSRC2:TGID_Z_EN: 1
; COMPUTE_PGM_RSRC2:TIDIG_COMP_CNT: 1
	.section	.text._ZL36rocblas_hemvn_kernel_lower_block_sumILi64EiPKfPKPffEviT1_lS5_lT2_lT0_lPT3_i,"axG",@progbits,_ZL36rocblas_hemvn_kernel_lower_block_sumILi64EiPKfPKPffEviT1_lS5_lT2_lT0_lPT3_i,comdat
	.globl	_ZL36rocblas_hemvn_kernel_lower_block_sumILi64EiPKfPKPffEviT1_lS5_lT2_lT0_lPT3_i ; -- Begin function _ZL36rocblas_hemvn_kernel_lower_block_sumILi64EiPKfPKPffEviT1_lS5_lT2_lT0_lPT3_i
	.p2align	8
	.type	_ZL36rocblas_hemvn_kernel_lower_block_sumILi64EiPKfPKPffEviT1_lS5_lT2_lT0_lPT3_i,@function
_ZL36rocblas_hemvn_kernel_lower_block_sumILi64EiPKfPKPffEviT1_lS5_lT2_lT0_lPT3_i: ; @_ZL36rocblas_hemvn_kernel_lower_block_sumILi64EiPKfPKPffEviT1_lS5_lT2_lT0_lPT3_i
; %bb.0:
	s_load_b32 s3, s[0:1], 0x50
	s_bfe_u32 s2, ttmp6, 0x40014
	s_lshr_b32 s4, ttmp7, 16
	s_add_co_i32 s2, s2, 1
	s_bfe_u32 s6, ttmp6, 0x40008
	s_mul_i32 s5, s4, s2
	s_getreg_b32 s2, hwreg(HW_REG_IB_STS2, 6, 4)
	s_add_co_i32 s6, s6, s5
	s_cmp_eq_u32 s2, 0
	s_mov_b32 s17, 0
	s_cselect_b32 s16, s4, s6
	s_wait_kmcnt 0x0
	s_cmp_ge_u32 s16, s3
	s_cbranch_scc1 .LBB150_25
; %bb.1:
	s_clause 0x1
	s_load_b32 s20, s[0:1], 0x0
	s_load_b32 s21, s[0:1], 0x38
	s_bfe_u32 s4, ttmp6, 0x4000c
	s_and_b32 s5, ttmp6, 15
	s_add_co_i32 s4, s4, 1
	s_clause 0x1
	s_load_b64 s[18:19], s[0:1], 0x48
	s_load_b128 s[12:15], s[0:1], 0x28
	s_mul_i32 s4, ttmp9, s4
	v_mov_b32_e32 v10, 0
	s_add_co_i32 s5, s5, s4
	s_cmp_eq_u32 s2, 0
	s_cselect_b32 s24, ttmp9, s5
	s_load_b256 s[4:11], s[0:1], 0x8
	v_lshl_or_b32 v1, s24, 6, v0
	s_wait_kmcnt 0x0
	s_delay_alu instid0(VALU_DEP_1) | instskip(SKIP_3) | instid1(SALU_CYCLE_1)
	v_mad_u32 v2, s20, s24, v1
	v_mul_lo_u32 v0, s21, v1
	v_cmp_gt_i32_e64 s2, s20, v1
	s_ashr_i32 s21, s20, 31
	s_lshl_b64 s[20:21], s[20:21], 2
	s_lshl_b64 s[14:15], s[14:15], 2
	v_dual_ashrrev_i32 v3, 31, v2 :: v_dual_ashrrev_i32 v1, 31, v0
	s_delay_alu instid0(VALU_DEP_1)
	v_lshl_add_u64 v[2:3], v[2:3], 2, s[18:19]
	s_add_nc_u64 s[18:19], s[0:1], 0x58
	s_branch .LBB150_4
.LBB150_2:                              ;   in Loop: Header=BB150_4 Depth=1
	s_wait_xcnt 0x0
	s_or_b32 exec_lo, exec_lo, s22
.LBB150_3:                              ;   in Loop: Header=BB150_4 Depth=1
	s_add_co_i32 s16, s16, 0x10000
	s_delay_alu instid0(SALU_CYCLE_1)
	s_cmp_lt_u32 s16, s3
	s_cbranch_scc0 .LBB150_25
.LBB150_4:                              ; =>This Loop Header: Depth=1
                                        ;     Child Loop BB150_16 Depth 2
	s_mul_u64 s[0:1], s[6:7], s[16:17]
	s_wait_xcnt 0x0
	s_mul_u64 s[22:23], s[10:11], s[16:17]
	s_lshl_b64 s[0:1], s[0:1], 2
	s_lshl_b64 s[22:23], s[22:23], 2
	s_add_nc_u64 s[0:1], s[4:5], s[0:1]
	s_add_nc_u64 s[22:23], s[8:9], s[22:23]
	s_clause 0x1
	global_load_b32 v4, v10, s[0:1]
	global_load_b32 v5, v10, s[22:23]
	s_wait_loadcnt 0x1
	v_cmp_eq_f32_e32 vcc_lo, 0, v4
	s_wait_loadcnt 0x0
	s_wait_xcnt 0x1
	v_cmp_eq_f32_e64 s0, 1.0, v5
	s_and_b32 s0, vcc_lo, s0
	s_delay_alu instid0(SALU_CYCLE_1)
	s_and_b32 vcc_lo, exec_lo, s0
	s_cbranch_vccnz .LBB150_3
; %bb.5:                                ;   in Loop: Header=BB150_4 Depth=1
	s_lshl_b64 s[0:1], s[16:17], 3
	v_cmp_neq_f32_e32 vcc_lo, 0, v4
	s_add_nc_u64 s[0:1], s[12:13], s[0:1]
	s_load_b64 s[0:1], s[0:1], 0x0
	s_wait_kmcnt 0x0
	s_wait_xcnt 0x0
	s_add_nc_u64 s[0:1], s[0:1], s[14:15]
	s_cbranch_vccnz .LBB150_9
; %bb.6:                                ;   in Loop: Header=BB150_4 Depth=1
	s_mov_b32 s22, 0
	s_mov_b32 s25, 0
                                        ; implicit-def: $vgpr7
	s_and_saveexec_b32 s23, s2
	s_cbranch_execz .LBB150_10
; %bb.7:                                ;   in Loop: Header=BB150_4 Depth=1
	v_cmp_eq_f32_e32 vcc_lo, 0, v5
	s_cbranch_vccnz .LBB150_11
; %bb.8:                                ;   in Loop: Header=BB150_4 Depth=1
	v_lshl_add_u64 v[6:7], v[0:1], 2, s[0:1]
	flat_load_b32 v6, v[6:7]
	s_wait_loadcnt_dscnt 0x0
	s_wait_xcnt 0x0
	v_mul_f32_e32 v7, v5, v6
	s_branch .LBB150_12
.LBB150_9:                              ;   in Loop: Header=BB150_4 Depth=1
	s_mov_b32 s25, 0
                                        ; implicit-def: $vgpr7
	s_cbranch_execnz .LBB150_13
	s_branch .LBB150_22
.LBB150_10:                             ;   in Loop: Header=BB150_4 Depth=1
	s_or_b32 exec_lo, exec_lo, s23
	s_delay_alu instid0(SALU_CYCLE_1)
	s_and_b32 vcc_lo, exec_lo, s22
	s_cbranch_vccnz .LBB150_13
	s_branch .LBB150_22
.LBB150_11:                             ;   in Loop: Header=BB150_4 Depth=1
	v_mov_b32_e32 v7, 0
.LBB150_12:                             ;   in Loop: Header=BB150_4 Depth=1
	s_mov_b32 s25, exec_lo
	s_or_b32 exec_lo, exec_lo, s23
	s_delay_alu instid0(SALU_CYCLE_1)
	s_and_b32 vcc_lo, exec_lo, s22
	s_cbranch_vccz .LBB150_22
.LBB150_13:                             ;   in Loop: Header=BB150_4 Depth=1
                                        ; implicit-def: $vgpr7
	s_and_saveexec_b32 s26, s2
	s_cbranch_execz .LBB150_21
; %bb.14:                               ;   in Loop: Header=BB150_4 Depth=1
	s_load_b32 s22, s[18:19], 0x0
	v_mov_b32_e32 v6, 0
	s_wait_kmcnt 0x0
	s_cmp_ge_i32 s24, s22
	s_cbranch_scc1 .LBB150_17
; %bb.15:                               ;   in Loop: Header=BB150_4 Depth=1
	s_mov_b32 s23, s17
	v_mov_b32_e32 v6, 0
	s_mul_u64 s[28:29], s[20:21], s[22:23]
	s_mov_b32 s23, s24
	v_mad_nc_u64_u32 v[8:9], s28, s16, v[2:3]
	s_delay_alu instid0(VALU_DEP_1)
	v_mad_u32 v9, s29, s16, v9
.LBB150_16:                             ;   Parent Loop BB150_4 Depth=1
                                        ; =>  This Inner Loop Header: Depth=2
	global_load_b32 v7, v[8:9], off
	s_wait_xcnt 0x0
	v_add_nc_u64_e32 v[8:9], s[20:21], v[8:9]
	s_add_co_i32 s23, s23, 1
	s_delay_alu instid0(SALU_CYCLE_1)
	s_cmp_ge_i32 s23, s22
	s_wait_loadcnt 0x0
	v_add_f32_e32 v6, v6, v7
	s_cbranch_scc0 .LBB150_16
.LBB150_17:                             ;   in Loop: Header=BB150_4 Depth=1
	v_cmp_eq_f32_e32 vcc_lo, 0, v5
	s_cbranch_vccz .LBB150_24
; %bb.18:                               ;   in Loop: Header=BB150_4 Depth=1
	s_delay_alu instid0(VALU_DEP_2)
	v_mul_f32_e32 v7, v4, v6
	s_cbranch_execnz .LBB150_20
.LBB150_19:                             ;   in Loop: Header=BB150_4 Depth=1
	v_lshl_add_u64 v[8:9], v[0:1], 2, s[0:1]
	flat_load_b32 v7, v[8:9]
	s_wait_loadcnt_dscnt 0x0
	v_pk_mul_f32 v[4:5], v[4:5], v[6:7]
	s_delay_alu instid0(VALU_DEP_1)
	v_add_f32_e32 v7, v4, v5
.LBB150_20:                             ;   in Loop: Header=BB150_4 Depth=1
	s_or_b32 s25, s25, exec_lo
.LBB150_21:                             ;   in Loop: Header=BB150_4 Depth=1
	s_wait_xcnt 0x0
	s_or_b32 exec_lo, exec_lo, s26
.LBB150_22:                             ;   in Loop: Header=BB150_4 Depth=1
	s_and_saveexec_b32 s22, s25
	s_cbranch_execz .LBB150_2
; %bb.23:                               ;   in Loop: Header=BB150_4 Depth=1
	v_lshl_add_u64 v[4:5], v[0:1], 2, s[0:1]
	flat_store_b32 v[4:5], v7
	s_branch .LBB150_2
.LBB150_24:                             ;   in Loop: Header=BB150_4 Depth=1
                                        ; implicit-def: $vgpr7
	s_branch .LBB150_19
.LBB150_25:
	s_endpgm
	.section	.rodata,"a",@progbits
	.p2align	6, 0x0
	.amdhsa_kernel _ZL36rocblas_hemvn_kernel_lower_block_sumILi64EiPKfPKPffEviT1_lS5_lT2_lT0_lPT3_i
		.amdhsa_group_segment_fixed_size 0
		.amdhsa_private_segment_fixed_size 0
		.amdhsa_kernarg_size 344
		.amdhsa_user_sgpr_count 2
		.amdhsa_user_sgpr_dispatch_ptr 0
		.amdhsa_user_sgpr_queue_ptr 0
		.amdhsa_user_sgpr_kernarg_segment_ptr 1
		.amdhsa_user_sgpr_dispatch_id 0
		.amdhsa_user_sgpr_kernarg_preload_length 0
		.amdhsa_user_sgpr_kernarg_preload_offset 0
		.amdhsa_user_sgpr_private_segment_size 0
		.amdhsa_wavefront_size32 1
		.amdhsa_uses_dynamic_stack 0
		.amdhsa_enable_private_segment 0
		.amdhsa_system_sgpr_workgroup_id_x 1
		.amdhsa_system_sgpr_workgroup_id_y 0
		.amdhsa_system_sgpr_workgroup_id_z 1
		.amdhsa_system_sgpr_workgroup_info 0
		.amdhsa_system_vgpr_workitem_id 0
		.amdhsa_next_free_vgpr 11
		.amdhsa_next_free_sgpr 30
		.amdhsa_named_barrier_count 0
		.amdhsa_reserve_vcc 1
		.amdhsa_float_round_mode_32 0
		.amdhsa_float_round_mode_16_64 0
		.amdhsa_float_denorm_mode_32 3
		.amdhsa_float_denorm_mode_16_64 3
		.amdhsa_fp16_overflow 0
		.amdhsa_memory_ordered 1
		.amdhsa_forward_progress 1
		.amdhsa_inst_pref_size 6
		.amdhsa_round_robin_scheduling 0
		.amdhsa_exception_fp_ieee_invalid_op 0
		.amdhsa_exception_fp_denorm_src 0
		.amdhsa_exception_fp_ieee_div_zero 0
		.amdhsa_exception_fp_ieee_overflow 0
		.amdhsa_exception_fp_ieee_underflow 0
		.amdhsa_exception_fp_ieee_inexact 0
		.amdhsa_exception_int_div_zero 0
	.end_amdhsa_kernel
	.section	.text._ZL36rocblas_hemvn_kernel_lower_block_sumILi64EiPKfPKPffEviT1_lS5_lT2_lT0_lPT3_i,"axG",@progbits,_ZL36rocblas_hemvn_kernel_lower_block_sumILi64EiPKfPKPffEviT1_lS5_lT2_lT0_lPT3_i,comdat
.Lfunc_end150:
	.size	_ZL36rocblas_hemvn_kernel_lower_block_sumILi64EiPKfPKPffEviT1_lS5_lT2_lT0_lPT3_i, .Lfunc_end150-_ZL36rocblas_hemvn_kernel_lower_block_sumILi64EiPKfPKPffEviT1_lS5_lT2_lT0_lPT3_i
                                        ; -- End function
	.set _ZL36rocblas_hemvn_kernel_lower_block_sumILi64EiPKfPKPffEviT1_lS5_lT2_lT0_lPT3_i.num_vgpr, 11
	.set _ZL36rocblas_hemvn_kernel_lower_block_sumILi64EiPKfPKPffEviT1_lS5_lT2_lT0_lPT3_i.num_agpr, 0
	.set _ZL36rocblas_hemvn_kernel_lower_block_sumILi64EiPKfPKPffEviT1_lS5_lT2_lT0_lPT3_i.numbered_sgpr, 30
	.set _ZL36rocblas_hemvn_kernel_lower_block_sumILi64EiPKfPKPffEviT1_lS5_lT2_lT0_lPT3_i.num_named_barrier, 0
	.set _ZL36rocblas_hemvn_kernel_lower_block_sumILi64EiPKfPKPffEviT1_lS5_lT2_lT0_lPT3_i.private_seg_size, 0
	.set _ZL36rocblas_hemvn_kernel_lower_block_sumILi64EiPKfPKPffEviT1_lS5_lT2_lT0_lPT3_i.uses_vcc, 1
	.set _ZL36rocblas_hemvn_kernel_lower_block_sumILi64EiPKfPKPffEviT1_lS5_lT2_lT0_lPT3_i.uses_flat_scratch, 0
	.set _ZL36rocblas_hemvn_kernel_lower_block_sumILi64EiPKfPKPffEviT1_lS5_lT2_lT0_lPT3_i.has_dyn_sized_stack, 0
	.set _ZL36rocblas_hemvn_kernel_lower_block_sumILi64EiPKfPKPffEviT1_lS5_lT2_lT0_lPT3_i.has_recursion, 0
	.set _ZL36rocblas_hemvn_kernel_lower_block_sumILi64EiPKfPKPffEviT1_lS5_lT2_lT0_lPT3_i.has_indirect_call, 0
	.section	.AMDGPU.csdata,"",@progbits
; Kernel info:
; codeLenInByte = 740
; TotalNumSgprs: 32
; NumVgprs: 11
; ScratchSize: 0
; MemoryBound: 0
; FloatMode: 240
; IeeeMode: 1
; LDSByteSize: 0 bytes/workgroup (compile time only)
; SGPRBlocks: 0
; VGPRBlocks: 0
; NumSGPRsForWavesPerEU: 32
; NumVGPRsForWavesPerEU: 11
; NamedBarCnt: 0
; Occupancy: 16
; WaveLimiterHint : 1
; COMPUTE_PGM_RSRC2:SCRATCH_EN: 0
; COMPUTE_PGM_RSRC2:USER_SGPR: 2
; COMPUTE_PGM_RSRC2:TRAP_HANDLER: 0
; COMPUTE_PGM_RSRC2:TGID_X_EN: 1
; COMPUTE_PGM_RSRC2:TGID_Y_EN: 0
; COMPUTE_PGM_RSRC2:TGID_Z_EN: 1
; COMPUTE_PGM_RSRC2:TIDIG_COMP_CNT: 0
	.section	.text._ZL26rocblas_hemvn_kernel_lowerILb0ELi64ELi4ELi33ELi32ELi16ElfPKPKfPfEviT6_lT7_lT5_lS6_lS7_lS5_lT8_i,"axG",@progbits,_ZL26rocblas_hemvn_kernel_lowerILb0ELi64ELi4ELi33ELi32ELi16ElfPKPKfPfEviT6_lT7_lT5_lS6_lS7_lS5_lT8_i,comdat
	.globl	_ZL26rocblas_hemvn_kernel_lowerILb0ELi64ELi4ELi33ELi32ELi16ElfPKPKfPfEviT6_lT7_lT5_lS6_lS7_lS5_lT8_i ; -- Begin function _ZL26rocblas_hemvn_kernel_lowerILb0ELi64ELi4ELi33ELi32ELi16ElfPKPKfPfEviT6_lT7_lT5_lS6_lS7_lS5_lT8_i
	.p2align	8
	.type	_ZL26rocblas_hemvn_kernel_lowerILb0ELi64ELi4ELi33ELi32ELi16ElfPKPKfPfEviT6_lT7_lT5_lS6_lS7_lS5_lT8_i,@function
_ZL26rocblas_hemvn_kernel_lowerILb0ELi64ELi4ELi33ELi32ELi16ElfPKPKfPfEviT6_lT7_lT5_lS6_lS7_lS5_lT8_i: ; @_ZL26rocblas_hemvn_kernel_lowerILb0ELi64ELi4ELi33ELi32ELi16ElfPKPKfPfEviT6_lT7_lT5_lS6_lS7_lS5_lT8_i
; %bb.0:
	s_clause 0x1
	s_load_b64 s[2:3], s[0:1], 0x7c
	s_load_b32 s19, s[0:1], 0x68
	s_bfe_u32 s4, ttmp6, 0x40014
	s_lshr_b32 s5, ttmp7, 16
	s_add_co_i32 s4, s4, 1
	s_bfe_u32 s7, ttmp6, 0x40008
	s_mul_i32 s4, s5, s4
	s_getreg_b32 s6, hwreg(HW_REG_IB_STS2, 6, 4)
	s_add_co_i32 s7, s7, s4
	s_mov_b32 s31, 0
	s_wait_kmcnt 0x0
	s_lshr_b32 s4, s2, 16
	s_and_b32 s2, s2, 0xffff
	s_and_b32 s3, s3, 0xffff
	s_mul_i32 s2, s4, s2
	s_cmp_eq_u32 s6, 0
	s_mul_i32 s2, s2, s3
	s_cselect_b32 s28, s5, s7
	s_cmp_lg_u32 s2, 0x100
	s_cselect_b32 s2, -1, 0
	s_cmp_ge_u32 s28, s19
	s_cselect_b32 s3, -1, 0
	s_delay_alu instid0(SALU_CYCLE_1) | instskip(NEXT) | instid1(SALU_CYCLE_1)
	s_or_b32 s2, s2, s3
	s_and_b32 vcc_lo, exec_lo, s2
	s_cbranch_vccnz .LBB151_81
; %bb.1:
	s_clause 0x6
	s_load_b64 s[2:3], s[0:1], 0x0
	s_load_b128 s[20:23], s[0:1], 0x10
	s_load_b64 s[86:87], s[0:1], 0x20
	s_load_b128 s[24:27], s[0:1], 0x30
	s_load_b64 s[34:35], s[0:1], 0x40
	s_load_b32 s10, s[0:1], 0x50
	s_load_b64 s[4:5], s[0:1], 0x60
	s_bfe_u32 s7, ttmp6, 0x4000c
	s_add_nc_u64 s[8:9], s[0:1], 0x70
	s_add_co_i32 s7, s7, 1
	s_wait_xcnt 0x0
	s_and_b32 s0, ttmp6, 15
	s_mul_i32 s1, ttmp9, s7
	v_and_b32_e32 v16, 0x3ff, v0
	s_add_co_i32 s0, s0, s1
	s_cmp_eq_u32 s6, 0
	v_bfe_u32 v1, v0, 10, 10
	s_cselect_b32 s33, ttmp9, s0
	v_dual_mov_b32 v21, 0 :: v_dual_bitop2_b32 v18, 31, v0 bitop3:0x40
	v_lshlrev_b32_e32 v17, 2, v16
	s_delay_alu instid0(VALU_DEP_3) | instskip(SKIP_1) | instid1(VALU_DEP_3)
	v_lshl_add_u32 v2, v1, 6, v16
	s_load_b32 s30, s[8:9], 0x0
	v_mul_u32_u24_e32 v15, 33, v18
	v_mov_b32_e32 v19, v21
	s_wait_kmcnt 0x0
	s_cmp_eq_f32 s3, 0
	s_mul_i32 s6, s2, s33
	v_mad_u32_u24 v46, 0x430, v1, v17
	v_cmp_eq_u32_e64 s0, 0, v1
	s_cselect_b32 s96, -1, 0
	s_cmp_neq_f32 s3, 0
	v_sub_nc_u64_e32 v[28:29], 0, v[18:19]
	v_add_nc_u32_e32 v39, 0x11c0, v17
	v_add_nc_u32_e32 v44, 0x10c0, v17
	s_cselect_b32 s1, -1, 0
	s_cmp_neq_f32 s10, 1.0
	v_cmp_gt_u32_e64 s10, 32, v2
	v_lshl_add_u32 v45, v1, 4, 0x10c0
	v_cmp_gt_u32_e64 s18, 64, v2
	s_cselect_b32 s7, -1, 0
	s_lshl_b32 s92, s33, 6
	s_delay_alu instid0(SALU_CYCLE_1) | instskip(SKIP_3) | instid1(VALU_DEP_2)
	v_dual_lshrrev_b32 v3, 5, v2 :: v_dual_add_nc_u32 v22, s92, v16
	v_lshlrev_b32_e32 v4, 2, v18
	s_ashr_i32 s3, s2, 31
	s_or_b32 s97, s1, s7
	v_mad_nc_u64_u32 v[24:25], s86, v3, v[18:19]
	v_dual_add_nc_u32 v7, 16, v3 :: v_dual_add_nc_u32 v8, 24, v3
	v_lshlrev_b32_e32 v9, 2, v3
	v_lshl_or_b32 v19, v18, 7, v4
	v_lshlrev_b32_e32 v10, 4, v3
	s_lshr_b32 s8, s3, 26
	v_dual_ashrrev_i32 v23, 31, v22 :: v_dual_add_nc_u32 v6, 8, v3
	s_delay_alu instid0(VALU_DEP_2)
	v_dual_add_nc_u32 v40, v19, v10 :: v_dual_bitop2_b32 v11, 1, v9 bitop3:0x54
	v_or_b32_e32 v13, 2, v9
	s_add_co_i32 s8, s2, s8
	v_lshlrev_b32_e32 v20, 2, v1
	s_and_not1_b32 s8, s8, 63
	v_mul_u64_e32 v[26:27], s[34:35], v[22:23]
	s_sub_co_i32 s1, s2, s8
	v_cmp_lt_u32_e64 s8, v13, v18
	v_or_b32_e32 v13, 32, v18
	v_mul_u64_e32 v[32:33], s[86:87], v[20:21]
	s_add_co_i32 s9, s30, -1
	v_lshl_add_u32 v42, v15, 2, v9
	s_cmp_eq_u32 s33, s9
	v_mad_u32 v25, s87, v3, v25
	s_cselect_b32 s36, s1, 0
	s_mul_u64 s[38:39], s[30:31], s[2:3]
	v_cmp_gt_i32_e32 vcc_lo, s36, v16
	s_cmp_eq_u32 s36, 0
	v_mul_u32_u24_e32 v5, 0x84, v3
	s_cselect_b32 s1, -1, 0
	s_ashr_i32 s7, s6, 31
	s_or_b32 s98, s1, vcc_lo
	s_lshl_b64 s[6:7], s[6:7], 2
	s_ashr_i32 s93, s92, 31
	s_cmp_lg_u32 s36, 0
	s_add_nc_u64 s[40:41], s[4:5], s[6:7]
	s_cselect_b32 s17, -1, 0
	s_sub_co_i32 s15, s36, 32
	v_cmp_gt_i32_e64 s2, s36, v3
	v_cmp_gt_i32_e64 s3, s36, v6
	;; [unrolled: 1-line block ×3, first 2 shown]
	v_mul_u32_u24_e32 v12, 0x210, v3
	v_or_b32_e32 v14, 3, v9
	v_add_nc_u32_e32 v41, 0x11c0, v10
	v_cmp_gt_i32_e64 s12, s15, v3
	v_cmp_gt_i32_e64 s13, s15, v6
	;; [unrolled: 1-line block ×3, first 2 shown]
	v_cmp_eq_u32_e64 s16, 1, v3
	v_mul_i32_i24_e32 v6, -12, v3
	v_mad_u32_u24 v43, v3, 12, v42
	v_dual_lshrrev_b32 v7, 2, v2 :: v_dual_bitop2_b32 v3, 15, v0 bitop3:0x40
	s_delay_alu instid0(VALU_DEP_3)
	v_dual_add_nc_u32 v52, v41, v6 :: v_dual_bitop2_b32 v0, 48, v0 bitop3:0x40
	v_cmp_le_i32_e32 vcc_lo, s36, v16
	v_cmp_gt_i32_e64 s5, s36, v8
	v_cmp_lt_u32_e64 s7, v11, v18
	v_mul_u32_u24_e32 v11, 0x84, v11
	v_cmp_gt_i32_e64 s11, s36, v13
	v_cmp_gt_i32_e64 s15, s15, v8
	v_and_b32_e32 v7, 0x1ffc, v7
	v_lshlrev_b32_e32 v0, 2, v0
	v_mul_u32_u24_e32 v8, 0x10c, v3
	v_dual_add_nc_u32 v55, v4, v12 :: v_dual_bitop2_b32 v10, 60, v17 bitop3:0x54
	v_and_b32_e32 v13, 0x7ff0, v2
	s_and_b32 s17, s17, vcc_lo
	v_sub_nc_u64_e32 v[30:31], 0, v[24:25]
	v_cndmask_b32_e64 v38, 0, 1, s1
	s_lshl_b64 s[44:45], s[86:87], 5
	s_lshl_b64 s[46:47], s[86:87], 6
	v_cmp_gt_i32_e64 s1, s36, v18
	s_ashr_i32 s37, s36, 31
	v_cmp_lt_u32_e64 s6, v9, v18
	v_cmp_lt_u32_e64 s9, v14, v18
	s_xor_b32 s29, s17, -1
	v_mad_u32_u24 v47, 0x10c, v3, v7
	v_mad_u32_u24 v48, 0x10c, v3, v0
	v_mad_u32_u24 v49, 0x10c, v3, v10
	v_mad_i32_i24 v50, 0xfffffcdc, v1, v46
	v_add_nc_u32_e32 v51, 0x11c0, v9
	v_add_nc_u32_e32 v53, v8, v13
	v_dual_add_nc_u32 v54, v4, v5 :: v_dual_add_nc_u32 v56, v4, v11
	s_mul_u64 s[42:43], s[86:87], s[92:93]
	s_mul_u64 s[52:53], s[34:35], s[92:93]
	s_cmp_gt_i32 s33, 0
	s_mul_u64 s[48:49], s[86:87], 0x60
	s_sub_nc_u64 s[50:51], 0, s[44:45]
	s_sub_nc_u64 s[52:53], 0, s[52:53]
	s_cselect_b32 s99, -1, 0
	s_sub_nc_u64 s[54:55], 0, s[42:43]
	s_and_b32 s100, s0, s29
	s_sub_nc_u64 s[56:57], 0, s[36:37]
	s_lshl_b64 s[58:59], s[86:87], 2
	s_lshl_b64 s[60:61], s[86:87], 3
	s_lshl_b64 s[62:63], s[86:87], 8
	s_mul_u64 s[64:65], s[86:87], 12
	s_mul_u64 s[66:67], s[86:87], 0x48
	;; [unrolled: 1-line block ×3, first 2 shown]
	s_lshl_b64 s[70:71], s[86:87], 7
	s_mul_u64 s[72:73], s[86:87], 0x88
	s_mul_u64 s[74:75], s[86:87], 0x8c
	;; [unrolled: 1-line block ×8, first 2 shown]
	s_mov_b64 s[88:89], 0xffffffffffffff7c
	s_mov_b64 s[90:91], 0xffffffffffffff80
	s_lshl_b64 s[26:27], s[26:27], 2
	s_lshl_b64 s[22:23], s[22:23], 2
	;; [unrolled: 1-line block ×3, first 2 shown]
	s_branch .LBB151_4
.LBB151_2:                              ;   in Loop: Header=BB151_4 Depth=1
	s_wait_xcnt 0x0
	s_or_b32 exec_lo, exec_lo, s29
.LBB151_3:                              ;   in Loop: Header=BB151_4 Depth=1
	s_add_co_i32 s28, s28, 0x10000
	s_delay_alu instid0(SALU_CYCLE_1)
	s_cmp_lt_u32 s28, s19
	s_cbranch_scc0 .LBB151_81
.LBB151_4:                              ; =>This Loop Header: Depth=1
                                        ;     Child Loop BB151_69 Depth 2
	s_and_not1_b32 vcc_lo, exec_lo, s97
	s_cbranch_vccnz .LBB151_3
; %bb.5:                                ;   in Loop: Header=BB151_4 Depth=1
	s_and_b32 vcc_lo, exec_lo, s96
	s_cbranch_vccz .LBB151_7
; %bb.6:                                ;   in Loop: Header=BB151_4 Depth=1
	s_cbranch_execnz .LBB151_3
	s_branch .LBB151_8
.LBB151_7:                              ;   in Loop: Header=BB151_4 Depth=1
.LBB151_8:                              ;   in Loop: Header=BB151_4 Depth=1
	v_mov_b32_e32 v0, s28
	s_clause 0x1
	global_load_b64 v[2:3], v0, s[24:25] scale_offset
	global_load_b64 v[0:1], v0, s[20:21] scale_offset
	s_wait_loadcnt 0x1
	v_add_nc_u64_e32 v[2:3], s[26:27], v[2:3]
	s_delay_alu instid0(VALU_DEP_1)
	v_lshl_add_u64 v[4:5], v[26:27], 2, v[2:3]
	s_wait_xcnt 0x0
	s_and_saveexec_b32 s29, s0
	s_cbranch_execz .LBB151_12
; %bb.9:                                ;   in Loop: Header=BB151_4 Depth=1
	v_mov_b32_e32 v2, 0
	s_and_saveexec_b32 s30, s98
	s_cbranch_execz .LBB151_11
; %bb.10:                               ;   in Loop: Header=BB151_4 Depth=1
	flat_load_b32 v2, v[4:5]
.LBB151_11:                             ;   in Loop: Header=BB151_4 Depth=1
	s_wait_xcnt 0x0
	s_or_b32 exec_lo, exec_lo, s30
	s_wait_loadcnt_dscnt 0x0
	ds_store_b32 v39, v2
.LBB151_12:                             ;   in Loop: Header=BB151_4 Depth=1
	s_or_b32 exec_lo, exec_lo, s29
	s_wait_loadcnt 0x0
	v_add_nc_u64_e32 v[0:1], s[22:23], v[0:1]
	v_cmp_ne_u32_e32 vcc_lo, 1, v38
	s_mov_b32 s29, s31
	s_mov_b32 s30, -1
	s_delay_alu instid0(VALU_DEP_2) | instskip(NEXT) | instid1(VALU_DEP_1)
	v_add_nc_u64_e32 v[0:1], s[92:93], v[0:1]
	v_lshl_add_u64 v[0:1], v[24:25], 2, v[0:1]
	s_delay_alu instid0(VALU_DEP_1)
	v_lshl_add_u64 v[0:1], s[42:43], 2, v[0:1]
	s_cbranch_vccnz .LBB151_14
; %bb.13:                               ;   in Loop: Header=BB151_4 Depth=1
	s_delay_alu instid0(VALU_DEP_1) | instskip(SKIP_1) | instid1(VALU_DEP_1)
	v_add_nc_u64_e32 v[2:3], s[44:45], v[0:1]
	s_mov_b32 s30, 0
	v_add_nc_u64_e32 v[6:7], s[44:45], v[2:3]
	s_delay_alu instid0(VALU_DEP_1)
	v_add_nc_u64_e32 v[8:9], s[44:45], v[6:7]
	s_clause 0x3
	flat_load_b32 v10, v[0:1]
	flat_load_b32 v2, v[2:3]
	;; [unrolled: 1-line block ×4, first 2 shown]
	s_wait_loadcnt_dscnt 0x303
	ds_store_b32 v54, v10
	s_wait_loadcnt_dscnt 0x203
	ds_store_b32 v54, v2 offset:1056
	s_wait_loadcnt_dscnt 0x103
	ds_store_b32 v54, v3 offset:2112
	;; [unrolled: 2-line block ×3, first 2 shown]
.LBB151_14:                             ;   in Loop: Header=BB151_4 Depth=1
	s_and_not1_b32 vcc_lo, exec_lo, s30
	s_cbranch_vccnz .LBB151_24
; %bb.15:                               ;   in Loop: Header=BB151_4 Depth=1
	s_delay_alu instid0(VALU_DEP_1) | instskip(SKIP_1) | instid1(VALU_DEP_2)
	v_lshl_add_u64 v[2:3], v[28:29], 2, v[0:1]
	v_mov_b32_e32 v6, 0
	v_lshl_add_u64 v[2:3], s[36:37], 2, v[2:3]
	s_delay_alu instid0(VALU_DEP_1) | instskip(NEXT) | instid1(VALU_DEP_1)
	v_add_nc_u64_e32 v[2:3], -4, v[2:3]
	v_dual_mov_b32 v7, 0 :: v_dual_cndmask_b32 v3, v3, v1, s1
	s_delay_alu instid0(VALU_DEP_2)
	v_cndmask_b32_e64 v2, v2, v0, s1
	s_wait_xcnt 0x0
	s_and_saveexec_b32 s30, s2
	s_cbranch_execz .LBB151_17
; %bb.16:                               ;   in Loop: Header=BB151_4 Depth=1
	flat_load_b32 v6, v[2:3]
.LBB151_17:                             ;   in Loop: Header=BB151_4 Depth=1
	s_wait_xcnt 0x0
	s_or_b32 exec_lo, exec_lo, s30
	s_wait_loadcnt_dscnt 0x0
	ds_store_b32 v54, v6
	s_and_saveexec_b32 s30, s3
	s_cbranch_execz .LBB151_19
; %bb.18:                               ;   in Loop: Header=BB151_4 Depth=1
	v_add_nc_u64_e32 v[6:7], s[44:45], v[2:3]
	flat_load_b32 v7, v[6:7]
.LBB151_19:                             ;   in Loop: Header=BB151_4 Depth=1
	s_wait_xcnt 0x0
	s_or_b32 exec_lo, exec_lo, s30
	v_dual_mov_b32 v6, 0 :: v_dual_mov_b32 v8, 0
	s_wait_loadcnt_dscnt 0x0
	ds_store_b32 v54, v7 offset:1056
	s_and_saveexec_b32 s30, s4
	s_cbranch_execz .LBB151_21
; %bb.20:                               ;   in Loop: Header=BB151_4 Depth=1
	v_add_nc_u64_e32 v[8:9], s[46:47], v[2:3]
	flat_load_b32 v8, v[8:9]
.LBB151_21:                             ;   in Loop: Header=BB151_4 Depth=1
	s_wait_xcnt 0x0
	s_or_b32 exec_lo, exec_lo, s30
	s_wait_loadcnt_dscnt 0x0
	ds_store_b32 v54, v8 offset:2112
	s_and_saveexec_b32 s30, s5
	s_cbranch_execz .LBB151_23
; %bb.22:                               ;   in Loop: Header=BB151_4 Depth=1
	v_add_nc_u64_e32 v[6:7], s[48:49], v[2:3]
	flat_load_b32 v6, v[6:7]
.LBB151_23:                             ;   in Loop: Header=BB151_4 Depth=1
	s_wait_xcnt 0x0
	s_or_b32 exec_lo, exec_lo, s30
	v_lshlrev_b32_e32 v20, 2, v18
	s_wait_loadcnt_dscnt 0x0
	ds_store_b32 v54, v6 offset:3168
	v_add_nc_u64_e32 v[2:3], v[2:3], v[20:21]
	s_delay_alu instid0(VALU_DEP_1) | instskip(NEXT) | instid1(VALU_DEP_1)
	v_lshl_add_u64 v[2:3], s[56:57], 2, v[2:3]
	v_add_nc_u64_e32 v[2:3], 4, v[2:3]
	s_delay_alu instid0(VALU_DEP_1)
	v_dual_cndmask_b32 v1, v3, v1, s1 :: v_dual_cndmask_b32 v0, v2, v0, s1
.LBB151_24:                             ;   in Loop: Header=BB151_4 Depth=1
	s_wait_dscnt 0x0
	s_barrier_signal -1
	s_barrier_wait -1
	s_wait_xcnt 0x0
	s_and_saveexec_b32 s30, s6
	s_cbranch_execnz .LBB151_75
; %bb.25:                               ;   in Loop: Header=BB151_4 Depth=1
	s_or_b32 exec_lo, exec_lo, s30
	s_and_saveexec_b32 s30, s7
	s_cbranch_execnz .LBB151_76
.LBB151_26:                             ;   in Loop: Header=BB151_4 Depth=1
	s_or_b32 exec_lo, exec_lo, s30
	s_and_saveexec_b32 s30, s8
	s_cbranch_execnz .LBB151_77
.LBB151_27:                             ;   in Loop: Header=BB151_4 Depth=1
	s_or_b32 exec_lo, exec_lo, s30
	s_and_saveexec_b32 s30, s9
	s_cbranch_execz .LBB151_29
.LBB151_28:                             ;   in Loop: Header=BB151_4 Depth=1
	ds_load_b32 v2, v56 offset:264
	s_wait_dscnt 0x0
	ds_store_b32 v40, v2 offset:12
.LBB151_29:                             ;   in Loop: Header=BB151_4 Depth=1
	s_or_b32 exec_lo, exec_lo, s30
	s_wait_dscnt 0x0
	s_barrier_signal -1
	s_barrier_wait -1
	ds_load_2addr_b32 v[2:3], v56 offset1:33
	ds_load_b32 v10, v55
	ds_load_b128 v[6:9], v41
	ds_load_b32 v13, v56 offset:264
	s_wait_dscnt 0x0
	s_barrier_signal -1
	s_barrier_wait -1
	v_dual_mov_b32 v57, 0 :: v_dual_mov_b32 v11, v2
	v_mov_b32_e32 v12, v3
	s_delay_alu instid0(VALU_DEP_2) | instskip(NEXT) | instid1(VALU_DEP_2)
	v_pk_mul_f32 v[6:7], v[10:11], v[6:7]
	v_pk_mul_f32 v[2:3], v[12:13], v[8:9]
	s_delay_alu instid0(VALU_DEP_2) | instskip(NEXT) | instid1(VALU_DEP_1)
	v_add_f32_e32 v6, 0, v6
	v_add_f32_e32 v6, v6, v7
	s_delay_alu instid0(VALU_DEP_1) | instskip(NEXT) | instid1(VALU_DEP_1)
	v_add_f32_e32 v2, v6, v2
	v_add_f32_e32 v2, v2, v3
	ds_store_b32 v42, v2
	s_wait_dscnt 0x0
	s_barrier_signal -1
	s_barrier_wait -1
	s_and_saveexec_b32 s30, s10
	s_cbranch_execz .LBB151_31
; %bb.30:                               ;   in Loop: Header=BB151_4 Depth=1
	ds_load_2addr_b32 v[2:3], v19 offset1:1
	ds_load_2addr_b32 v[6:7], v19 offset0:2 offset1:3
	ds_load_2addr_b32 v[8:9], v19 offset0:4 offset1:5
	;; [unrolled: 1-line block ×3, first 2 shown]
	s_wait_dscnt 0x3
	v_add_f32_e32 v2, v2, v3
	s_wait_dscnt 0x2
	s_delay_alu instid0(VALU_DEP_1) | instskip(NEXT) | instid1(VALU_DEP_1)
	v_add_f32_e32 v2, v2, v6
	v_add_f32_e32 v2, v2, v7
	s_wait_dscnt 0x1
	s_delay_alu instid0(VALU_DEP_1) | instskip(NEXT) | instid1(VALU_DEP_1)
	v_add_f32_e32 v2, v2, v8
	;; [unrolled: 4-line block ×3, first 2 shown]
	v_add_f32_e32 v57, v2, v11
.LBB151_31:                             ;   in Loop: Header=BB151_4 Depth=1
	s_or_b32 exec_lo, exec_lo, s30
	v_cmp_ne_u32_e32 vcc_lo, 1, v38
	v_lshl_add_u64 v[2:3], s[44:45], 2, v[0:1]
	s_mov_b32 s30, -1
	s_barrier_signal -1
	s_barrier_wait -1
	s_cbranch_vccnz .LBB151_33
; %bb.32:                               ;   in Loop: Header=BB151_4 Depth=1
	v_add_nc_u64_e32 v[0:1], s[44:45], v[2:3]
	s_mov_b32 s30, 0
	s_delay_alu instid0(VALU_DEP_1) | instskip(NEXT) | instid1(VALU_DEP_1)
	v_add_nc_u64_e32 v[6:7], s[44:45], v[0:1]
	v_add_nc_u64_e32 v[8:9], s[44:45], v[6:7]
	s_clause 0x3
	flat_load_b32 v10, v[2:3] offset:128
	flat_load_b32 v0, v[0:1] offset:128
	;; [unrolled: 1-line block ×4, first 2 shown]
	s_wait_loadcnt_dscnt 0x303
	ds_store_b32 v54, v10
	s_wait_loadcnt_dscnt 0x203
	ds_store_b32 v54, v0 offset:1056
	s_wait_loadcnt_dscnt 0x103
	ds_store_b32 v54, v1 offset:2112
	;; [unrolled: 2-line block ×3, first 2 shown]
.LBB151_33:                             ;   in Loop: Header=BB151_4 Depth=1
	v_add_nc_u64_e32 v[0:1], 0x80, v[2:3]
	s_and_not1_b32 vcc_lo, exec_lo, s30
	s_cbranch_vccnz .LBB151_43
; %bb.34:                               ;   in Loop: Header=BB151_4 Depth=1
	v_lshl_add_u64 v[2:3], v[28:29], 2, v[2:3]
	v_mov_b32_e32 v6, 0
	s_delay_alu instid0(VALU_DEP_2) | instskip(NEXT) | instid1(VALU_DEP_1)
	v_lshl_add_u64 v[2:3], s[36:37], 2, v[2:3]
	v_add_nc_u64_e32 v[2:3], -4, v[2:3]
	s_delay_alu instid0(VALU_DEP_1) | instskip(NEXT) | instid1(VALU_DEP_2)
	v_dual_mov_b32 v7, 0 :: v_dual_cndmask_b32 v3, v3, v1, s11
	v_cndmask_b32_e64 v2, v2, v0, s11
	s_wait_xcnt 0x0
	s_and_saveexec_b32 s30, s12
	s_cbranch_execz .LBB151_36
; %bb.35:                               ;   in Loop: Header=BB151_4 Depth=1
	flat_load_b32 v6, v[2:3]
.LBB151_36:                             ;   in Loop: Header=BB151_4 Depth=1
	s_wait_xcnt 0x0
	s_or_b32 exec_lo, exec_lo, s30
	s_wait_loadcnt_dscnt 0x0
	ds_store_b32 v54, v6
	s_and_saveexec_b32 s30, s13
	s_cbranch_execz .LBB151_38
; %bb.37:                               ;   in Loop: Header=BB151_4 Depth=1
	v_add_nc_u64_e32 v[6:7], s[44:45], v[2:3]
	flat_load_b32 v7, v[6:7]
.LBB151_38:                             ;   in Loop: Header=BB151_4 Depth=1
	s_wait_xcnt 0x0
	s_or_b32 exec_lo, exec_lo, s30
	v_dual_mov_b32 v6, 0 :: v_dual_mov_b32 v8, 0
	s_wait_loadcnt_dscnt 0x0
	ds_store_b32 v54, v7 offset:1056
	s_and_saveexec_b32 s30, s14
	s_cbranch_execz .LBB151_40
; %bb.39:                               ;   in Loop: Header=BB151_4 Depth=1
	v_add_nc_u64_e32 v[8:9], s[46:47], v[2:3]
	flat_load_b32 v8, v[8:9]
.LBB151_40:                             ;   in Loop: Header=BB151_4 Depth=1
	s_wait_xcnt 0x0
	s_or_b32 exec_lo, exec_lo, s30
	s_wait_loadcnt_dscnt 0x0
	ds_store_b32 v54, v8 offset:2112
	s_and_saveexec_b32 s30, s15
	s_cbranch_execz .LBB151_42
; %bb.41:                               ;   in Loop: Header=BB151_4 Depth=1
	v_add_nc_u64_e32 v[6:7], s[48:49], v[2:3]
	flat_load_b32 v6, v[6:7]
.LBB151_42:                             ;   in Loop: Header=BB151_4 Depth=1
	s_wait_xcnt 0x0
	s_or_b32 exec_lo, exec_lo, s30
	v_lshlrev_b32_e32 v20, 2, v18
	s_wait_loadcnt_dscnt 0x0
	ds_store_b32 v54, v6 offset:3168
	v_add_nc_u64_e32 v[2:3], v[2:3], v[20:21]
	s_delay_alu instid0(VALU_DEP_1) | instskip(NEXT) | instid1(VALU_DEP_1)
	v_lshl_add_u64 v[2:3], s[56:57], 2, v[2:3]
	v_add_nc_u64_e32 v[2:3], 0x84, v[2:3]
	s_delay_alu instid0(VALU_DEP_1)
	v_dual_cndmask_b32 v1, v3, v1, s11 :: v_dual_cndmask_b32 v0, v2, v0, s11
.LBB151_43:                             ;   in Loop: Header=BB151_4 Depth=1
	s_wait_dscnt 0x0
	s_barrier_signal -1
	s_barrier_wait -1
	s_wait_xcnt 0x0
	s_and_saveexec_b32 s30, s6
	s_cbranch_execnz .LBB151_78
; %bb.44:                               ;   in Loop: Header=BB151_4 Depth=1
	s_or_b32 exec_lo, exec_lo, s30
	s_and_saveexec_b32 s30, s7
	s_cbranch_execnz .LBB151_79
.LBB151_45:                             ;   in Loop: Header=BB151_4 Depth=1
	s_or_b32 exec_lo, exec_lo, s30
	s_and_saveexec_b32 s30, s8
	s_cbranch_execnz .LBB151_80
.LBB151_46:                             ;   in Loop: Header=BB151_4 Depth=1
	s_or_b32 exec_lo, exec_lo, s30
	s_and_saveexec_b32 s30, s9
	s_cbranch_execz .LBB151_48
.LBB151_47:                             ;   in Loop: Header=BB151_4 Depth=1
	ds_load_b32 v2, v56 offset:264
	s_wait_dscnt 0x0
	ds_store_b32 v40, v2 offset:12
.LBB151_48:                             ;   in Loop: Header=BB151_4 Depth=1
	s_or_b32 exec_lo, exec_lo, s30
	s_wait_dscnt 0x0
	s_barrier_signal -1
	s_barrier_wait -1
	ds_load_2addr_b32 v[2:3], v56 offset1:33
	ds_load_b32 v10, v55
	ds_load_b128 v[6:9], v41 offset:128
	ds_load_b32 v13, v56 offset:264
	s_wait_dscnt 0x0
	s_barrier_signal -1
	s_barrier_wait -1
	v_dual_mov_b32 v11, v2 :: v_dual_mov_b32 v12, v3
	s_delay_alu instid0(VALU_DEP_1) | instskip(NEXT) | instid1(VALU_DEP_2)
	v_pk_mul_f32 v[6:7], v[10:11], v[6:7]
	v_pk_mul_f32 v[2:3], v[12:13], v[8:9]
	s_delay_alu instid0(VALU_DEP_2) | instskip(NEXT) | instid1(VALU_DEP_1)
	v_add_f32_e32 v6, 0, v6
	v_add_f32_e32 v6, v6, v7
	s_delay_alu instid0(VALU_DEP_1) | instskip(NEXT) | instid1(VALU_DEP_1)
	v_add_f32_e32 v2, v6, v2
	v_add_f32_e32 v2, v2, v3
	ds_store_b32 v42, v2
	s_wait_dscnt 0x0
	s_barrier_signal -1
	s_barrier_wait -1
	s_and_saveexec_b32 s30, s16
	s_cbranch_execz .LBB151_50
; %bb.49:                               ;   in Loop: Header=BB151_4 Depth=1
	ds_load_2addr_b32 v[2:3], v19 offset1:1
	ds_load_2addr_b32 v[6:7], v19 offset0:2 offset1:3
	ds_load_2addr_b32 v[8:9], v19 offset0:4 offset1:5
	;; [unrolled: 1-line block ×3, first 2 shown]
	s_wait_dscnt 0x3
	v_add_f32_e32 v2, v2, v3
	s_wait_dscnt 0x2
	s_delay_alu instid0(VALU_DEP_1) | instskip(NEXT) | instid1(VALU_DEP_1)
	v_add_f32_e32 v2, v2, v6
	v_add_f32_e32 v2, v2, v7
	s_wait_dscnt 0x1
	s_delay_alu instid0(VALU_DEP_1) | instskip(NEXT) | instid1(VALU_DEP_1)
	v_add_f32_e32 v2, v2, v8
	;; [unrolled: 4-line block ×3, first 2 shown]
	v_add_f32_e32 v57, v2, v11
.LBB151_50:                             ;   in Loop: Header=BB151_4 Depth=1
	s_or_b32 exec_lo, exec_lo, s30
	v_cmp_ne_u32_e32 vcc_lo, 1, v38
	v_lshl_add_u64 v[6:7], s[50:51], 2, v[0:1]
	s_mov_b32 s30, -1
	s_barrier_signal -1
	s_barrier_wait -1
	s_cbranch_vccnz .LBB151_52
; %bb.51:                               ;   in Loop: Header=BB151_4 Depth=1
	v_add_nc_u64_e32 v[0:1], s[44:45], v[6:7]
	s_mov_b32 s30, 0
	s_delay_alu instid0(VALU_DEP_1) | instskip(NEXT) | instid1(VALU_DEP_1)
	v_add_nc_u64_e32 v[2:3], s[44:45], v[0:1]
	v_add_nc_u64_e32 v[8:9], s[44:45], v[2:3]
	s_clause 0x3
	flat_load_b32 v10, v[6:7]
	flat_load_b32 v0, v[0:1]
	;; [unrolled: 1-line block ×4, first 2 shown]
	s_wait_loadcnt_dscnt 0x303
	ds_store_b32 v54, v10
	s_wait_loadcnt_dscnt 0x203
	ds_store_b32 v54, v0 offset:1056
	s_wait_loadcnt_dscnt 0x103
	ds_store_b32 v54, v1 offset:2112
	;; [unrolled: 2-line block ×3, first 2 shown]
.LBB151_52:                             ;   in Loop: Header=BB151_4 Depth=1
	s_and_not1_b32 vcc_lo, exec_lo, s30
	s_cbranch_vccnz .LBB151_62
; %bb.53:                               ;   in Loop: Header=BB151_4 Depth=1
	v_lshl_add_u64 v[0:1], v[28:29], 2, v[6:7]
	v_mov_b32_e32 v2, 0
	s_delay_alu instid0(VALU_DEP_2) | instskip(NEXT) | instid1(VALU_DEP_1)
	v_lshl_add_u64 v[0:1], s[36:37], 2, v[0:1]
	v_add_nc_u64_e32 v[0:1], s[88:89], v[0:1]
	s_delay_alu instid0(VALU_DEP_1) | instskip(NEXT) | instid1(VALU_DEP_2)
	v_dual_mov_b32 v3, 0 :: v_dual_cndmask_b32 v1, v1, v7, s11
	v_cndmask_b32_e64 v0, v0, v6, s11
	s_wait_xcnt 0x0
	s_and_saveexec_b32 s30, s2
	s_cbranch_execz .LBB151_55
; %bb.54:                               ;   in Loop: Header=BB151_4 Depth=1
	flat_load_b32 v2, v[0:1]
.LBB151_55:                             ;   in Loop: Header=BB151_4 Depth=1
	s_wait_xcnt 0x0
	s_or_b32 exec_lo, exec_lo, s30
	s_wait_loadcnt_dscnt 0x0
	ds_store_b32 v54, v2
	s_and_saveexec_b32 s30, s3
	s_cbranch_execz .LBB151_57
; %bb.56:                               ;   in Loop: Header=BB151_4 Depth=1
	v_add_nc_u64_e32 v[2:3], s[44:45], v[0:1]
	flat_load_b32 v3, v[2:3]
.LBB151_57:                             ;   in Loop: Header=BB151_4 Depth=1
	s_wait_xcnt 0x0
	s_or_b32 exec_lo, exec_lo, s30
	v_dual_mov_b32 v2, 0 :: v_dual_mov_b32 v8, 0
	s_wait_loadcnt_dscnt 0x0
	ds_store_b32 v54, v3 offset:1056
	s_and_saveexec_b32 s30, s4
	s_cbranch_execz .LBB151_59
; %bb.58:                               ;   in Loop: Header=BB151_4 Depth=1
	v_add_nc_u64_e32 v[8:9], s[46:47], v[0:1]
	flat_load_b32 v8, v[8:9]
.LBB151_59:                             ;   in Loop: Header=BB151_4 Depth=1
	s_wait_xcnt 0x0
	s_or_b32 exec_lo, exec_lo, s30
	s_wait_loadcnt_dscnt 0x0
	ds_store_b32 v54, v8 offset:2112
	s_and_saveexec_b32 s30, s5
	s_cbranch_execz .LBB151_61
; %bb.60:                               ;   in Loop: Header=BB151_4 Depth=1
	v_add_nc_u64_e32 v[2:3], s[48:49], v[0:1]
	flat_load_b32 v2, v[2:3]
.LBB151_61:                             ;   in Loop: Header=BB151_4 Depth=1
	s_wait_xcnt 0x0
	s_or_b32 exec_lo, exec_lo, s30
	v_lshlrev_b32_e32 v20, 2, v18
	s_wait_loadcnt_dscnt 0x0
	ds_store_b32 v54, v2 offset:3168
	v_add_nc_u64_e32 v[0:1], v[0:1], v[20:21]
	s_delay_alu instid0(VALU_DEP_1) | instskip(NEXT) | instid1(VALU_DEP_1)
	v_lshl_add_u64 v[0:1], s[56:57], 2, v[0:1]
	v_add_nc_u64_e32 v[0:1], 0x84, v[0:1]
	s_delay_alu instid0(VALU_DEP_1)
	v_dual_cndmask_b32 v7, v1, v7, s11 :: v_dual_cndmask_b32 v6, v0, v6, s11
.LBB151_62:                             ;   in Loop: Header=BB151_4 Depth=1
	s_wait_dscnt 0x0
	s_barrier_signal -1
	s_barrier_wait -1
	ds_load_2addr_b32 v[0:1], v51 offset0:8 offset1:16
	ds_load_b32 v2, v54
	ds_load_b32 v3, v54 offset:1056
	ds_load_b32 v12, v54 offset:2112
	;; [unrolled: 1-line block ×3, first 2 shown]
	s_wait_xcnt 0x0
	ds_load_b32 v8, v52
	ds_load_b32 v15, v51 offset:96
	s_wait_dscnt 0x6
	v_dual_mov_b32 v9, v0 :: v_dual_mov_b32 v14, v1
	s_wait_dscnt 0x1
	s_delay_alu instid0(VALU_DEP_1)
	v_pk_mul_f32 v[34:35], v[2:3], v[8:9]
	ds_load_2addr_b32 v[10:11], v43 offset1:1
	ds_load_b128 v[0:3], v41 offset:128
	ds_load_2addr_b32 v[8:9], v43 offset0:2 offset1:3
	s_wait_dscnt 0x3
	v_pk_mul_f32 v[12:13], v[12:13], v[14:15]
	s_wait_dscnt 0x0
	s_barrier_signal -1
	v_add_f32_e32 v20, 0, v34
	s_barrier_wait -1
	s_delay_alu instid0(VALU_DEP_1) | instskip(NEXT) | instid1(VALU_DEP_1)
	v_add_f32_e32 v14, v20, v35
	v_add_f32_e32 v12, v14, v12
	s_delay_alu instid0(VALU_DEP_1)
	v_add_f32_e32 v12, v12, v13
	ds_store_b32 v42, v12
	s_wait_dscnt 0x0
	s_barrier_signal -1
	s_barrier_wait -1
	s_and_saveexec_b32 s30, s16
	s_cbranch_execz .LBB151_64
; %bb.63:                               ;   in Loop: Header=BB151_4 Depth=1
	ds_load_2addr_b32 v[12:13], v19 offset1:1
	ds_load_2addr_b32 v[14:15], v19 offset0:2 offset1:3
	ds_load_2addr_b32 v[34:35], v19 offset0:4 offset1:5
	;; [unrolled: 1-line block ×3, first 2 shown]
	s_wait_dscnt 0x3
	v_add_f32_e32 v12, v57, v12
	s_delay_alu instid0(VALU_DEP_1) | instskip(SKIP_1) | instid1(VALU_DEP_1)
	v_add_f32_e32 v12, v12, v13
	s_wait_dscnt 0x2
	v_add_f32_e32 v12, v12, v14
	s_delay_alu instid0(VALU_DEP_1) | instskip(SKIP_1) | instid1(VALU_DEP_1)
	v_add_f32_e32 v12, v12, v15
	;; [unrolled: 4-line block ×3, first 2 shown]
	s_wait_dscnt 0x0
	v_add_f32_e32 v12, v12, v36
	s_delay_alu instid0(VALU_DEP_1)
	v_add_f32_e32 v57, v12, v37
.LBB151_64:                             ;   in Loop: Header=BB151_4 Depth=1
	s_or_b32 exec_lo, exec_lo, s30
	v_fma_f32 v0, v10, v0, 0
	s_barrier_signal -1
	s_barrier_wait -1
	s_delay_alu instid0(VALU_DEP_1) | instskip(NEXT) | instid1(VALU_DEP_1)
	v_fmac_f32_e32 v0, v11, v1
	v_fmac_f32_e32 v0, v8, v2
	s_delay_alu instid0(VALU_DEP_1)
	v_fmac_f32_e32 v0, v9, v3
	ds_store_b32 v42, v0
	s_wait_dscnt 0x0
	s_barrier_signal -1
	s_barrier_wait -1
	s_and_saveexec_b32 s30, s10
	s_cbranch_execz .LBB151_66
; %bb.65:                               ;   in Loop: Header=BB151_4 Depth=1
	ds_load_2addr_b32 v[0:1], v19 offset1:1
	ds_load_2addr_b32 v[2:3], v19 offset0:2 offset1:3
	ds_load_2addr_b32 v[8:9], v19 offset0:4 offset1:5
	;; [unrolled: 1-line block ×3, first 2 shown]
	s_wait_dscnt 0x3
	v_add_f32_e32 v0, v57, v0
	s_delay_alu instid0(VALU_DEP_1) | instskip(SKIP_1) | instid1(VALU_DEP_1)
	v_add_f32_e32 v0, v0, v1
	s_wait_dscnt 0x2
	v_add_f32_e32 v0, v0, v2
	s_delay_alu instid0(VALU_DEP_1) | instskip(SKIP_1) | instid1(VALU_DEP_1)
	v_add_f32_e32 v0, v0, v3
	;; [unrolled: 4-line block ×3, first 2 shown]
	s_wait_dscnt 0x0
	v_add_f32_e32 v0, v0, v10
	s_delay_alu instid0(VALU_DEP_1)
	v_add_f32_e32 v57, v0, v11
.LBB151_66:                             ;   in Loop: Header=BB151_4 Depth=1
	s_or_b32 exec_lo, exec_lo, s30
	s_mul_u64 s[94:95], s[38:39], s[28:29]
	s_and_not1_b32 vcc_lo, exec_lo, s99
	s_lshl_b64 s[94:95], s[94:95], 2
	s_delay_alu instid0(SALU_CYCLE_1)
	s_add_nc_u64 s[94:95], s[40:41], s[94:95]
	s_barrier_signal -1
	s_barrier_wait -1
	s_cbranch_vccnz .LBB151_73
; %bb.67:                               ;   in Loop: Header=BB151_4 Depth=1
	v_lshl_add_u64 v[0:1], s[54:55], 2, v[6:7]
	v_lshlrev_b32_e32 v20, 2, v16
	v_lshl_add_u64 v[34:35], s[52:53], 2, v[4:5]
	s_mov_b32 s30, 0
	s_mov_b32 s29, s33
	v_lshl_add_u64 v[0:1], v[30:31], 2, v[0:1]
	s_delay_alu instid0(VALU_DEP_1) | instskip(NEXT) | instid1(VALU_DEP_1)
	v_lshl_add_u64 v[0:1], v[32:33], 2, v[0:1]
	v_add_nc_u64_e32 v[2:3], v[0:1], v[20:21]
	v_lshl_add_u64 v[0:1], s[36:37], 2, v[0:1]
	s_delay_alu instid0(VALU_DEP_1) | instskip(NEXT) | instid1(VALU_DEP_3)
	v_add_nc_u64_e32 v[0:1], s[88:89], v[0:1]
	v_add_nc_u64_e32 v[2:3], s[90:91], v[2:3]
	s_delay_alu instid0(VALU_DEP_1)
	v_dual_cndmask_b32 v37, v3, v1, s17 :: v_dual_cndmask_b32 v36, v2, v0, s17
	s_branch .LBB151_69
.LBB151_68:                             ;   in Loop: Header=BB151_69 Depth=2
	s_wait_xcnt 0x0
	s_or_b32 exec_lo, exec_lo, s101
	v_fmac_f32_e32 v57, v60, v0
	v_add_nc_u64_e32 v[36:37], s[62:63], v[36:37]
	s_add_co_i32 s29, s29, -1
	s_add_co_i32 s30, s30, 64
	s_cmp_eq_u32 s29, 0
	v_fmac_f32_e32 v57, v59, v1
	s_wait_storecnt 0x0
	s_barrier_signal -1
	s_barrier_wait -1
	s_delay_alu instid0(VALU_DEP_1) | instskip(NEXT) | instid1(VALU_DEP_1)
	v_fmac_f32_e32 v57, v58, v2
	v_fmac_f32_e32 v57, v20, v3
	s_delay_alu instid0(VALU_DEP_1) | instskip(NEXT) | instid1(VALU_DEP_1)
	v_fmac_f32_e32 v57, v64, v4
	v_fmac_f32_e32 v57, v63, v5
	s_delay_alu instid0(VALU_DEP_1) | instskip(NEXT) | instid1(VALU_DEP_1)
	v_fmac_f32_e32 v57, v62, v6
	v_fmac_f32_e32 v57, v61, v7
	s_delay_alu instid0(VALU_DEP_1) | instskip(NEXT) | instid1(VALU_DEP_1)
	v_fmac_f32_e32 v57, v68, v8
	v_fmac_f32_e32 v57, v67, v9
	s_delay_alu instid0(VALU_DEP_1) | instskip(NEXT) | instid1(VALU_DEP_1)
	v_fmac_f32_e32 v57, v66, v10
	v_fmac_f32_e32 v57, v65, v11
	s_delay_alu instid0(VALU_DEP_1) | instskip(NEXT) | instid1(VALU_DEP_1)
	v_fmac_f32_e32 v57, v72, v12
	v_fmac_f32_e32 v57, v71, v13
	s_delay_alu instid0(VALU_DEP_1) | instskip(NEXT) | instid1(VALU_DEP_1)
	v_fmac_f32_e32 v57, v70, v14
	v_fmac_f32_e32 v57, v69, v15
	s_cbranch_scc1 .LBB151_73
.LBB151_69:                             ;   Parent Loop BB151_4 Depth=1
                                        ; =>  This Inner Loop Header: Depth=2
	s_and_saveexec_b32 s101, s0
	s_cbranch_execz .LBB151_71
; %bb.70:                               ;   in Loop: Header=BB151_69 Depth=2
	s_mul_u64 s[102:103], s[34:35], s[30:31]
	s_delay_alu instid0(SALU_CYCLE_1)
	v_lshl_add_u64 v[0:1], s[102:103], 2, v[34:35]
	flat_load_b32 v0, v[0:1]
	s_wait_loadcnt_dscnt 0x0
	ds_store_b32 v44, v0
.LBB151_71:                             ;   in Loop: Header=BB151_69 Depth=2
	s_wait_xcnt 0x0
	s_or_b32 exec_lo, exec_lo, s101
	v_add_nc_u64_e32 v[0:1], s[58:59], v[36:37]
	v_add_nc_u64_e32 v[2:3], s[60:61], v[36:37]
	;; [unrolled: 1-line block ×3, first 2 shown]
	s_wait_dscnt 0x0
	s_barrier_signal -1
	s_barrier_wait -1
	s_clause 0x3
	flat_load_b32 v60, v[36:37]
	flat_load_b32 v59, v[0:1]
	;; [unrolled: 1-line block ×4, first 2 shown]
	ds_load_b32 v6, v39
	s_wait_xcnt 0x1
	ds_load_b128 v[0:3], v45
	s_wait_xcnt 0x0
	v_add_nc_u64_e32 v[4:5], s[46:47], v[36:37]
	v_add_nc_u64_e32 v[8:9], s[66:67], v[36:37]
	;; [unrolled: 1-line block ×5, first 2 shown]
	s_wait_loadcnt_dscnt 0x201
	v_dual_mul_f32 v12, v60, v6 :: v_dual_mul_f32 v13, v59, v6
	s_wait_loadcnt 0x0
	v_dual_mul_f32 v14, v58, v6 :: v_dual_mul_f32 v15, v20, v6
	v_add_nc_u64_e32 v[6:7], s[86:87], v[36:37]
	ds_store_2addr_b32 v46, v12, v13 offset1:67
	ds_store_2addr_b32 v46, v14, v15 offset0:134 offset1:201
	s_wait_dscnt 0x0
	s_barrier_signal -1
	s_barrier_wait -1
	ds_load_2addr_b32 v[74:75], v53 offset1:1
	ds_load_2addr_b32 v[76:77], v53 offset0:2 offset1:3
	s_wait_dscnt 0x0
	s_barrier_signal -1
	s_barrier_wait -1
	s_clause 0x3
	flat_load_b32 v64, v[4:5]
	flat_load_b32 v63, v[6:7]
	;; [unrolled: 1-line block ×4, first 2 shown]
	s_wait_xcnt 0x0
	ds_load_b32 v10, v39
	ds_load_b128 v[4:7], v45 offset:64
	v_add_nc_u64_e32 v[8:9], s[70:71], v[36:37]
	v_add_nc_u64_e32 v[12:13], s[72:73], v[36:37]
	;; [unrolled: 1-line block ×3, first 2 shown]
	s_wait_loadcnt_dscnt 0x201
	v_dual_mul_f32 v65, v64, v10 :: v_dual_mul_f32 v66, v63, v10
	s_wait_loadcnt 0x0
	v_dual_mul_f32 v67, v62, v10 :: v_dual_mul_f32 v68, v61, v10
	v_add_nc_u64_e32 v[10:11], s[84:85], v[36:37]
	ds_store_2addr_b32 v46, v65, v66 offset1:67
	ds_store_2addr_b32 v46, v67, v68 offset0:134 offset1:201
	s_wait_dscnt 0x0
	s_barrier_signal -1
	s_barrier_wait -1
	ds_load_2addr_b32 v[78:79], v53 offset1:1
	ds_load_2addr_b32 v[80:81], v53 offset0:2 offset1:3
	s_wait_dscnt 0x0
	s_barrier_signal -1
	s_barrier_wait -1
	s_clause 0x3
	flat_load_b32 v68, v[8:9]
	flat_load_b32 v67, v[10:11]
	;; [unrolled: 1-line block ×4, first 2 shown]
	s_wait_xcnt 0x0
	ds_load_b32 v14, v39
	ds_load_b128 v[8:11], v45 offset:128
	v_add_nc_u64_e32 v[12:13], s[76:77], v[36:37]
	s_wait_loadcnt_dscnt 0x201
	v_dual_mul_f32 v69, v68, v14 :: v_dual_mul_f32 v70, v67, v14
	s_wait_loadcnt 0x0
	v_dual_mul_f32 v71, v66, v14 :: v_dual_mul_f32 v72, v65, v14
	v_add_nc_u64_e32 v[14:15], s[82:83], v[36:37]
	ds_store_2addr_b32 v46, v69, v70 offset1:67
	ds_store_2addr_b32 v46, v71, v72 offset0:134 offset1:201
	s_wait_dscnt 0x0
	s_barrier_signal -1
	s_barrier_wait -1
	ds_load_2addr_b32 v[86:87], v53 offset1:1
	ds_load_2addr_b32 v[88:89], v53 offset0:2 offset1:3
	s_wait_dscnt 0x0
	s_barrier_signal -1
	s_barrier_wait -1
	s_clause 0x3
	flat_load_b32 v72, v[12:13]
	flat_load_b32 v71, v[14:15]
	;; [unrolled: 1-line block ×4, first 2 shown]
	ds_load_b32 v73, v39
	s_wait_xcnt 0x2
	ds_load_b128 v[12:15], v45 offset:192
	s_wait_loadcnt_dscnt 0x201
	s_wait_xcnt 0x1
	v_dual_mul_f32 v82, v72, v73 :: v_dual_mul_f32 v83, v71, v73
	s_wait_loadcnt 0x0
	s_wait_xcnt 0x0
	v_dual_mul_f32 v84, v70, v73 :: v_dual_mul_f32 v73, v69, v73
	ds_store_2addr_b32 v46, v82, v83 offset1:67
	ds_store_2addr_b32 v46, v84, v73 offset0:134 offset1:201
	s_wait_dscnt 0x0
	s_barrier_signal -1
	s_barrier_wait -1
	ds_load_2addr_b32 v[82:83], v53 offset1:1
	ds_load_2addr_b32 v[84:85], v53 offset0:2 offset1:3
	v_add_f32_e32 v73, 0, v74
	v_add_f32_e32 v74, 0, v78
	s_wait_dscnt 0x0
	s_barrier_signal -1
	s_barrier_wait -1
	s_delay_alu instid0(VALU_DEP_1) | instskip(SKIP_1) | instid1(VALU_DEP_1)
	v_add_f32_e32 v74, v74, v79
	v_dual_add_f32 v73, v73, v75 :: v_dual_add_f32 v78, 0, v86
	v_dual_add_f32 v73, v73, v76 :: v_dual_add_f32 v75, v78, v87
	s_delay_alu instid0(VALU_DEP_1) | instskip(NEXT) | instid1(VALU_DEP_2)
	v_dual_add_f32 v74, v74, v80 :: v_dual_add_f32 v73, v73, v77
	v_dual_add_f32 v82, 0, v82 :: v_dual_add_f32 v75, v75, v88
	s_delay_alu instid0(VALU_DEP_2) | instskip(NEXT) | instid1(VALU_DEP_2)
	v_add_f32_e32 v74, v74, v81
	v_dual_add_f32 v78, v82, v83 :: v_dual_add_f32 v75, v75, v89
	s_delay_alu instid0(VALU_DEP_1) | instskip(NEXT) | instid1(VALU_DEP_1)
	v_add_f32_e32 v76, v78, v84
	v_add_f32_e32 v76, v76, v85
	ds_store_2addr_b32 v47, v73, v74 offset1:16
	ds_store_2addr_b32 v47, v75, v76 offset0:32 offset1:48
	s_wait_dscnt 0x0
	s_barrier_signal -1
	s_barrier_wait -1
	s_and_saveexec_b32 s101, s18
	s_cbranch_execz .LBB151_68
; %bb.72:                               ;   in Loop: Header=BB151_69 Depth=2
	ds_load_2addr_b32 v[74:75], v48 offset1:1
	ds_load_2addr_b32 v[76:77], v48 offset0:2 offset1:3
	ds_load_2addr_b32 v[78:79], v48 offset0:4 offset1:5
	;; [unrolled: 1-line block ×3, first 2 shown]
	s_wait_dscnt 0x3
	v_add_f32_e32 v73, v74, v75
	ds_load_2addr_b32 v[74:75], v48 offset0:8 offset1:9
	s_wait_dscnt 0x3
	v_add_f32_e32 v73, v73, v76
	s_delay_alu instid0(VALU_DEP_1) | instskip(SKIP_3) | instid1(VALU_DEP_1)
	v_add_f32_e32 v73, v73, v77
	ds_load_2addr_b32 v[76:77], v48 offset0:10 offset1:11
	s_wait_dscnt 0x3
	v_add_f32_e32 v73, v73, v78
	v_add_f32_e32 v73, v73, v79
	s_wait_dscnt 0x2
	s_delay_alu instid0(VALU_DEP_1) | instskip(SKIP_4) | instid1(VALU_DEP_1)
	v_add_f32_e32 v73, v73, v80
	ds_load_2addr_b32 v[78:79], v48 offset0:12 offset1:13
	ds_load_b32 v80, v48 offset:56
	v_add_f32_e32 v73, v73, v81
	s_wait_dscnt 0x3
	v_add_f32_e32 v73, v73, v74
	ds_load_b32 v74, v49
	v_add_f32_e32 v73, v73, v75
	s_wait_dscnt 0x3
	s_delay_alu instid0(VALU_DEP_1) | instskip(NEXT) | instid1(VALU_DEP_1)
	v_add_f32_e32 v73, v73, v76
	v_add_f32_e32 v73, v73, v77
	s_wait_dscnt 0x2
	s_delay_alu instid0(VALU_DEP_1) | instskip(NEXT) | instid1(VALU_DEP_1)
	v_add_f32_e32 v73, v73, v78
	v_add_f32_e32 v73, v73, v79
	s_wait_dscnt 0x1
	s_delay_alu instid0(VALU_DEP_1) | instskip(SKIP_1) | instid1(VALU_DEP_1)
	v_add_f32_e32 v73, v73, v80
	s_wait_dscnt 0x0
	v_dual_add_f32 v73, v73, v74 :: v_dual_add_nc_u32 v74, s30, v16
	global_store_b32 v74, v73, s[94:95] scale_offset
	s_branch .LBB151_68
.LBB151_73:                             ;   in Loop: Header=BB151_4 Depth=1
	ds_store_b32 v50, v57
	s_wait_dscnt 0x0
	s_barrier_signal -1
	s_barrier_wait -1
	s_and_saveexec_b32 s29, s100
	s_cbranch_execz .LBB151_2
; %bb.74:                               ;   in Loop: Header=BB151_4 Depth=1
	ds_load_2addr_b32 v[0:1], v17 offset1:67
	ds_load_2addr_b32 v[2:3], v17 offset0:134 offset1:201
	s_wait_dscnt 0x1
	v_add_f32_e32 v0, v0, v1
	s_wait_dscnt 0x0
	s_delay_alu instid0(VALU_DEP_1) | instskip(NEXT) | instid1(VALU_DEP_1)
	v_add_f32_e32 v0, v0, v2
	v_add_f32_e32 v2, v0, v3
	v_lshl_add_u64 v[0:1], v[22:23], 2, s[94:95]
	global_store_b32 v[0:1], v2, off
	s_branch .LBB151_2
.LBB151_75:                             ;   in Loop: Header=BB151_4 Depth=1
	ds_load_b32 v2, v55
	s_wait_dscnt 0x0
	ds_store_b32 v40, v2
	s_or_b32 exec_lo, exec_lo, s30
	s_and_saveexec_b32 s30, s7
	s_cbranch_execz .LBB151_26
.LBB151_76:                             ;   in Loop: Header=BB151_4 Depth=1
	ds_load_b32 v2, v56
	s_wait_dscnt 0x0
	ds_store_b32 v40, v2 offset:4
	s_or_b32 exec_lo, exec_lo, s30
	s_and_saveexec_b32 s30, s8
	s_cbranch_execz .LBB151_27
.LBB151_77:                             ;   in Loop: Header=BB151_4 Depth=1
	ds_load_b32 v2, v56 offset:132
	s_wait_dscnt 0x0
	ds_store_b32 v40, v2 offset:8
	s_or_b32 exec_lo, exec_lo, s30
	s_and_saveexec_b32 s30, s9
	s_cbranch_execnz .LBB151_28
	s_branch .LBB151_29
.LBB151_78:                             ;   in Loop: Header=BB151_4 Depth=1
	ds_load_b32 v2, v55
	s_wait_dscnt 0x0
	ds_store_b32 v40, v2
	s_or_b32 exec_lo, exec_lo, s30
	s_and_saveexec_b32 s30, s7
	s_cbranch_execz .LBB151_45
.LBB151_79:                             ;   in Loop: Header=BB151_4 Depth=1
	ds_load_b32 v2, v56
	s_wait_dscnt 0x0
	ds_store_b32 v40, v2 offset:4
	s_or_b32 exec_lo, exec_lo, s30
	s_and_saveexec_b32 s30, s8
	s_cbranch_execz .LBB151_46
.LBB151_80:                             ;   in Loop: Header=BB151_4 Depth=1
	ds_load_b32 v2, v56 offset:132
	s_wait_dscnt 0x0
	ds_store_b32 v40, v2 offset:8
	s_or_b32 exec_lo, exec_lo, s30
	s_and_saveexec_b32 s30, s9
	s_cbranch_execnz .LBB151_47
	s_branch .LBB151_48
.LBB151_81:
	s_sendmsg sendmsg(MSG_DEALLOC_VGPRS)
	s_endpgm
	.section	.rodata,"a",@progbits
	.p2align	6, 0x0
	.amdhsa_kernel _ZL26rocblas_hemvn_kernel_lowerILb0ELi64ELi4ELi33ELi32ELi16ElfPKPKfPfEviT6_lT7_lT5_lS6_lS7_lS5_lT8_i
		.amdhsa_group_segment_fixed_size 4800
		.amdhsa_private_segment_fixed_size 0
		.amdhsa_kernarg_size 368
		.amdhsa_user_sgpr_count 2
		.amdhsa_user_sgpr_dispatch_ptr 0
		.amdhsa_user_sgpr_queue_ptr 0
		.amdhsa_user_sgpr_kernarg_segment_ptr 1
		.amdhsa_user_sgpr_dispatch_id 0
		.amdhsa_user_sgpr_kernarg_preload_length 0
		.amdhsa_user_sgpr_kernarg_preload_offset 0
		.amdhsa_user_sgpr_private_segment_size 0
		.amdhsa_wavefront_size32 1
		.amdhsa_uses_dynamic_stack 0
		.amdhsa_enable_private_segment 0
		.amdhsa_system_sgpr_workgroup_id_x 1
		.amdhsa_system_sgpr_workgroup_id_y 0
		.amdhsa_system_sgpr_workgroup_id_z 1
		.amdhsa_system_sgpr_workgroup_info 0
		.amdhsa_system_vgpr_workitem_id 1
		.amdhsa_next_free_vgpr 90
		.amdhsa_next_free_sgpr 104
		.amdhsa_named_barrier_count 0
		.amdhsa_reserve_vcc 1
		.amdhsa_float_round_mode_32 0
		.amdhsa_float_round_mode_16_64 0
		.amdhsa_float_denorm_mode_32 3
		.amdhsa_float_denorm_mode_16_64 3
		.amdhsa_fp16_overflow 0
		.amdhsa_memory_ordered 1
		.amdhsa_forward_progress 1
		.amdhsa_inst_pref_size 42
		.amdhsa_round_robin_scheduling 0
		.amdhsa_exception_fp_ieee_invalid_op 0
		.amdhsa_exception_fp_denorm_src 0
		.amdhsa_exception_fp_ieee_div_zero 0
		.amdhsa_exception_fp_ieee_overflow 0
		.amdhsa_exception_fp_ieee_underflow 0
		.amdhsa_exception_fp_ieee_inexact 0
		.amdhsa_exception_int_div_zero 0
	.end_amdhsa_kernel
	.section	.text._ZL26rocblas_hemvn_kernel_lowerILb0ELi64ELi4ELi33ELi32ELi16ElfPKPKfPfEviT6_lT7_lT5_lS6_lS7_lS5_lT8_i,"axG",@progbits,_ZL26rocblas_hemvn_kernel_lowerILb0ELi64ELi4ELi33ELi32ELi16ElfPKPKfPfEviT6_lT7_lT5_lS6_lS7_lS5_lT8_i,comdat
.Lfunc_end151:
	.size	_ZL26rocblas_hemvn_kernel_lowerILb0ELi64ELi4ELi33ELi32ELi16ElfPKPKfPfEviT6_lT7_lT5_lS6_lS7_lS5_lT8_i, .Lfunc_end151-_ZL26rocblas_hemvn_kernel_lowerILb0ELi64ELi4ELi33ELi32ELi16ElfPKPKfPfEviT6_lT7_lT5_lS6_lS7_lS5_lT8_i
                                        ; -- End function
	.set _ZL26rocblas_hemvn_kernel_lowerILb0ELi64ELi4ELi33ELi32ELi16ElfPKPKfPfEviT6_lT7_lT5_lS6_lS7_lS5_lT8_i.num_vgpr, 90
	.set _ZL26rocblas_hemvn_kernel_lowerILb0ELi64ELi4ELi33ELi32ELi16ElfPKPKfPfEviT6_lT7_lT5_lS6_lS7_lS5_lT8_i.num_agpr, 0
	.set _ZL26rocblas_hemvn_kernel_lowerILb0ELi64ELi4ELi33ELi32ELi16ElfPKPKfPfEviT6_lT7_lT5_lS6_lS7_lS5_lT8_i.numbered_sgpr, 104
	.set _ZL26rocblas_hemvn_kernel_lowerILb0ELi64ELi4ELi33ELi32ELi16ElfPKPKfPfEviT6_lT7_lT5_lS6_lS7_lS5_lT8_i.num_named_barrier, 0
	.set _ZL26rocblas_hemvn_kernel_lowerILb0ELi64ELi4ELi33ELi32ELi16ElfPKPKfPfEviT6_lT7_lT5_lS6_lS7_lS5_lT8_i.private_seg_size, 0
	.set _ZL26rocblas_hemvn_kernel_lowerILb0ELi64ELi4ELi33ELi32ELi16ElfPKPKfPfEviT6_lT7_lT5_lS6_lS7_lS5_lT8_i.uses_vcc, 1
	.set _ZL26rocblas_hemvn_kernel_lowerILb0ELi64ELi4ELi33ELi32ELi16ElfPKPKfPfEviT6_lT7_lT5_lS6_lS7_lS5_lT8_i.uses_flat_scratch, 1
	.set _ZL26rocblas_hemvn_kernel_lowerILb0ELi64ELi4ELi33ELi32ELi16ElfPKPKfPfEviT6_lT7_lT5_lS6_lS7_lS5_lT8_i.has_dyn_sized_stack, 0
	.set _ZL26rocblas_hemvn_kernel_lowerILb0ELi64ELi4ELi33ELi32ELi16ElfPKPKfPfEviT6_lT7_lT5_lS6_lS7_lS5_lT8_i.has_recursion, 0
	.set _ZL26rocblas_hemvn_kernel_lowerILb0ELi64ELi4ELi33ELi32ELi16ElfPKPKfPfEviT6_lT7_lT5_lS6_lS7_lS5_lT8_i.has_indirect_call, 0
	.section	.AMDGPU.csdata,"",@progbits
; Kernel info:
; codeLenInByte = 5376
; TotalNumSgprs: 106
; NumVgprs: 90
; ScratchSize: 0
; MemoryBound: 0
; FloatMode: 240
; IeeeMode: 1
; LDSByteSize: 4800 bytes/workgroup (compile time only)
; SGPRBlocks: 0
; VGPRBlocks: 5
; NumSGPRsForWavesPerEU: 106
; NumVGPRsForWavesPerEU: 90
; NamedBarCnt: 0
; Occupancy: 10
; WaveLimiterHint : 1
; COMPUTE_PGM_RSRC2:SCRATCH_EN: 0
; COMPUTE_PGM_RSRC2:USER_SGPR: 2
; COMPUTE_PGM_RSRC2:TRAP_HANDLER: 0
; COMPUTE_PGM_RSRC2:TGID_X_EN: 1
; COMPUTE_PGM_RSRC2:TGID_Y_EN: 0
; COMPUTE_PGM_RSRC2:TGID_Z_EN: 1
; COMPUTE_PGM_RSRC2:TIDIG_COMP_CNT: 1
	.section	.text._ZL36rocblas_hemvn_kernel_lower_block_sumILi64ElfPKPffEviT1_lS3_lT2_lT0_lPT3_i,"axG",@progbits,_ZL36rocblas_hemvn_kernel_lower_block_sumILi64ElfPKPffEviT1_lS3_lT2_lT0_lPT3_i,comdat
	.globl	_ZL36rocblas_hemvn_kernel_lower_block_sumILi64ElfPKPffEviT1_lS3_lT2_lT0_lPT3_i ; -- Begin function _ZL36rocblas_hemvn_kernel_lower_block_sumILi64ElfPKPffEviT1_lS3_lT2_lT0_lPT3_i
	.p2align	8
	.type	_ZL36rocblas_hemvn_kernel_lower_block_sumILi64ElfPKPffEviT1_lS3_lT2_lT0_lPT3_i,@function
_ZL36rocblas_hemvn_kernel_lower_block_sumILi64ElfPKPffEviT1_lS3_lT2_lT0_lPT3_i: ; @_ZL36rocblas_hemvn_kernel_lower_block_sumILi64ElfPKPffEviT1_lS3_lT2_lT0_lPT3_i
; %bb.0:
	s_load_b32 s20, s[0:1], 0x48
	s_bfe_u32 s2, ttmp6, 0x40014
	s_lshr_b32 s3, ttmp7, 16
	s_add_co_i32 s2, s2, 1
	s_bfe_u32 s4, ttmp6, 0x40008
	s_mul_i32 s2, s3, s2
	s_getreg_b32 s6, hwreg(HW_REG_IB_STS2, 6, 4)
	s_add_co_i32 s4, s4, s2
	s_cmp_eq_u32 s6, 0
	s_cselect_b32 s2, s3, s4
	s_mov_b32 s3, 0
	s_wait_kmcnt 0x0
	s_cmp_ge_u32 s2, s20
	s_cbranch_scc1 .LBB152_25
; %bb.1:
	s_clause 0x3
	s_load_b64 s[4:5], s[0:1], 0x0
	s_load_b32 s7, s[0:1], 0x10
	s_load_b128 s[16:19], s[0:1], 0x28
	s_load_b64 s[12:13], s[0:1], 0x40
	s_wait_kmcnt 0x0
	s_cmp_eq_f32 s5, 0
	s_mov_b32 s14, s4
	s_cselect_b32 s21, -1, 0
	s_cmp_neq_f32 s5, 0
	s_cselect_b32 s8, -1, 0
	s_cmp_neq_f32 s7, 1.0
	s_cselect_b32 s9, -1, 0
	s_bfe_u32 s10, ttmp6, 0x4000c
	s_and_b32 s11, ttmp6, 15
	s_add_co_i32 s10, s10, 1
	s_or_b32 s22, s8, s9
	s_mul_i32 s10, ttmp9, s10
	s_load_b64 s[8:9], s[0:1], 0x20
	s_add_co_i32 s11, s11, s10
	s_cmp_eq_u32 s6, 0
	s_mov_b32 s6, s5
	s_cselect_b32 s23, ttmp9, s11
	s_cmp_neq_f32 s7, 0
	v_lshl_or_b32 v2, s23, 6, v0
	s_add_nc_u64 s[10:11], s[0:1], 0x50
	s_cselect_b32 s24, -1, 0
	s_cmp_eq_f32 s7, 0
	s_delay_alu instid0(VALU_DEP_1)
	v_mad_u32 v4, s4, s23, v2
	v_ashrrev_i32_e32 v3, 31, v2
	s_wait_xcnt 0x0
	v_cmp_gt_i32_e64 s0, s4, v2
	s_cselect_b32 s1, -1, 0
	s_ashr_i32 s15, s4, 31
	v_ashrrev_i32_e32 v5, 31, v4
	v_mul_u64_e32 v[0:1], s[18:19], v[2:3]
	s_delay_alu instid0(VALU_DEP_2)
	v_lshl_add_u64 v[2:3], v[4:5], 2, s[12:13]
	s_lshl_b64 s[12:13], s[14:15], 2
	s_lshl_b64 s[14:15], s[16:17], 2
	s_branch .LBB152_4
.LBB152_2:                              ;   in Loop: Header=BB152_4 Depth=1
	s_wait_xcnt 0x0
	s_or_b32 exec_lo, exec_lo, s18
.LBB152_3:                              ;   in Loop: Header=BB152_4 Depth=1
	s_add_co_i32 s2, s2, 0x10000
	s_delay_alu instid0(SALU_CYCLE_1)
	s_cmp_lt_u32 s2, s20
	s_cbranch_scc0 .LBB152_25
.LBB152_4:                              ; =>This Loop Header: Depth=1
                                        ;     Child Loop BB152_16 Depth 2
	s_and_not1_b32 vcc_lo, exec_lo, s22
	s_cbranch_vccnz .LBB152_3
; %bb.5:                                ;   in Loop: Header=BB152_4 Depth=1
	s_lshl_b64 s[16:17], s[2:3], 3
	s_and_not1_b32 vcc_lo, exec_lo, s21
	s_wait_kmcnt 0x0
	s_add_nc_u64 s[16:17], s[8:9], s[16:17]
	s_load_b64 s[16:17], s[16:17], 0x0
	s_wait_kmcnt 0x0
	s_wait_xcnt 0x0
	s_add_nc_u64 s[16:17], s[16:17], s[14:15]
	s_cbranch_vccnz .LBB152_9
; %bb.6:                                ;   in Loop: Header=BB152_4 Depth=1
	s_mov_b32 s18, 0
	s_mov_b32 s4, 0
                                        ; implicit-def: $vgpr5
	s_and_saveexec_b32 s19, s0
	s_cbranch_execz .LBB152_10
; %bb.7:                                ;   in Loop: Header=BB152_4 Depth=1
	s_and_not1_b32 vcc_lo, exec_lo, s24
	s_cbranch_vccnz .LBB152_11
; %bb.8:                                ;   in Loop: Header=BB152_4 Depth=1
	s_delay_alu instid0(VALU_DEP_2)
	v_lshl_add_u64 v[4:5], v[0:1], 2, s[16:17]
	flat_load_b32 v4, v[4:5]
	s_wait_loadcnt_dscnt 0x0
	s_wait_xcnt 0x0
	v_mul_f32_e32 v5, s7, v4
	s_branch .LBB152_12
.LBB152_9:                              ;   in Loop: Header=BB152_4 Depth=1
	s_mov_b32 s4, 0
                                        ; implicit-def: $vgpr5
	s_cbranch_execnz .LBB152_13
	s_branch .LBB152_23
.LBB152_10:                             ;   in Loop: Header=BB152_4 Depth=1
	s_or_b32 exec_lo, exec_lo, s19
	s_delay_alu instid0(SALU_CYCLE_1)
	s_and_b32 vcc_lo, exec_lo, s18
	s_cbranch_vccnz .LBB152_13
	s_branch .LBB152_23
.LBB152_11:                             ;   in Loop: Header=BB152_4 Depth=1
	v_mov_b32_e32 v5, 0
.LBB152_12:                             ;   in Loop: Header=BB152_4 Depth=1
	s_mov_b32 s4, exec_lo
	s_or_b32 exec_lo, exec_lo, s19
	s_delay_alu instid0(SALU_CYCLE_1)
	s_and_b32 vcc_lo, exec_lo, s18
	s_cbranch_vccz .LBB152_23
.LBB152_13:                             ;   in Loop: Header=BB152_4 Depth=1
                                        ; implicit-def: $vgpr5
	s_and_saveexec_b32 s25, s0
	s_cbranch_execz .LBB152_22
; %bb.14:                               ;   in Loop: Header=BB152_4 Depth=1
	s_load_b32 s18, s[10:11], 0x0
	v_mov_b32_e32 v4, 0
	s_wait_kmcnt 0x0
	s_cmp_ge_i32 s23, s18
	s_cbranch_scc1 .LBB152_17
; %bb.15:                               ;   in Loop: Header=BB152_4 Depth=1
	s_mov_b32 s19, s3
	v_mov_b32_e32 v4, 0
	s_mul_u64 s[26:27], s[12:13], s[18:19]
	s_mov_b32 s19, s23
	v_mad_nc_u64_u32 v[6:7], s26, s2, v[2:3]
	s_delay_alu instid0(VALU_DEP_1)
	v_mad_u32 v7, s27, s2, v7
.LBB152_16:                             ;   Parent Loop BB152_4 Depth=1
                                        ; =>  This Inner Loop Header: Depth=2
	global_load_b32 v5, v[6:7], off
	s_wait_xcnt 0x0
	v_add_nc_u64_e32 v[6:7], s[12:13], v[6:7]
	s_add_co_i32 s19, s19, 1
	s_delay_alu instid0(SALU_CYCLE_1)
	s_cmp_ge_i32 s19, s18
	s_wait_loadcnt 0x0
	v_add_f32_e32 v4, v4, v5
	s_cbranch_scc0 .LBB152_16
.LBB152_17:                             ;   in Loop: Header=BB152_4 Depth=1
	s_and_b32 vcc_lo, exec_lo, s1
	s_mov_b32 s18, -1
                                        ; implicit-def: $vgpr5
	s_cbranch_vccz .LBB152_19
; %bb.18:                               ;   in Loop: Header=BB152_4 Depth=1
	v_mul_f32_e32 v5, s5, v4
	s_mov_b32 s18, 0
.LBB152_19:                             ;   in Loop: Header=BB152_4 Depth=1
	s_delay_alu instid0(SALU_CYCLE_1)
	s_and_not1_b32 vcc_lo, exec_lo, s18
	s_cbranch_vccnz .LBB152_21
; %bb.20:                               ;   in Loop: Header=BB152_4 Depth=1
	s_delay_alu instid0(VALU_DEP_3) | instskip(SKIP_4) | instid1(VALU_DEP_1)
	v_lshl_add_u64 v[6:7], v[0:1], 2, s[16:17]
	flat_load_b32 v5, v[6:7]
	s_wait_xcnt 0x0
	v_mov_b64_e32 v[6:7], s[6:7]
	s_wait_loadcnt_dscnt 0x0
	v_pk_mul_f32 v[4:5], v[6:7], v[4:5]
	s_delay_alu instid0(VALU_DEP_1)
	v_add_f32_e32 v5, v4, v5
.LBB152_21:                             ;   in Loop: Header=BB152_4 Depth=1
	s_or_b32 s4, s4, exec_lo
.LBB152_22:                             ;   in Loop: Header=BB152_4 Depth=1
	s_or_b32 exec_lo, exec_lo, s25
.LBB152_23:                             ;   in Loop: Header=BB152_4 Depth=1
	s_and_saveexec_b32 s18, s4
	s_cbranch_execz .LBB152_2
; %bb.24:                               ;   in Loop: Header=BB152_4 Depth=1
	s_delay_alu instid0(VALU_DEP_2)
	v_lshl_add_u64 v[6:7], v[0:1], 2, s[16:17]
	flat_store_b32 v[6:7], v5
	s_branch .LBB152_2
.LBB152_25:
	s_endpgm
	.section	.rodata,"a",@progbits
	.p2align	6, 0x0
	.amdhsa_kernel _ZL36rocblas_hemvn_kernel_lower_block_sumILi64ElfPKPffEviT1_lS3_lT2_lT0_lPT3_i
		.amdhsa_group_segment_fixed_size 0
		.amdhsa_private_segment_fixed_size 0
		.amdhsa_kernarg_size 336
		.amdhsa_user_sgpr_count 2
		.amdhsa_user_sgpr_dispatch_ptr 0
		.amdhsa_user_sgpr_queue_ptr 0
		.amdhsa_user_sgpr_kernarg_segment_ptr 1
		.amdhsa_user_sgpr_dispatch_id 0
		.amdhsa_user_sgpr_kernarg_preload_length 0
		.amdhsa_user_sgpr_kernarg_preload_offset 0
		.amdhsa_user_sgpr_private_segment_size 0
		.amdhsa_wavefront_size32 1
		.amdhsa_uses_dynamic_stack 0
		.amdhsa_enable_private_segment 0
		.amdhsa_system_sgpr_workgroup_id_x 1
		.amdhsa_system_sgpr_workgroup_id_y 0
		.amdhsa_system_sgpr_workgroup_id_z 1
		.amdhsa_system_sgpr_workgroup_info 0
		.amdhsa_system_vgpr_workitem_id 0
		.amdhsa_next_free_vgpr 8
		.amdhsa_next_free_sgpr 28
		.amdhsa_named_barrier_count 0
		.amdhsa_reserve_vcc 1
		.amdhsa_float_round_mode_32 0
		.amdhsa_float_round_mode_16_64 0
		.amdhsa_float_denorm_mode_32 3
		.amdhsa_float_denorm_mode_16_64 3
		.amdhsa_fp16_overflow 0
		.amdhsa_memory_ordered 1
		.amdhsa_forward_progress 1
		.amdhsa_inst_pref_size 6
		.amdhsa_round_robin_scheduling 0
		.amdhsa_exception_fp_ieee_invalid_op 0
		.amdhsa_exception_fp_denorm_src 0
		.amdhsa_exception_fp_ieee_div_zero 0
		.amdhsa_exception_fp_ieee_overflow 0
		.amdhsa_exception_fp_ieee_underflow 0
		.amdhsa_exception_fp_ieee_inexact 0
		.amdhsa_exception_int_div_zero 0
	.end_amdhsa_kernel
	.section	.text._ZL36rocblas_hemvn_kernel_lower_block_sumILi64ElfPKPffEviT1_lS3_lT2_lT0_lPT3_i,"axG",@progbits,_ZL36rocblas_hemvn_kernel_lower_block_sumILi64ElfPKPffEviT1_lS3_lT2_lT0_lPT3_i,comdat
.Lfunc_end152:
	.size	_ZL36rocblas_hemvn_kernel_lower_block_sumILi64ElfPKPffEviT1_lS3_lT2_lT0_lPT3_i, .Lfunc_end152-_ZL36rocblas_hemvn_kernel_lower_block_sumILi64ElfPKPffEviT1_lS3_lT2_lT0_lPT3_i
                                        ; -- End function
	.set _ZL36rocblas_hemvn_kernel_lower_block_sumILi64ElfPKPffEviT1_lS3_lT2_lT0_lPT3_i.num_vgpr, 8
	.set _ZL36rocblas_hemvn_kernel_lower_block_sumILi64ElfPKPffEviT1_lS3_lT2_lT0_lPT3_i.num_agpr, 0
	.set _ZL36rocblas_hemvn_kernel_lower_block_sumILi64ElfPKPffEviT1_lS3_lT2_lT0_lPT3_i.numbered_sgpr, 28
	.set _ZL36rocblas_hemvn_kernel_lower_block_sumILi64ElfPKPffEviT1_lS3_lT2_lT0_lPT3_i.num_named_barrier, 0
	.set _ZL36rocblas_hemvn_kernel_lower_block_sumILi64ElfPKPffEviT1_lS3_lT2_lT0_lPT3_i.private_seg_size, 0
	.set _ZL36rocblas_hemvn_kernel_lower_block_sumILi64ElfPKPffEviT1_lS3_lT2_lT0_lPT3_i.uses_vcc, 1
	.set _ZL36rocblas_hemvn_kernel_lower_block_sumILi64ElfPKPffEviT1_lS3_lT2_lT0_lPT3_i.uses_flat_scratch, 0
	.set _ZL36rocblas_hemvn_kernel_lower_block_sumILi64ElfPKPffEviT1_lS3_lT2_lT0_lPT3_i.has_dyn_sized_stack, 0
	.set _ZL36rocblas_hemvn_kernel_lower_block_sumILi64ElfPKPffEviT1_lS3_lT2_lT0_lPT3_i.has_recursion, 0
	.set _ZL36rocblas_hemvn_kernel_lower_block_sumILi64ElfPKPffEviT1_lS3_lT2_lT0_lPT3_i.has_indirect_call, 0
	.section	.AMDGPU.csdata,"",@progbits
; Kernel info:
; codeLenInByte = 720
; TotalNumSgprs: 30
; NumVgprs: 8
; ScratchSize: 0
; MemoryBound: 0
; FloatMode: 240
; IeeeMode: 1
; LDSByteSize: 0 bytes/workgroup (compile time only)
; SGPRBlocks: 0
; VGPRBlocks: 0
; NumSGPRsForWavesPerEU: 30
; NumVGPRsForWavesPerEU: 8
; NamedBarCnt: 0
; Occupancy: 16
; WaveLimiterHint : 1
; COMPUTE_PGM_RSRC2:SCRATCH_EN: 0
; COMPUTE_PGM_RSRC2:USER_SGPR: 2
; COMPUTE_PGM_RSRC2:TRAP_HANDLER: 0
; COMPUTE_PGM_RSRC2:TGID_X_EN: 1
; COMPUTE_PGM_RSRC2:TGID_Y_EN: 0
; COMPUTE_PGM_RSRC2:TGID_Z_EN: 1
; COMPUTE_PGM_RSRC2:TIDIG_COMP_CNT: 0
	.section	.text._ZL26rocblas_hemvn_kernel_lowerILb0ELi64ELi4ELi33ELi32ELi16EifPKPKfPfEviT6_lT7_lT5_lS6_lS7_lS5_lT8_i,"axG",@progbits,_ZL26rocblas_hemvn_kernel_lowerILb0ELi64ELi4ELi33ELi32ELi16EifPKPKfPfEviT6_lT7_lT5_lS6_lS7_lS5_lT8_i,comdat
	.globl	_ZL26rocblas_hemvn_kernel_lowerILb0ELi64ELi4ELi33ELi32ELi16EifPKPKfPfEviT6_lT7_lT5_lS6_lS7_lS5_lT8_i ; -- Begin function _ZL26rocblas_hemvn_kernel_lowerILb0ELi64ELi4ELi33ELi32ELi16EifPKPKfPfEviT6_lT7_lT5_lS6_lS7_lS5_lT8_i
	.p2align	8
	.type	_ZL26rocblas_hemvn_kernel_lowerILb0ELi64ELi4ELi33ELi32ELi16EifPKPKfPfEviT6_lT7_lT5_lS6_lS7_lS5_lT8_i,@function
_ZL26rocblas_hemvn_kernel_lowerILb0ELi64ELi4ELi33ELi32ELi16EifPKPKfPfEviT6_lT7_lT5_lS6_lS7_lS5_lT8_i: ; @_ZL26rocblas_hemvn_kernel_lowerILb0ELi64ELi4ELi33ELi32ELi16EifPKPKfPfEviT6_lT7_lT5_lS6_lS7_lS5_lT8_i
; %bb.0:
	s_clause 0x1
	s_load_b64 s[2:3], s[0:1], 0x7c
	s_load_b32 s19, s[0:1], 0x68
	s_bfe_u32 s4, ttmp6, 0x40014
	s_lshr_b32 s5, ttmp7, 16
	s_add_co_i32 s4, s4, 1
	s_bfe_u32 s6, ttmp6, 0x40008
	s_mul_i32 s7, s5, s4
	s_getreg_b32 s4, hwreg(HW_REG_IB_STS2, 6, 4)
	s_add_co_i32 s6, s6, s7
	s_mov_b32 s29, 0
	s_wait_kmcnt 0x0
	s_lshr_b32 s7, s2, 16
	s_and_b32 s2, s2, 0xffff
	s_and_b32 s3, s3, 0xffff
	s_mul_i32 s2, s7, s2
	s_cmp_eq_u32 s4, 0
	s_mul_i32 s2, s2, s3
	s_cselect_b32 s28, s5, s6
	s_cmp_lg_u32 s2, 0x100
	s_cselect_b32 s2, -1, 0
	s_cmp_ge_u32 s28, s19
	s_cselect_b32 s3, -1, 0
	s_delay_alu instid0(SALU_CYCLE_1) | instskip(NEXT) | instid1(SALU_CYCLE_1)
	s_or_b32 s2, s2, s3
	s_and_b32 vcc_lo, exec_lo, s2
	s_cbranch_vccnz .LBB153_81
; %bb.1:
	s_clause 0x4
	s_load_b32 s88, s[0:1], 0x20
	s_load_b64 s[2:3], s[0:1], 0x0
	s_load_b128 s[24:27], s[0:1], 0x30
	s_load_b32 s18, s[0:1], 0x40
	s_load_b32 s10, s[0:1], 0x50
	s_bfe_u32 s5, ttmp6, 0x4000c
	s_and_b32 s11, ttmp6, 15
	s_add_co_i32 s5, s5, 1
	s_add_nc_u64 s[6:7], s[0:1], 0x70
	s_mul_i32 s5, ttmp9, s5
	s_clause 0x1
	s_load_b128 s[20:23], s[0:1], 0x10
	s_load_b64 s[8:9], s[0:1], 0x60
	s_add_co_i32 s11, s11, s5
	v_and_b32_e32 v16, 0x3ff, v0
	v_bfe_u32 v1, v0, 10, 10
	v_mov_b32_e32 v27, 0
	s_mov_b32 s5, s29
	s_mov_b64 s[90:91], 0xffffffffffffff7c
	s_delay_alu instid0(VALU_DEP_2)
	v_lshl_add_u32 v2, v1, 6, v16
	v_and_b32_e32 v18, 31, v0
	s_wait_xcnt 0x0
	v_cmp_eq_u32_e64 s0, 0, v1
	s_wait_kmcnt 0x0
	s_ashr_i32 s89, s88, 31
	s_cmp_eq_u32 s4, 0
	s_load_b32 s4, s[6:7], 0x0
	s_cselect_b32 s33, ttmp9, s11
	s_cmp_eq_f32 s3, 0
	v_lshrrev_b32_e32 v3, 5, v2
	v_dual_mov_b32 v19, v27 :: v_dual_lshlrev_b32 v4, 2, v18
	s_cselect_b32 s98, -1, 0
	s_cmp_neq_f32 s3, 0
	s_delay_alu instid0(VALU_DEP_2)
	v_dual_add_nc_u32 v6, 8, v3 :: v_dual_add_nc_u32 v7, 16, v3
	v_add_nc_u32_e32 v8, 24, v3
	s_cselect_b32 s1, -1, 0
	s_cmp_neq_f32 s10, 1.0
	v_dual_lshlrev_b32 v9, 2, v3 :: v_dual_lshlrev_b32 v10, 4, v3
	v_mul_u32_u24_e32 v15, 33, v18
	s_wait_xcnt 0x0
	s_cselect_b32 s6, -1, 0
	s_ashr_i32 s3, s2, 31
	s_lshl_b32 s92, s33, 6
	s_lshr_b32 s7, s3, 26
	s_wait_kmcnt 0x0
	s_add_co_i32 s10, s4, -1
	s_add_co_i32 s7, s2, s7
	s_or_b32 s99, s1, s6
	s_and_not1_b32 s7, s7, 63
	s_mul_i32 s6, s2, s33
	s_sub_co_i32 s1, s2, s7
	s_cmp_eq_u32 s33, s10
	s_mul_i32 s38, s88, s92
	s_cselect_b32 s30, s1, 0
	s_mul_u64 s[34:35], s[4:5], s[2:3]
	v_cmp_gt_i32_e32 vcc_lo, s30, v16
	s_cmp_eq_u32 s30, 0
	v_dual_lshlrev_b32 v40, 2, v16 :: v_dual_add_nc_u32 v20, s92, v16
	s_cselect_b32 s100, -1, 0
	s_ashr_i32 s7, s6, 31
	s_or_b32 s101, s100, vcc_lo
	s_lshl_b64 s[2:3], s[6:7], 2
	s_ashr_i32 s93, s92, 31
	s_ashr_i32 s39, s38, 31
	s_cmp_lg_u32 s30, 0
	s_add_nc_u64 s[36:37], s[8:9], s[2:3]
	s_cselect_b32 s17, -1, 0
	s_sub_co_i32 s15, s30, 32
	v_cmp_gt_i32_e64 s3, s30, v6
	v_cmp_gt_i32_e64 s13, s15, v6
	v_mul_lo_u32 v6, v1, s88
	v_mul_lo_u32 v22, s18, v20
	v_mad_u32 v24, s88, v3, v18
	v_sub_nc_u64_e32 v[28:29], 0, v[18:19]
	v_lshl_or_b32 v19, v18, 7, v4
	v_cmp_gt_i32_e64 s4, s30, v7
	v_add_nc_u32_e32 v43, 0x11c0, v10
	v_lshl_add_u32 v44, v15, 2, v9
	v_cmp_gt_i32_e64 s14, s15, v7
	v_mul_i32_i24_e32 v7, -12, v3
	v_mul_u32_u24_e32 v5, 0x84, v3
	v_cmp_gt_i32_e64 s2, s30, v3
	v_dual_add_nc_u32 v42, v19, v10 :: v_dual_bitop2_b32 v11, 1, v9 bitop3:0x54
	v_mul_u32_u24_e32 v12, 0x210, v3
	v_dual_mov_b32 v17, v27 :: v_dual_bitop2_b32 v13, 2, v9 bitop3:0x54
	v_cmp_gt_i32_e64 s12, s15, v3
	v_cmp_eq_u32_e64 s16, 1, v3
	v_cmp_le_i32_e32 vcc_lo, s30, v16
	v_mad_u32_u24 v45, v3, 12, v44
	v_lshl_add_u32 v30, v6, 2, v16
	v_dual_lshrrev_b32 v6, 2, v2 :: v_dual_bitop2_b32 v3, 15, v0 bitop3:0x40
	v_dual_add_nc_u32 v53, v43, v7 :: v_dual_bitop2_b32 v0, 48, v0 bitop3:0x40
	v_or_b32_e32 v10, 32, v18
	v_dual_ashrrev_i32 v23, 31, v22 :: v_dual_ashrrev_i32 v25, 31, v24
	s_lshl_b32 s40, s88, 3
	s_lshl_b32 s42, s88, 4
	s_mul_i32 s44, s88, 24
	v_cmp_gt_i32_e64 s5, s30, v8
	v_dual_ashrrev_i32 v31, 31, v30 :: v_dual_bitop2_b32 v14, 3, v9 bitop3:0x54
	v_cmp_lt_u32_e64 s7, v11, v18
	v_mul_u32_u24_e32 v11, 0x84, v11
	v_cmp_lt_u32_e64 s8, v13, v18
	s_lshl_b32 s46, s88, 5
	v_cmp_gt_i32_e64 s15, s15, v8
	s_and_b32 s17, s17, vcc_lo
	s_mul_i32 s50, s18, s92
	v_mad_u32_u24 v47, 0x430, v1, v40
	v_and_b32_e32 v6, 0x1ffc, v6
	v_mul_u32_u24_e32 v8, 0x10c, v3
	v_lshlrev_b32_e32 v0, 2, v0
	v_cmp_gt_i32_e64 s11, s30, v10
	v_and_b32_e32 v13, 0x7ff0, v2
	v_or_b32_e32 v10, 60, v40
	s_ashr_i32 s41, s40, 31
	s_ashr_i32 s43, s42, 31
	s_ashr_i32 s45, s44, 31
	s_ashr_i32 s31, s30, 31
	s_ashr_i32 s47, s46, 31
	s_xor_b32 s54, s17, -1
	s_ashr_i32 s51, s50, 31
	s_cmp_gt_i32 s33, 0
	v_sub_nc_u64_e32 v[32:33], 0, v[24:25]
	v_sub_nc_u64_e32 v[34:35], 0, v[16:17]
	v_add_nc_u32_e32 v41, 0x11c0, v40
	v_cmp_gt_i32_e64 s1, s30, v18
	v_cmp_lt_u32_e64 s6, v9, v18
	v_cmp_lt_u32_e64 s9, v14, v18
	v_cmp_gt_u32_e64 s10, 32, v2
	s_cselect_b32 s102, -1, 0
	s_lshl_b32 s103, s18, 6
	v_add_nc_u32_e32 v17, 0x10c0, v40
	v_lshl_add_u32 v46, v1, 4, 0x10c0
	v_mad_u32_u24 v48, 0x10c, v3, v6
	v_cmp_gt_u32_e64 s18, 64, v2
	v_mad_u32_u24 v49, 0x10c, v3, v0
	v_mad_i32_i24 v51, 0xfffffcdc, v1, v47
	v_dual_ashrrev_i32 v21, 31, v20 :: v_dual_add_nc_u32 v55, v4, v5
	v_add_nc_u32_e32 v52, 0x11c0, v9
	v_add_nc_u32_e32 v54, v8, v13
	v_mad_u32_u24 v50, 0x10c, v3, v10
	v_dual_add_nc_u32 v56, v4, v12 :: v_dual_add_nc_u32 v57, v4, v11
	s_sub_nc_u64 s[48:49], 0, s[46:47]
	s_sub_nc_u64 s[50:51], 0, s[50:51]
	;; [unrolled: 1-line block ×3, first 2 shown]
	s_and_b32 s104, s0, s54
	s_lshl_b64 s[54:55], s[88:89], 5
	s_sub_nc_u64 s[56:57], 0, s[30:31]
	s_lshl_b64 s[58:59], s[88:89], 2
	s_lshl_b64 s[60:61], s[88:89], 3
	;; [unrolled: 1-line block ×3, first 2 shown]
	s_mul_u64 s[64:65], s[88:89], 12
	s_lshl_b64 s[66:67], s[88:89], 6
	s_mul_u64 s[68:69], s[88:89], 0x48
	s_mul_u64 s[70:71], s[88:89], 0x4c
	s_lshl_b64 s[72:73], s[88:89], 7
	s_mul_u64 s[74:75], s[88:89], 0x88
	s_mul_u64 s[76:77], s[88:89], 0x8c
	;; [unrolled: 1-line block ×8, first 2 shown]
	s_lshl_b64 s[92:93], s[92:93], 2
	s_lshl_b64 s[26:27], s[26:27], 2
	;; [unrolled: 1-line block ×3, first 2 shown]
	s_branch .LBB153_4
.LBB153_2:                              ;   in Loop: Header=BB153_4 Depth=1
	s_wait_xcnt 0x0
	s_or_b32 exec_lo, exec_lo, s96
.LBB153_3:                              ;   in Loop: Header=BB153_4 Depth=1
	s_add_co_i32 s28, s28, 0x10000
	s_delay_alu instid0(SALU_CYCLE_1)
	s_cmp_lt_u32 s28, s19
	s_cbranch_scc0 .LBB153_81
.LBB153_4:                              ; =>This Loop Header: Depth=1
                                        ;     Child Loop BB153_69 Depth 2
	s_and_not1_b32 vcc_lo, exec_lo, s99
	s_cbranch_vccnz .LBB153_3
; %bb.5:                                ;   in Loop: Header=BB153_4 Depth=1
	s_and_b32 vcc_lo, exec_lo, s98
	s_cbranch_vccz .LBB153_7
; %bb.6:                                ;   in Loop: Header=BB153_4 Depth=1
	s_cbranch_execnz .LBB153_3
	s_branch .LBB153_8
.LBB153_7:                              ;   in Loop: Header=BB153_4 Depth=1
.LBB153_8:                              ;   in Loop: Header=BB153_4 Depth=1
	v_mov_b32_e32 v0, s28
	s_clause 0x1
	global_load_b64 v[2:3], v0, s[24:25] scale_offset
	global_load_b64 v[0:1], v0, s[20:21] scale_offset
	s_wait_loadcnt 0x1
	v_add_nc_u64_e32 v[2:3], s[26:27], v[2:3]
	s_delay_alu instid0(VALU_DEP_1)
	v_lshl_add_u64 v[4:5], v[22:23], 2, v[2:3]
	s_wait_xcnt 0x0
	s_and_saveexec_b32 s94, s0
	s_cbranch_execz .LBB153_12
; %bb.9:                                ;   in Loop: Header=BB153_4 Depth=1
	v_mov_b32_e32 v2, 0
	s_and_saveexec_b32 s95, s101
	s_cbranch_execz .LBB153_11
; %bb.10:                               ;   in Loop: Header=BB153_4 Depth=1
	flat_load_b32 v2, v[4:5]
.LBB153_11:                             ;   in Loop: Header=BB153_4 Depth=1
	s_wait_xcnt 0x0
	s_or_b32 exec_lo, exec_lo, s95
	s_wait_loadcnt_dscnt 0x0
	ds_store_b32 v41, v2
.LBB153_12:                             ;   in Loop: Header=BB153_4 Depth=1
	s_or_b32 exec_lo, exec_lo, s94
	s_wait_loadcnt 0x0
	v_add_nc_u64_e32 v[0:1], s[22:23], v[0:1]
	s_and_not1_b32 vcc_lo, exec_lo, s100
	s_mov_b32 s94, -1
	s_delay_alu instid0(VALU_DEP_1) | instskip(NEXT) | instid1(VALU_DEP_1)
	v_add_nc_u64_e32 v[0:1], s[92:93], v[0:1]
	v_lshl_add_u64 v[0:1], v[24:25], 2, v[0:1]
	s_delay_alu instid0(VALU_DEP_1)
	v_lshl_add_u64 v[0:1], s[38:39], 2, v[0:1]
	s_cbranch_vccnz .LBB153_14
; %bb.13:                               ;   in Loop: Header=BB153_4 Depth=1
	s_delay_alu instid0(VALU_DEP_1) | instskip(SKIP_1) | instid1(VALU_DEP_1)
	v_lshl_add_u64 v[2:3], s[40:41], 2, v[0:1]
	s_mov_b32 s94, 0
	v_add_nc_u64_e32 v[6:7], s[54:55], v[2:3]
	s_delay_alu instid0(VALU_DEP_1)
	v_add_nc_u64_e32 v[8:9], s[54:55], v[6:7]
	s_clause 0x3
	flat_load_b32 v10, v[0:1]
	flat_load_b32 v2, v[2:3]
	;; [unrolled: 1-line block ×4, first 2 shown]
	s_wait_loadcnt_dscnt 0x303
	ds_store_b32 v55, v10
	s_wait_loadcnt_dscnt 0x203
	ds_store_b32 v55, v2 offset:1056
	s_wait_loadcnt_dscnt 0x103
	ds_store_b32 v55, v3 offset:2112
	;; [unrolled: 2-line block ×3, first 2 shown]
.LBB153_14:                             ;   in Loop: Header=BB153_4 Depth=1
	s_and_not1_b32 vcc_lo, exec_lo, s94
	s_cbranch_vccnz .LBB153_24
; %bb.15:                               ;   in Loop: Header=BB153_4 Depth=1
	s_delay_alu instid0(VALU_DEP_1) | instskip(SKIP_1) | instid1(VALU_DEP_2)
	v_lshl_add_u64 v[2:3], v[28:29], 2, v[0:1]
	v_mov_b32_e32 v6, 0
	v_lshl_add_u64 v[2:3], s[30:31], 2, v[2:3]
	s_delay_alu instid0(VALU_DEP_1) | instskip(NEXT) | instid1(VALU_DEP_1)
	v_add_nc_u64_e32 v[2:3], -4, v[2:3]
	v_dual_mov_b32 v7, 0 :: v_dual_cndmask_b32 v3, v3, v1, s1
	s_delay_alu instid0(VALU_DEP_2)
	v_cndmask_b32_e64 v2, v2, v0, s1
	s_wait_xcnt 0x0
	s_and_saveexec_b32 s94, s2
	s_cbranch_execz .LBB153_17
; %bb.16:                               ;   in Loop: Header=BB153_4 Depth=1
	flat_load_b32 v6, v[2:3]
.LBB153_17:                             ;   in Loop: Header=BB153_4 Depth=1
	s_wait_xcnt 0x0
	s_or_b32 exec_lo, exec_lo, s94
	s_wait_loadcnt_dscnt 0x0
	ds_store_b32 v55, v6
	s_and_saveexec_b32 s94, s3
	s_cbranch_execz .LBB153_19
; %bb.18:                               ;   in Loop: Header=BB153_4 Depth=1
	v_lshl_add_u64 v[6:7], s[40:41], 2, v[2:3]
	flat_load_b32 v7, v[6:7]
.LBB153_19:                             ;   in Loop: Header=BB153_4 Depth=1
	s_wait_xcnt 0x0
	s_or_b32 exec_lo, exec_lo, s94
	v_dual_mov_b32 v6, 0 :: v_dual_mov_b32 v8, 0
	s_wait_loadcnt_dscnt 0x0
	ds_store_b32 v55, v7 offset:1056
	s_and_saveexec_b32 s94, s4
	s_cbranch_execz .LBB153_21
; %bb.20:                               ;   in Loop: Header=BB153_4 Depth=1
	v_lshl_add_u64 v[8:9], s[42:43], 2, v[2:3]
	flat_load_b32 v8, v[8:9]
.LBB153_21:                             ;   in Loop: Header=BB153_4 Depth=1
	s_wait_xcnt 0x0
	s_or_b32 exec_lo, exec_lo, s94
	s_wait_loadcnt_dscnt 0x0
	ds_store_b32 v55, v8 offset:2112
	s_and_saveexec_b32 s94, s5
	s_cbranch_execz .LBB153_23
; %bb.22:                               ;   in Loop: Header=BB153_4 Depth=1
	v_lshl_add_u64 v[6:7], s[44:45], 2, v[2:3]
	flat_load_b32 v6, v[6:7]
.LBB153_23:                             ;   in Loop: Header=BB153_4 Depth=1
	s_wait_xcnt 0x0
	s_or_b32 exec_lo, exec_lo, s94
	v_lshlrev_b32_e32 v26, 2, v18
	s_wait_loadcnt_dscnt 0x0
	ds_store_b32 v55, v6 offset:3168
	v_add_nc_u64_e32 v[2:3], v[2:3], v[26:27]
	s_delay_alu instid0(VALU_DEP_1) | instskip(NEXT) | instid1(VALU_DEP_1)
	v_lshl_add_u64 v[2:3], s[56:57], 2, v[2:3]
	v_add_nc_u64_e32 v[2:3], 4, v[2:3]
	s_delay_alu instid0(VALU_DEP_1)
	v_dual_cndmask_b32 v1, v3, v1, s1 :: v_dual_cndmask_b32 v0, v2, v0, s1
.LBB153_24:                             ;   in Loop: Header=BB153_4 Depth=1
	s_wait_dscnt 0x0
	s_barrier_signal -1
	s_barrier_wait -1
	s_wait_xcnt 0x0
	s_and_saveexec_b32 s94, s6
	s_cbranch_execnz .LBB153_75
; %bb.25:                               ;   in Loop: Header=BB153_4 Depth=1
	s_or_b32 exec_lo, exec_lo, s94
	s_and_saveexec_b32 s94, s7
	s_cbranch_execnz .LBB153_76
.LBB153_26:                             ;   in Loop: Header=BB153_4 Depth=1
	s_or_b32 exec_lo, exec_lo, s94
	s_and_saveexec_b32 s94, s8
	s_cbranch_execnz .LBB153_77
.LBB153_27:                             ;   in Loop: Header=BB153_4 Depth=1
	s_or_b32 exec_lo, exec_lo, s94
	s_and_saveexec_b32 s94, s9
	s_cbranch_execz .LBB153_29
.LBB153_28:                             ;   in Loop: Header=BB153_4 Depth=1
	ds_load_b32 v2, v57 offset:264
	s_wait_dscnt 0x0
	ds_store_b32 v42, v2 offset:12
.LBB153_29:                             ;   in Loop: Header=BB153_4 Depth=1
	s_or_b32 exec_lo, exec_lo, s94
	s_wait_dscnt 0x0
	s_barrier_signal -1
	s_barrier_wait -1
	ds_load_2addr_b32 v[2:3], v57 offset1:33
	ds_load_b32 v10, v56
	ds_load_b128 v[6:9], v43
	ds_load_b32 v13, v57 offset:264
	s_wait_dscnt 0x0
	s_barrier_signal -1
	s_barrier_wait -1
	v_dual_mov_b32 v58, 0 :: v_dual_mov_b32 v11, v2
	v_mov_b32_e32 v12, v3
	s_delay_alu instid0(VALU_DEP_2) | instskip(NEXT) | instid1(VALU_DEP_2)
	v_pk_mul_f32 v[6:7], v[10:11], v[6:7]
	v_pk_mul_f32 v[2:3], v[12:13], v[8:9]
	s_delay_alu instid0(VALU_DEP_2) | instskip(NEXT) | instid1(VALU_DEP_1)
	v_add_f32_e32 v6, 0, v6
	v_add_f32_e32 v6, v6, v7
	s_delay_alu instid0(VALU_DEP_1) | instskip(NEXT) | instid1(VALU_DEP_1)
	v_add_f32_e32 v2, v6, v2
	v_add_f32_e32 v2, v2, v3
	ds_store_b32 v44, v2
	s_wait_dscnt 0x0
	s_barrier_signal -1
	s_barrier_wait -1
	s_and_saveexec_b32 s94, s10
	s_cbranch_execz .LBB153_31
; %bb.30:                               ;   in Loop: Header=BB153_4 Depth=1
	ds_load_2addr_b32 v[2:3], v19 offset1:1
	ds_load_2addr_b32 v[6:7], v19 offset0:2 offset1:3
	ds_load_2addr_b32 v[8:9], v19 offset0:4 offset1:5
	ds_load_2addr_b32 v[10:11], v19 offset0:6 offset1:7
	s_wait_dscnt 0x3
	v_add_f32_e32 v2, v2, v3
	s_wait_dscnt 0x2
	s_delay_alu instid0(VALU_DEP_1) | instskip(NEXT) | instid1(VALU_DEP_1)
	v_add_f32_e32 v2, v2, v6
	v_add_f32_e32 v2, v2, v7
	s_wait_dscnt 0x1
	s_delay_alu instid0(VALU_DEP_1) | instskip(NEXT) | instid1(VALU_DEP_1)
	v_add_f32_e32 v2, v2, v8
	;; [unrolled: 4-line block ×3, first 2 shown]
	v_add_f32_e32 v58, v2, v11
.LBB153_31:                             ;   in Loop: Header=BB153_4 Depth=1
	s_or_b32 exec_lo, exec_lo, s94
	v_lshl_add_u64 v[2:3], s[46:47], 2, v[0:1]
	s_and_not1_b32 vcc_lo, exec_lo, s100
	s_mov_b32 s94, -1
	s_barrier_signal -1
	s_barrier_wait -1
	s_cbranch_vccnz .LBB153_33
; %bb.32:                               ;   in Loop: Header=BB153_4 Depth=1
	v_lshl_add_u64 v[0:1], s[40:41], 2, v[2:3]
	s_mov_b32 s94, 0
	s_delay_alu instid0(VALU_DEP_1) | instskip(NEXT) | instid1(VALU_DEP_1)
	v_add_nc_u64_e32 v[6:7], s[54:55], v[0:1]
	v_add_nc_u64_e32 v[8:9], s[54:55], v[6:7]
	s_clause 0x3
	flat_load_b32 v10, v[2:3] offset:128
	flat_load_b32 v0, v[0:1] offset:128
	;; [unrolled: 1-line block ×4, first 2 shown]
	s_wait_loadcnt_dscnt 0x303
	ds_store_b32 v55, v10
	s_wait_loadcnt_dscnt 0x203
	ds_store_b32 v55, v0 offset:1056
	s_wait_loadcnt_dscnt 0x103
	ds_store_b32 v55, v1 offset:2112
	;; [unrolled: 2-line block ×3, first 2 shown]
.LBB153_33:                             ;   in Loop: Header=BB153_4 Depth=1
	v_add_nc_u64_e32 v[0:1], 0x80, v[2:3]
	s_and_not1_b32 vcc_lo, exec_lo, s94
	s_cbranch_vccnz .LBB153_43
; %bb.34:                               ;   in Loop: Header=BB153_4 Depth=1
	v_lshl_add_u64 v[2:3], v[28:29], 2, v[2:3]
	v_mov_b32_e32 v6, 0
	s_delay_alu instid0(VALU_DEP_2) | instskip(NEXT) | instid1(VALU_DEP_1)
	v_lshl_add_u64 v[2:3], s[30:31], 2, v[2:3]
	v_add_nc_u64_e32 v[2:3], -4, v[2:3]
	s_delay_alu instid0(VALU_DEP_1) | instskip(NEXT) | instid1(VALU_DEP_2)
	v_dual_mov_b32 v7, 0 :: v_dual_cndmask_b32 v3, v3, v1, s11
	v_cndmask_b32_e64 v2, v2, v0, s11
	s_wait_xcnt 0x0
	s_and_saveexec_b32 s94, s12
	s_cbranch_execz .LBB153_36
; %bb.35:                               ;   in Loop: Header=BB153_4 Depth=1
	flat_load_b32 v6, v[2:3]
.LBB153_36:                             ;   in Loop: Header=BB153_4 Depth=1
	s_wait_xcnt 0x0
	s_or_b32 exec_lo, exec_lo, s94
	s_wait_loadcnt_dscnt 0x0
	ds_store_b32 v55, v6
	s_and_saveexec_b32 s94, s13
	s_cbranch_execz .LBB153_38
; %bb.37:                               ;   in Loop: Header=BB153_4 Depth=1
	v_lshl_add_u64 v[6:7], s[40:41], 2, v[2:3]
	flat_load_b32 v7, v[6:7]
.LBB153_38:                             ;   in Loop: Header=BB153_4 Depth=1
	s_wait_xcnt 0x0
	s_or_b32 exec_lo, exec_lo, s94
	v_dual_mov_b32 v6, 0 :: v_dual_mov_b32 v8, 0
	s_wait_loadcnt_dscnt 0x0
	ds_store_b32 v55, v7 offset:1056
	s_and_saveexec_b32 s94, s14
	s_cbranch_execz .LBB153_40
; %bb.39:                               ;   in Loop: Header=BB153_4 Depth=1
	v_lshl_add_u64 v[8:9], s[42:43], 2, v[2:3]
	flat_load_b32 v8, v[8:9]
.LBB153_40:                             ;   in Loop: Header=BB153_4 Depth=1
	s_wait_xcnt 0x0
	s_or_b32 exec_lo, exec_lo, s94
	s_wait_loadcnt_dscnt 0x0
	ds_store_b32 v55, v8 offset:2112
	s_and_saveexec_b32 s94, s15
	s_cbranch_execz .LBB153_42
; %bb.41:                               ;   in Loop: Header=BB153_4 Depth=1
	v_lshl_add_u64 v[6:7], s[44:45], 2, v[2:3]
	flat_load_b32 v6, v[6:7]
.LBB153_42:                             ;   in Loop: Header=BB153_4 Depth=1
	s_wait_xcnt 0x0
	s_or_b32 exec_lo, exec_lo, s94
	v_lshlrev_b32_e32 v26, 2, v18
	s_wait_loadcnt_dscnt 0x0
	ds_store_b32 v55, v6 offset:3168
	v_add_nc_u64_e32 v[2:3], v[2:3], v[26:27]
	s_delay_alu instid0(VALU_DEP_1) | instskip(NEXT) | instid1(VALU_DEP_1)
	v_lshl_add_u64 v[2:3], s[56:57], 2, v[2:3]
	v_add_nc_u64_e32 v[2:3], 0x84, v[2:3]
	s_delay_alu instid0(VALU_DEP_1)
	v_dual_cndmask_b32 v1, v3, v1, s11 :: v_dual_cndmask_b32 v0, v2, v0, s11
.LBB153_43:                             ;   in Loop: Header=BB153_4 Depth=1
	s_wait_dscnt 0x0
	s_barrier_signal -1
	s_barrier_wait -1
	s_wait_xcnt 0x0
	s_and_saveexec_b32 s94, s6
	s_cbranch_execnz .LBB153_78
; %bb.44:                               ;   in Loop: Header=BB153_4 Depth=1
	s_or_b32 exec_lo, exec_lo, s94
	s_and_saveexec_b32 s94, s7
	s_cbranch_execnz .LBB153_79
.LBB153_45:                             ;   in Loop: Header=BB153_4 Depth=1
	s_or_b32 exec_lo, exec_lo, s94
	s_and_saveexec_b32 s94, s8
	s_cbranch_execnz .LBB153_80
.LBB153_46:                             ;   in Loop: Header=BB153_4 Depth=1
	s_or_b32 exec_lo, exec_lo, s94
	s_and_saveexec_b32 s94, s9
	s_cbranch_execz .LBB153_48
.LBB153_47:                             ;   in Loop: Header=BB153_4 Depth=1
	ds_load_b32 v2, v57 offset:264
	s_wait_dscnt 0x0
	ds_store_b32 v42, v2 offset:12
.LBB153_48:                             ;   in Loop: Header=BB153_4 Depth=1
	s_or_b32 exec_lo, exec_lo, s94
	s_wait_dscnt 0x0
	s_barrier_signal -1
	s_barrier_wait -1
	ds_load_2addr_b32 v[2:3], v57 offset1:33
	ds_load_b32 v10, v56
	ds_load_b128 v[6:9], v43 offset:128
	ds_load_b32 v13, v57 offset:264
	s_wait_dscnt 0x0
	s_barrier_signal -1
	s_barrier_wait -1
	v_dual_mov_b32 v11, v2 :: v_dual_mov_b32 v12, v3
	s_delay_alu instid0(VALU_DEP_1) | instskip(NEXT) | instid1(VALU_DEP_2)
	v_pk_mul_f32 v[6:7], v[10:11], v[6:7]
	v_pk_mul_f32 v[2:3], v[12:13], v[8:9]
	s_delay_alu instid0(VALU_DEP_2) | instskip(NEXT) | instid1(VALU_DEP_1)
	v_add_f32_e32 v6, 0, v6
	v_add_f32_e32 v6, v6, v7
	s_delay_alu instid0(VALU_DEP_1) | instskip(NEXT) | instid1(VALU_DEP_1)
	v_add_f32_e32 v2, v6, v2
	v_add_f32_e32 v2, v2, v3
	ds_store_b32 v44, v2
	s_wait_dscnt 0x0
	s_barrier_signal -1
	s_barrier_wait -1
	s_and_saveexec_b32 s94, s16
	s_cbranch_execz .LBB153_50
; %bb.49:                               ;   in Loop: Header=BB153_4 Depth=1
	ds_load_2addr_b32 v[2:3], v19 offset1:1
	ds_load_2addr_b32 v[6:7], v19 offset0:2 offset1:3
	ds_load_2addr_b32 v[8:9], v19 offset0:4 offset1:5
	;; [unrolled: 1-line block ×3, first 2 shown]
	s_wait_dscnt 0x3
	v_add_f32_e32 v2, v2, v3
	s_wait_dscnt 0x2
	s_delay_alu instid0(VALU_DEP_1) | instskip(NEXT) | instid1(VALU_DEP_1)
	v_add_f32_e32 v2, v2, v6
	v_add_f32_e32 v2, v2, v7
	s_wait_dscnt 0x1
	s_delay_alu instid0(VALU_DEP_1) | instskip(NEXT) | instid1(VALU_DEP_1)
	v_add_f32_e32 v2, v2, v8
	v_add_f32_e32 v2, v2, v9
	s_wait_dscnt 0x0
	s_delay_alu instid0(VALU_DEP_1) | instskip(NEXT) | instid1(VALU_DEP_1)
	v_add_f32_e32 v2, v2, v10
	v_add_f32_e32 v58, v2, v11
.LBB153_50:                             ;   in Loop: Header=BB153_4 Depth=1
	s_or_b32 exec_lo, exec_lo, s94
	v_lshl_add_u64 v[6:7], s[48:49], 2, v[0:1]
	s_and_not1_b32 vcc_lo, exec_lo, s100
	s_mov_b32 s94, -1
	s_barrier_signal -1
	s_barrier_wait -1
	s_cbranch_vccnz .LBB153_52
; %bb.51:                               ;   in Loop: Header=BB153_4 Depth=1
	v_lshl_add_u64 v[0:1], s[40:41], 2, v[6:7]
	s_mov_b32 s94, 0
	s_delay_alu instid0(VALU_DEP_1) | instskip(NEXT) | instid1(VALU_DEP_1)
	v_add_nc_u64_e32 v[2:3], s[54:55], v[0:1]
	v_add_nc_u64_e32 v[8:9], s[54:55], v[2:3]
	s_clause 0x3
	flat_load_b32 v10, v[6:7]
	flat_load_b32 v0, v[0:1]
	;; [unrolled: 1-line block ×4, first 2 shown]
	s_wait_loadcnt_dscnt 0x303
	ds_store_b32 v55, v10
	s_wait_loadcnt_dscnt 0x203
	ds_store_b32 v55, v0 offset:1056
	s_wait_loadcnt_dscnt 0x103
	ds_store_b32 v55, v1 offset:2112
	s_wait_loadcnt_dscnt 0x3
	ds_store_b32 v55, v2 offset:3168
.LBB153_52:                             ;   in Loop: Header=BB153_4 Depth=1
	s_and_not1_b32 vcc_lo, exec_lo, s94
	s_cbranch_vccnz .LBB153_62
; %bb.53:                               ;   in Loop: Header=BB153_4 Depth=1
	v_lshl_add_u64 v[0:1], v[28:29], 2, v[6:7]
	v_mov_b32_e32 v2, 0
	s_delay_alu instid0(VALU_DEP_2) | instskip(NEXT) | instid1(VALU_DEP_1)
	v_lshl_add_u64 v[0:1], s[30:31], 2, v[0:1]
	v_add_nc_u64_e32 v[0:1], s[90:91], v[0:1]
	s_delay_alu instid0(VALU_DEP_1) | instskip(NEXT) | instid1(VALU_DEP_2)
	v_dual_mov_b32 v3, 0 :: v_dual_cndmask_b32 v1, v1, v7, s11
	v_cndmask_b32_e64 v0, v0, v6, s11
	s_wait_xcnt 0x0
	s_and_saveexec_b32 s94, s2
	s_cbranch_execz .LBB153_55
; %bb.54:                               ;   in Loop: Header=BB153_4 Depth=1
	flat_load_b32 v2, v[0:1]
.LBB153_55:                             ;   in Loop: Header=BB153_4 Depth=1
	s_wait_xcnt 0x0
	s_or_b32 exec_lo, exec_lo, s94
	s_wait_loadcnt_dscnt 0x0
	ds_store_b32 v55, v2
	s_and_saveexec_b32 s94, s3
	s_cbranch_execz .LBB153_57
; %bb.56:                               ;   in Loop: Header=BB153_4 Depth=1
	v_lshl_add_u64 v[2:3], s[40:41], 2, v[0:1]
	flat_load_b32 v3, v[2:3]
.LBB153_57:                             ;   in Loop: Header=BB153_4 Depth=1
	s_wait_xcnt 0x0
	s_or_b32 exec_lo, exec_lo, s94
	v_dual_mov_b32 v2, 0 :: v_dual_mov_b32 v8, 0
	s_wait_loadcnt_dscnt 0x0
	ds_store_b32 v55, v3 offset:1056
	s_and_saveexec_b32 s94, s4
	s_cbranch_execz .LBB153_59
; %bb.58:                               ;   in Loop: Header=BB153_4 Depth=1
	v_lshl_add_u64 v[8:9], s[42:43], 2, v[0:1]
	flat_load_b32 v8, v[8:9]
.LBB153_59:                             ;   in Loop: Header=BB153_4 Depth=1
	s_wait_xcnt 0x0
	s_or_b32 exec_lo, exec_lo, s94
	s_wait_loadcnt_dscnt 0x0
	ds_store_b32 v55, v8 offset:2112
	s_and_saveexec_b32 s94, s5
	s_cbranch_execz .LBB153_61
; %bb.60:                               ;   in Loop: Header=BB153_4 Depth=1
	v_lshl_add_u64 v[2:3], s[44:45], 2, v[0:1]
	flat_load_b32 v2, v[2:3]
.LBB153_61:                             ;   in Loop: Header=BB153_4 Depth=1
	s_wait_xcnt 0x0
	s_or_b32 exec_lo, exec_lo, s94
	v_lshlrev_b32_e32 v26, 2, v18
	s_wait_loadcnt_dscnt 0x0
	ds_store_b32 v55, v2 offset:3168
	v_add_nc_u64_e32 v[0:1], v[0:1], v[26:27]
	s_delay_alu instid0(VALU_DEP_1) | instskip(NEXT) | instid1(VALU_DEP_1)
	v_lshl_add_u64 v[0:1], s[56:57], 2, v[0:1]
	v_add_nc_u64_e32 v[0:1], 0x84, v[0:1]
	s_delay_alu instid0(VALU_DEP_1)
	v_dual_cndmask_b32 v7, v1, v7, s11 :: v_dual_cndmask_b32 v6, v0, v6, s11
.LBB153_62:                             ;   in Loop: Header=BB153_4 Depth=1
	s_wait_dscnt 0x0
	s_barrier_signal -1
	s_barrier_wait -1
	ds_load_2addr_b32 v[0:1], v52 offset0:8 offset1:16
	ds_load_b32 v2, v55
	ds_load_b32 v3, v55 offset:1056
	ds_load_b32 v12, v55 offset:2112
	;; [unrolled: 1-line block ×3, first 2 shown]
	s_wait_xcnt 0x0
	ds_load_b32 v8, v53
	ds_load_b32 v15, v52 offset:96
	s_wait_dscnt 0x6
	v_dual_mov_b32 v9, v0 :: v_dual_mov_b32 v14, v1
	s_wait_dscnt 0x1
	s_delay_alu instid0(VALU_DEP_1)
	v_pk_mul_f32 v[36:37], v[2:3], v[8:9]
	ds_load_2addr_b32 v[10:11], v45 offset1:1
	ds_load_b128 v[0:3], v43 offset:128
	ds_load_2addr_b32 v[8:9], v45 offset0:2 offset1:3
	s_wait_dscnt 0x3
	v_pk_mul_f32 v[12:13], v[12:13], v[14:15]
	s_wait_dscnt 0x0
	s_barrier_signal -1
	v_add_f32_e32 v26, 0, v36
	s_barrier_wait -1
	s_delay_alu instid0(VALU_DEP_1) | instskip(NEXT) | instid1(VALU_DEP_1)
	v_add_f32_e32 v14, v26, v37
	v_add_f32_e32 v12, v14, v12
	s_delay_alu instid0(VALU_DEP_1)
	v_add_f32_e32 v12, v12, v13
	ds_store_b32 v44, v12
	s_wait_dscnt 0x0
	s_barrier_signal -1
	s_barrier_wait -1
	s_and_saveexec_b32 s94, s16
	s_cbranch_execz .LBB153_64
; %bb.63:                               ;   in Loop: Header=BB153_4 Depth=1
	ds_load_2addr_b32 v[12:13], v19 offset1:1
	ds_load_2addr_b32 v[14:15], v19 offset0:2 offset1:3
	ds_load_2addr_b32 v[36:37], v19 offset0:4 offset1:5
	;; [unrolled: 1-line block ×3, first 2 shown]
	s_wait_dscnt 0x3
	v_add_f32_e32 v12, v58, v12
	s_delay_alu instid0(VALU_DEP_1) | instskip(SKIP_1) | instid1(VALU_DEP_1)
	v_add_f32_e32 v12, v12, v13
	s_wait_dscnt 0x2
	v_add_f32_e32 v12, v12, v14
	s_delay_alu instid0(VALU_DEP_1) | instskip(SKIP_1) | instid1(VALU_DEP_1)
	v_add_f32_e32 v12, v12, v15
	;; [unrolled: 4-line block ×3, first 2 shown]
	s_wait_dscnt 0x0
	v_add_f32_e32 v12, v12, v38
	s_delay_alu instid0(VALU_DEP_1)
	v_add_f32_e32 v58, v12, v39
.LBB153_64:                             ;   in Loop: Header=BB153_4 Depth=1
	s_or_b32 exec_lo, exec_lo, s94
	v_fma_f32 v0, v10, v0, 0
	s_barrier_signal -1
	s_barrier_wait -1
	s_delay_alu instid0(VALU_DEP_1) | instskip(NEXT) | instid1(VALU_DEP_1)
	v_fmac_f32_e32 v0, v11, v1
	v_fmac_f32_e32 v0, v8, v2
	s_delay_alu instid0(VALU_DEP_1)
	v_fmac_f32_e32 v0, v9, v3
	ds_store_b32 v44, v0
	s_wait_dscnt 0x0
	s_barrier_signal -1
	s_barrier_wait -1
	s_and_saveexec_b32 s94, s10
	s_cbranch_execz .LBB153_66
; %bb.65:                               ;   in Loop: Header=BB153_4 Depth=1
	ds_load_2addr_b32 v[0:1], v19 offset1:1
	ds_load_2addr_b32 v[2:3], v19 offset0:2 offset1:3
	ds_load_2addr_b32 v[8:9], v19 offset0:4 offset1:5
	;; [unrolled: 1-line block ×3, first 2 shown]
	s_wait_dscnt 0x3
	v_add_f32_e32 v0, v58, v0
	s_delay_alu instid0(VALU_DEP_1) | instskip(SKIP_1) | instid1(VALU_DEP_1)
	v_add_f32_e32 v0, v0, v1
	s_wait_dscnt 0x2
	v_add_f32_e32 v0, v0, v2
	s_delay_alu instid0(VALU_DEP_1) | instskip(SKIP_1) | instid1(VALU_DEP_1)
	v_add_f32_e32 v0, v0, v3
	;; [unrolled: 4-line block ×3, first 2 shown]
	s_wait_dscnt 0x0
	v_add_f32_e32 v0, v0, v10
	s_delay_alu instid0(VALU_DEP_1)
	v_add_f32_e32 v58, v0, v11
.LBB153_66:                             ;   in Loop: Header=BB153_4 Depth=1
	s_or_b32 exec_lo, exec_lo, s94
	s_mul_u64 s[94:95], s[34:35], s[28:29]
	s_and_not1_b32 vcc_lo, exec_lo, s102
	s_lshl_b64 s[94:95], s[94:95], 2
	s_delay_alu instid0(SALU_CYCLE_1)
	s_add_nc_u64 s[94:95], s[36:37], s[94:95]
	s_barrier_signal -1
	s_barrier_wait -1
	s_cbranch_vccnz .LBB153_73
; %bb.67:                               ;   in Loop: Header=BB153_4 Depth=1
	v_lshl_add_u64 v[0:1], s[52:53], 2, v[6:7]
	s_mov_b64 s[96:97], 0xffffffffffffff80
	v_lshl_add_u64 v[36:37], s[50:51], 2, v[4:5]
	v_mov_b32_e32 v26, v16
	s_mov_b32 vcc_lo, s33
	v_lshl_add_u64 v[0:1], v[32:33], 2, v[0:1]
	s_delay_alu instid0(VALU_DEP_1) | instskip(NEXT) | instid1(VALU_DEP_1)
	v_lshl_add_u64 v[0:1], v[30:31], 2, v[0:1]
	v_lshl_add_u64 v[2:3], v[34:35], 2, v[0:1]
	v_add_nc_u64_e32 v[0:1], s[96:97], v[0:1]
	s_mov_b32 s96, 0
	s_delay_alu instid0(VALU_DEP_2) | instskip(NEXT) | instid1(VALU_DEP_1)
	v_lshl_add_u64 v[2:3], s[30:31], 2, v[2:3]
	v_add_nc_u64_e32 v[2:3], s[90:91], v[2:3]
	s_delay_alu instid0(VALU_DEP_1)
	v_dual_cndmask_b32 v39, v1, v3, s17 :: v_dual_cndmask_b32 v38, v0, v2, s17
	s_branch .LBB153_69
.LBB153_68:                             ;   in Loop: Header=BB153_69 Depth=2
	s_wait_xcnt 0x0
	s_or_b32 exec_lo, exec_lo, s97
	v_dual_fmac_f32 v58, v62, v0 :: v_dual_add_nc_u32 v26, 64, v26
	v_add_nc_u64_e32 v[38:39], s[62:63], v[38:39]
	s_add_co_i32 vcc_lo, vcc_lo, -1
	s_add_co_i32 s96, s96, s103
	s_delay_alu instid0(VALU_DEP_2)
	v_fmac_f32_e32 v58, v61, v1
	s_cmp_eq_u32 vcc_lo, 0
	s_wait_storecnt 0x0
	s_barrier_signal -1
	s_barrier_wait -1
	v_fmac_f32_e32 v58, v60, v2
	s_delay_alu instid0(VALU_DEP_1) | instskip(NEXT) | instid1(VALU_DEP_1)
	v_fmac_f32_e32 v58, v59, v3
	v_fmac_f32_e32 v58, v66, v4
	s_delay_alu instid0(VALU_DEP_1) | instskip(NEXT) | instid1(VALU_DEP_1)
	v_fmac_f32_e32 v58, v65, v5
	;; [unrolled: 3-line block ×6, first 2 shown]
	v_fmac_f32_e32 v58, v72, v14
	s_delay_alu instid0(VALU_DEP_1)
	v_fmac_f32_e32 v58, v71, v15
	s_cbranch_scc1 .LBB153_73
.LBB153_69:                             ;   Parent Loop BB153_4 Depth=1
                                        ; =>  This Inner Loop Header: Depth=2
	s_and_saveexec_b32 vcc_hi, s0
	s_cbranch_execz .LBB153_71
; %bb.70:                               ;   in Loop: Header=BB153_69 Depth=2
	s_ashr_i32 s97, s96, 31
	s_delay_alu instid0(SALU_CYCLE_1)
	v_lshl_add_u64 v[0:1], s[96:97], 2, v[36:37]
	flat_load_b32 v0, v[0:1]
	s_wait_loadcnt_dscnt 0x0
	ds_store_b32 v17, v0
.LBB153_71:                             ;   in Loop: Header=BB153_69 Depth=2
	s_wait_xcnt 0x0
	s_or_b32 exec_lo, exec_lo, vcc_hi
	v_add_nc_u64_e32 v[0:1], s[58:59], v[38:39]
	v_add_nc_u64_e32 v[2:3], s[60:61], v[38:39]
	v_add_nc_u64_e32 v[4:5], s[64:65], v[38:39]
	s_wait_dscnt 0x0
	s_barrier_signal -1
	s_barrier_wait -1
	s_clause 0x3
	flat_load_b32 v62, v[38:39]
	flat_load_b32 v61, v[0:1]
	;; [unrolled: 1-line block ×4, first 2 shown]
	ds_load_b32 v6, v41
	s_wait_xcnt 0x1
	ds_load_b128 v[0:3], v46
	s_wait_xcnt 0x0
	v_add_nc_u64_e32 v[4:5], s[66:67], v[38:39]
	v_add_nc_u64_e32 v[8:9], s[68:69], v[38:39]
	;; [unrolled: 1-line block ×5, first 2 shown]
	s_wait_loadcnt_dscnt 0x201
	v_dual_mul_f32 v12, v62, v6 :: v_dual_mul_f32 v13, v61, v6
	s_wait_loadcnt 0x0
	v_dual_mul_f32 v14, v60, v6 :: v_dual_mul_f32 v15, v59, v6
	v_add_nc_u64_e32 v[6:7], s[88:89], v[38:39]
	ds_store_2addr_b32 v47, v12, v13 offset1:67
	ds_store_2addr_b32 v47, v14, v15 offset0:134 offset1:201
	s_wait_dscnt 0x0
	s_barrier_signal -1
	s_barrier_wait -1
	ds_load_2addr_b32 v[76:77], v54 offset1:1
	ds_load_2addr_b32 v[78:79], v54 offset0:2 offset1:3
	s_wait_dscnt 0x0
	s_barrier_signal -1
	s_barrier_wait -1
	s_clause 0x3
	flat_load_b32 v66, v[4:5]
	flat_load_b32 v65, v[6:7]
	;; [unrolled: 1-line block ×4, first 2 shown]
	s_wait_xcnt 0x3
	ds_load_b32 v4, v41
	s_wait_xcnt 0x1
	v_add_nc_u64_e32 v[8:9], s[72:73], v[38:39]
	s_wait_xcnt 0x0
	v_add_nc_u64_e32 v[10:11], s[86:87], v[38:39]
	v_add_nc_u64_e32 v[12:13], s[74:75], v[38:39]
	;; [unrolled: 1-line block ×3, first 2 shown]
	s_wait_loadcnt_dscnt 0x200
	v_dual_mul_f32 v67, v66, v4 :: v_dual_mul_f32 v68, v65, v4
	s_wait_loadcnt 0x0
	v_dual_mul_f32 v69, v64, v4 :: v_dual_mul_f32 v70, v63, v4
	ds_load_b128 v[4:7], v46 offset:64
	ds_store_2addr_b32 v47, v67, v68 offset1:67
	ds_store_2addr_b32 v47, v69, v70 offset0:134 offset1:201
	s_wait_dscnt 0x0
	s_barrier_signal -1
	s_barrier_wait -1
	ds_load_2addr_b32 v[80:81], v54 offset1:1
	ds_load_2addr_b32 v[82:83], v54 offset0:2 offset1:3
	s_wait_dscnt 0x0
	s_barrier_signal -1
	s_barrier_wait -1
	s_clause 0x3
	flat_load_b32 v70, v[8:9]
	flat_load_b32 v69, v[10:11]
	;; [unrolled: 1-line block ×4, first 2 shown]
	s_wait_xcnt 0x3
	ds_load_b32 v8, v41
	s_wait_xcnt 0x1
	v_add_nc_u64_e32 v[12:13], s[78:79], v[38:39]
	s_wait_xcnt 0x0
	v_add_nc_u64_e32 v[14:15], s[84:85], v[38:39]
	s_wait_loadcnt_dscnt 0x200
	v_dual_mul_f32 v71, v70, v8 :: v_dual_mul_f32 v72, v69, v8
	s_wait_loadcnt 0x0
	v_dual_mul_f32 v73, v68, v8 :: v_dual_mul_f32 v74, v67, v8
	ds_load_b128 v[8:11], v46 offset:128
	ds_store_2addr_b32 v47, v71, v72 offset1:67
	ds_store_2addr_b32 v47, v73, v74 offset0:134 offset1:201
	s_wait_dscnt 0x0
	s_barrier_signal -1
	s_barrier_wait -1
	ds_load_2addr_b32 v[88:89], v54 offset1:1
	ds_load_2addr_b32 v[90:91], v54 offset0:2 offset1:3
	s_wait_dscnt 0x0
	s_barrier_signal -1
	s_barrier_wait -1
	s_clause 0x3
	flat_load_b32 v74, v[12:13]
	flat_load_b32 v73, v[14:15]
	;; [unrolled: 1-line block ×4, first 2 shown]
	s_wait_xcnt 0x3
	ds_load_b32 v12, v41
	s_wait_loadcnt_dscnt 0x200
	s_wait_xcnt 0x1
	v_dual_mul_f32 v75, v74, v12 :: v_dual_mul_f32 v84, v73, v12
	s_wait_loadcnt 0x0
	s_wait_xcnt 0x0
	v_dual_mul_f32 v85, v72, v12 :: v_dual_mul_f32 v86, v71, v12
	ds_load_b128 v[12:15], v46 offset:192
	ds_store_2addr_b32 v47, v75, v84 offset1:67
	ds_store_2addr_b32 v47, v85, v86 offset0:134 offset1:201
	s_wait_dscnt 0x0
	s_barrier_signal -1
	s_barrier_wait -1
	ds_load_2addr_b32 v[84:85], v54 offset1:1
	ds_load_2addr_b32 v[86:87], v54 offset0:2 offset1:3
	v_add_f32_e32 v75, 0, v76
	v_add_f32_e32 v76, 0, v80
	s_wait_dscnt 0x0
	s_barrier_signal -1
	s_barrier_wait -1
	s_delay_alu instid0(VALU_DEP_1) | instskip(SKIP_1) | instid1(VALU_DEP_1)
	v_add_f32_e32 v76, v76, v81
	v_dual_add_f32 v75, v75, v77 :: v_dual_add_f32 v80, 0, v88
	v_dual_add_f32 v75, v75, v78 :: v_dual_add_f32 v77, v80, v89
	s_delay_alu instid0(VALU_DEP_1) | instskip(NEXT) | instid1(VALU_DEP_2)
	v_dual_add_f32 v76, v76, v82 :: v_dual_add_f32 v75, v75, v79
	v_dual_add_f32 v84, 0, v84 :: v_dual_add_f32 v77, v77, v90
	s_delay_alu instid0(VALU_DEP_2) | instskip(NEXT) | instid1(VALU_DEP_2)
	v_add_f32_e32 v76, v76, v83
	v_dual_add_f32 v80, v84, v85 :: v_dual_add_f32 v77, v77, v91
	s_delay_alu instid0(VALU_DEP_1) | instskip(NEXT) | instid1(VALU_DEP_1)
	v_add_f32_e32 v78, v80, v86
	v_add_f32_e32 v78, v78, v87
	ds_store_2addr_b32 v48, v75, v76 offset1:16
	ds_store_2addr_b32 v48, v77, v78 offset0:32 offset1:48
	s_wait_dscnt 0x0
	s_barrier_signal -1
	s_barrier_wait -1
	s_and_saveexec_b32 s97, s18
	s_cbranch_execz .LBB153_68
; %bb.72:                               ;   in Loop: Header=BB153_69 Depth=2
	ds_load_2addr_b32 v[76:77], v49 offset1:1
	ds_load_2addr_b32 v[78:79], v49 offset0:2 offset1:3
	ds_load_2addr_b32 v[80:81], v49 offset0:4 offset1:5
	;; [unrolled: 1-line block ×3, first 2 shown]
	s_wait_dscnt 0x3
	v_add_f32_e32 v75, v76, v77
	ds_load_2addr_b32 v[76:77], v49 offset0:8 offset1:9
	s_wait_dscnt 0x3
	v_add_f32_e32 v75, v75, v78
	s_delay_alu instid0(VALU_DEP_1) | instskip(SKIP_3) | instid1(VALU_DEP_1)
	v_add_f32_e32 v75, v75, v79
	ds_load_2addr_b32 v[78:79], v49 offset0:10 offset1:11
	s_wait_dscnt 0x3
	v_add_f32_e32 v75, v75, v80
	v_add_f32_e32 v75, v75, v81
	s_wait_dscnt 0x2
	s_delay_alu instid0(VALU_DEP_1) | instskip(SKIP_4) | instid1(VALU_DEP_1)
	v_add_f32_e32 v75, v75, v82
	ds_load_2addr_b32 v[80:81], v49 offset0:12 offset1:13
	ds_load_b32 v82, v49 offset:56
	v_add_f32_e32 v75, v75, v83
	s_wait_dscnt 0x3
	v_add_f32_e32 v75, v75, v76
	ds_load_b32 v76, v50
	v_add_f32_e32 v75, v75, v77
	s_wait_dscnt 0x3
	s_delay_alu instid0(VALU_DEP_1) | instskip(NEXT) | instid1(VALU_DEP_1)
	v_add_f32_e32 v75, v75, v78
	v_add_f32_e32 v75, v75, v79
	s_wait_dscnt 0x2
	s_delay_alu instid0(VALU_DEP_1) | instskip(NEXT) | instid1(VALU_DEP_1)
	v_add_f32_e32 v75, v75, v80
	v_add_f32_e32 v75, v75, v81
	s_wait_dscnt 0x1
	s_delay_alu instid0(VALU_DEP_1) | instskip(SKIP_1) | instid1(VALU_DEP_1)
	v_add_f32_e32 v75, v75, v82
	s_wait_dscnt 0x0
	v_add_f32_e32 v75, v75, v76
	global_store_b32 v26, v75, s[94:95] scale_offset
	s_branch .LBB153_68
.LBB153_73:                             ;   in Loop: Header=BB153_4 Depth=1
	ds_store_b32 v51, v58
	s_wait_dscnt 0x0
	s_barrier_signal -1
	s_barrier_wait -1
	s_and_saveexec_b32 s96, s104
	s_cbranch_execz .LBB153_2
; %bb.74:                               ;   in Loop: Header=BB153_4 Depth=1
	ds_load_2addr_b32 v[0:1], v40 offset1:67
	ds_load_2addr_b32 v[2:3], v40 offset0:134 offset1:201
	s_wait_dscnt 0x1
	v_add_f32_e32 v0, v0, v1
	s_wait_dscnt 0x0
	s_delay_alu instid0(VALU_DEP_1) | instskip(NEXT) | instid1(VALU_DEP_1)
	v_add_f32_e32 v0, v0, v2
	v_add_f32_e32 v2, v0, v3
	v_lshl_add_u64 v[0:1], v[20:21], 2, s[94:95]
	global_store_b32 v[0:1], v2, off
	s_branch .LBB153_2
.LBB153_75:                             ;   in Loop: Header=BB153_4 Depth=1
	ds_load_b32 v2, v56
	s_wait_dscnt 0x0
	ds_store_b32 v42, v2
	s_or_b32 exec_lo, exec_lo, s94
	s_and_saveexec_b32 s94, s7
	s_cbranch_execz .LBB153_26
.LBB153_76:                             ;   in Loop: Header=BB153_4 Depth=1
	ds_load_b32 v2, v57
	s_wait_dscnt 0x0
	ds_store_b32 v42, v2 offset:4
	s_or_b32 exec_lo, exec_lo, s94
	s_and_saveexec_b32 s94, s8
	s_cbranch_execz .LBB153_27
.LBB153_77:                             ;   in Loop: Header=BB153_4 Depth=1
	ds_load_b32 v2, v57 offset:132
	s_wait_dscnt 0x0
	ds_store_b32 v42, v2 offset:8
	s_or_b32 exec_lo, exec_lo, s94
	s_and_saveexec_b32 s94, s9
	s_cbranch_execnz .LBB153_28
	s_branch .LBB153_29
.LBB153_78:                             ;   in Loop: Header=BB153_4 Depth=1
	ds_load_b32 v2, v56
	s_wait_dscnt 0x0
	ds_store_b32 v42, v2
	s_or_b32 exec_lo, exec_lo, s94
	s_and_saveexec_b32 s94, s7
	s_cbranch_execz .LBB153_45
.LBB153_79:                             ;   in Loop: Header=BB153_4 Depth=1
	ds_load_b32 v2, v57
	s_wait_dscnt 0x0
	ds_store_b32 v42, v2 offset:4
	s_or_b32 exec_lo, exec_lo, s94
	s_and_saveexec_b32 s94, s8
	s_cbranch_execz .LBB153_46
.LBB153_80:                             ;   in Loop: Header=BB153_4 Depth=1
	ds_load_b32 v2, v57 offset:132
	s_wait_dscnt 0x0
	ds_store_b32 v42, v2 offset:8
	s_or_b32 exec_lo, exec_lo, s94
	s_and_saveexec_b32 s94, s9
	s_cbranch_execnz .LBB153_47
	s_branch .LBB153_48
.LBB153_81:
	s_sendmsg sendmsg(MSG_DEALLOC_VGPRS)
	s_endpgm
	.section	.rodata,"a",@progbits
	.p2align	6, 0x0
	.amdhsa_kernel _ZL26rocblas_hemvn_kernel_lowerILb0ELi64ELi4ELi33ELi32ELi16EifPKPKfPfEviT6_lT7_lT5_lS6_lS7_lS5_lT8_i
		.amdhsa_group_segment_fixed_size 4800
		.amdhsa_private_segment_fixed_size 0
		.amdhsa_kernarg_size 368
		.amdhsa_user_sgpr_count 2
		.amdhsa_user_sgpr_dispatch_ptr 0
		.amdhsa_user_sgpr_queue_ptr 0
		.amdhsa_user_sgpr_kernarg_segment_ptr 1
		.amdhsa_user_sgpr_dispatch_id 0
		.amdhsa_user_sgpr_kernarg_preload_length 0
		.amdhsa_user_sgpr_kernarg_preload_offset 0
		.amdhsa_user_sgpr_private_segment_size 0
		.amdhsa_wavefront_size32 1
		.amdhsa_uses_dynamic_stack 0
		.amdhsa_enable_private_segment 0
		.amdhsa_system_sgpr_workgroup_id_x 1
		.amdhsa_system_sgpr_workgroup_id_y 0
		.amdhsa_system_sgpr_workgroup_id_z 1
		.amdhsa_system_sgpr_workgroup_info 0
		.amdhsa_system_vgpr_workitem_id 1
		.amdhsa_next_free_vgpr 92
		.amdhsa_next_free_sgpr 105
		.amdhsa_named_barrier_count 0
		.amdhsa_reserve_vcc 1
		.amdhsa_float_round_mode_32 0
		.amdhsa_float_round_mode_16_64 0
		.amdhsa_float_denorm_mode_32 3
		.amdhsa_float_denorm_mode_16_64 3
		.amdhsa_fp16_overflow 0
		.amdhsa_memory_ordered 1
		.amdhsa_forward_progress 1
		.amdhsa_inst_pref_size 44
		.amdhsa_round_robin_scheduling 0
		.amdhsa_exception_fp_ieee_invalid_op 0
		.amdhsa_exception_fp_denorm_src 0
		.amdhsa_exception_fp_ieee_div_zero 0
		.amdhsa_exception_fp_ieee_overflow 0
		.amdhsa_exception_fp_ieee_underflow 0
		.amdhsa_exception_fp_ieee_inexact 0
		.amdhsa_exception_int_div_zero 0
	.end_amdhsa_kernel
	.section	.text._ZL26rocblas_hemvn_kernel_lowerILb0ELi64ELi4ELi33ELi32ELi16EifPKPKfPfEviT6_lT7_lT5_lS6_lS7_lS5_lT8_i,"axG",@progbits,_ZL26rocblas_hemvn_kernel_lowerILb0ELi64ELi4ELi33ELi32ELi16EifPKPKfPfEviT6_lT7_lT5_lS6_lS7_lS5_lT8_i,comdat
.Lfunc_end153:
	.size	_ZL26rocblas_hemvn_kernel_lowerILb0ELi64ELi4ELi33ELi32ELi16EifPKPKfPfEviT6_lT7_lT5_lS6_lS7_lS5_lT8_i, .Lfunc_end153-_ZL26rocblas_hemvn_kernel_lowerILb0ELi64ELi4ELi33ELi32ELi16EifPKPKfPfEviT6_lT7_lT5_lS6_lS7_lS5_lT8_i
                                        ; -- End function
	.set _ZL26rocblas_hemvn_kernel_lowerILb0ELi64ELi4ELi33ELi32ELi16EifPKPKfPfEviT6_lT7_lT5_lS6_lS7_lS5_lT8_i.num_vgpr, 92
	.set _ZL26rocblas_hemvn_kernel_lowerILb0ELi64ELi4ELi33ELi32ELi16EifPKPKfPfEviT6_lT7_lT5_lS6_lS7_lS5_lT8_i.num_agpr, 0
	.set _ZL26rocblas_hemvn_kernel_lowerILb0ELi64ELi4ELi33ELi32ELi16EifPKPKfPfEviT6_lT7_lT5_lS6_lS7_lS5_lT8_i.numbered_sgpr, 105
	.set _ZL26rocblas_hemvn_kernel_lowerILb0ELi64ELi4ELi33ELi32ELi16EifPKPKfPfEviT6_lT7_lT5_lS6_lS7_lS5_lT8_i.num_named_barrier, 0
	.set _ZL26rocblas_hemvn_kernel_lowerILb0ELi64ELi4ELi33ELi32ELi16EifPKPKfPfEviT6_lT7_lT5_lS6_lS7_lS5_lT8_i.private_seg_size, 0
	.set _ZL26rocblas_hemvn_kernel_lowerILb0ELi64ELi4ELi33ELi32ELi16EifPKPKfPfEviT6_lT7_lT5_lS6_lS7_lS5_lT8_i.uses_vcc, 1
	.set _ZL26rocblas_hemvn_kernel_lowerILb0ELi64ELi4ELi33ELi32ELi16EifPKPKfPfEviT6_lT7_lT5_lS6_lS7_lS5_lT8_i.uses_flat_scratch, 1
	.set _ZL26rocblas_hemvn_kernel_lowerILb0ELi64ELi4ELi33ELi32ELi16EifPKPKfPfEviT6_lT7_lT5_lS6_lS7_lS5_lT8_i.has_dyn_sized_stack, 0
	.set _ZL26rocblas_hemvn_kernel_lowerILb0ELi64ELi4ELi33ELi32ELi16EifPKPKfPfEviT6_lT7_lT5_lS6_lS7_lS5_lT8_i.has_recursion, 0
	.set _ZL26rocblas_hemvn_kernel_lowerILb0ELi64ELi4ELi33ELi32ELi16EifPKPKfPfEviT6_lT7_lT5_lS6_lS7_lS5_lT8_i.has_indirect_call, 0
	.section	.AMDGPU.csdata,"",@progbits
; Kernel info:
; codeLenInByte = 5516
; TotalNumSgprs: 107
; NumVgprs: 92
; ScratchSize: 0
; MemoryBound: 0
; FloatMode: 240
; IeeeMode: 1
; LDSByteSize: 4800 bytes/workgroup (compile time only)
; SGPRBlocks: 0
; VGPRBlocks: 5
; NumSGPRsForWavesPerEU: 107
; NumVGPRsForWavesPerEU: 92
; NamedBarCnt: 0
; Occupancy: 10
; WaveLimiterHint : 1
; COMPUTE_PGM_RSRC2:SCRATCH_EN: 0
; COMPUTE_PGM_RSRC2:USER_SGPR: 2
; COMPUTE_PGM_RSRC2:TRAP_HANDLER: 0
; COMPUTE_PGM_RSRC2:TGID_X_EN: 1
; COMPUTE_PGM_RSRC2:TGID_Y_EN: 0
; COMPUTE_PGM_RSRC2:TGID_Z_EN: 1
; COMPUTE_PGM_RSRC2:TIDIG_COMP_CNT: 1
	.section	.text._ZL36rocblas_hemvn_kernel_lower_block_sumILi64EifPKPffEviT1_lS3_lT2_lT0_lPT3_i,"axG",@progbits,_ZL36rocblas_hemvn_kernel_lower_block_sumILi64EifPKPffEviT1_lS3_lT2_lT0_lPT3_i,comdat
	.globl	_ZL36rocblas_hemvn_kernel_lower_block_sumILi64EifPKPffEviT1_lS3_lT2_lT0_lPT3_i ; -- Begin function _ZL36rocblas_hemvn_kernel_lower_block_sumILi64EifPKPffEviT1_lS3_lT2_lT0_lPT3_i
	.p2align	8
	.type	_ZL36rocblas_hemvn_kernel_lower_block_sumILi64EifPKPffEviT1_lS3_lT2_lT0_lPT3_i,@function
_ZL36rocblas_hemvn_kernel_lower_block_sumILi64EifPKPffEviT1_lS3_lT2_lT0_lPT3_i: ; @_ZL36rocblas_hemvn_kernel_lower_block_sumILi64EifPKPffEviT1_lS3_lT2_lT0_lPT3_i
; %bb.0:
	s_load_b32 s20, s[0:1], 0x48
	s_bfe_u32 s2, ttmp6, 0x40014
	s_lshr_b32 s3, ttmp7, 16
	s_add_co_i32 s2, s2, 1
	s_bfe_u32 s5, ttmp6, 0x40008
	s_mul_i32 s2, s3, s2
	s_getreg_b32 s4, hwreg(HW_REG_IB_STS2, 6, 4)
	s_add_co_i32 s5, s5, s2
	s_cmp_eq_u32 s4, 0
	s_cselect_b32 s2, s3, s5
	s_mov_b32 s3, 0
	s_wait_kmcnt 0x0
	s_cmp_ge_u32 s2, s20
	s_cbranch_scc1 .LBB154_25
; %bb.1:
	s_clause 0x2
	s_load_b64 s[8:9], s[0:1], 0x0
	s_load_b32 s11, s[0:1], 0x10
	s_load_b32 s10, s[0:1], 0x30
	s_wait_kmcnt 0x0
	s_cmp_eq_f32 s9, 0
	s_mov_b32 s16, s8
	s_cselect_b32 s21, -1, 0
	s_cmp_neq_f32 s9, 0
	s_cselect_b32 s5, -1, 0
	s_cmp_neq_f32 s11, 1.0
	s_cselect_b32 s6, -1, 0
	s_bfe_u32 s7, ttmp6, 0x4000c
	s_and_b32 s12, ttmp6, 15
	s_add_co_i32 s7, s7, 1
	s_or_b32 s22, s5, s6
	s_mul_i32 s7, ttmp9, s7
	s_delay_alu instid0(SALU_CYCLE_1)
	s_add_co_i32 s12, s12, s7
	s_cmp_eq_u32 s4, 0
	s_clause 0x1
	s_load_b64 s[14:15], s[0:1], 0x40
	s_load_b128 s[4:7], s[0:1], 0x20
	s_cselect_b32 s23, ttmp9, s12
	s_cmp_neq_f32 s11, 0
	v_lshl_or_b32 v1, s23, 6, v0
	s_add_nc_u64 s[12:13], s[0:1], 0x50
	s_wait_xcnt 0x0
	s_cselect_b32 s1, -1, 0
	s_cmp_eq_f32 s11, 0
	v_mad_u32 v2, s8, s23, v1
	v_mul_lo_u32 v0, s10, v1
	v_cmp_gt_i32_e64 s0, s8, v1
	s_cselect_b32 s24, -1, 0
	s_ashr_i32 s17, s8, 31
	s_mov_b32 s10, s9
	v_dual_ashrrev_i32 v3, 31, v2 :: v_dual_ashrrev_i32 v1, 31, v0
	s_wait_kmcnt 0x0
	s_lshl_b64 s[6:7], s[6:7], 2
	s_delay_alu instid0(VALU_DEP_1)
	v_lshl_add_u64 v[2:3], v[2:3], 2, s[14:15]
	s_lshl_b64 s[14:15], s[16:17], 2
	s_branch .LBB154_4
.LBB154_2:                              ;   in Loop: Header=BB154_4 Depth=1
	s_wait_xcnt 0x0
	s_or_b32 exec_lo, exec_lo, s18
.LBB154_3:                              ;   in Loop: Header=BB154_4 Depth=1
	s_add_co_i32 s2, s2, 0x10000
	s_delay_alu instid0(SALU_CYCLE_1)
	s_cmp_lt_u32 s2, s20
	s_cbranch_scc0 .LBB154_25
.LBB154_4:                              ; =>This Loop Header: Depth=1
                                        ;     Child Loop BB154_16 Depth 2
	s_and_not1_b32 vcc_lo, exec_lo, s22
	s_cbranch_vccnz .LBB154_3
; %bb.5:                                ;   in Loop: Header=BB154_4 Depth=1
	s_lshl_b64 s[16:17], s[2:3], 3
	s_and_not1_b32 vcc_lo, exec_lo, s21
	s_add_nc_u64 s[16:17], s[4:5], s[16:17]
	s_load_b64 s[16:17], s[16:17], 0x0
	s_wait_kmcnt 0x0
	s_wait_xcnt 0x0
	s_add_nc_u64 s[16:17], s[16:17], s[6:7]
	s_cbranch_vccnz .LBB154_9
; %bb.6:                                ;   in Loop: Header=BB154_4 Depth=1
	s_mov_b32 s18, 0
	s_mov_b32 s8, 0
                                        ; implicit-def: $vgpr5
	s_and_saveexec_b32 s19, s0
	s_cbranch_execz .LBB154_10
; %bb.7:                                ;   in Loop: Header=BB154_4 Depth=1
	s_and_not1_b32 vcc_lo, exec_lo, s1
	s_cbranch_vccnz .LBB154_11
; %bb.8:                                ;   in Loop: Header=BB154_4 Depth=1
	v_lshl_add_u64 v[4:5], v[0:1], 2, s[16:17]
	flat_load_b32 v4, v[4:5]
	s_wait_loadcnt_dscnt 0x0
	s_wait_xcnt 0x0
	v_mul_f32_e32 v5, s11, v4
	s_branch .LBB154_12
.LBB154_9:                              ;   in Loop: Header=BB154_4 Depth=1
	s_mov_b32 s8, 0
                                        ; implicit-def: $vgpr5
	s_cbranch_execnz .LBB154_13
	s_branch .LBB154_23
.LBB154_10:                             ;   in Loop: Header=BB154_4 Depth=1
	s_or_b32 exec_lo, exec_lo, s19
	s_delay_alu instid0(SALU_CYCLE_1)
	s_and_b32 vcc_lo, exec_lo, s18
	s_cbranch_vccnz .LBB154_13
	s_branch .LBB154_23
.LBB154_11:                             ;   in Loop: Header=BB154_4 Depth=1
	v_mov_b32_e32 v5, 0
.LBB154_12:                             ;   in Loop: Header=BB154_4 Depth=1
	s_mov_b32 s8, exec_lo
	s_or_b32 exec_lo, exec_lo, s19
	s_delay_alu instid0(SALU_CYCLE_1)
	s_and_b32 vcc_lo, exec_lo, s18
	s_cbranch_vccz .LBB154_23
.LBB154_13:                             ;   in Loop: Header=BB154_4 Depth=1
                                        ; implicit-def: $vgpr5
	s_and_saveexec_b32 s25, s0
	s_cbranch_execz .LBB154_22
; %bb.14:                               ;   in Loop: Header=BB154_4 Depth=1
	s_load_b32 s18, s[12:13], 0x0
	v_mov_b32_e32 v4, 0
	s_wait_kmcnt 0x0
	s_cmp_ge_i32 s23, s18
	s_cbranch_scc1 .LBB154_17
; %bb.15:                               ;   in Loop: Header=BB154_4 Depth=1
	s_mov_b32 s19, s3
	v_mov_b32_e32 v4, 0
	s_mul_u64 s[26:27], s[14:15], s[18:19]
	s_mov_b32 s19, s23
	v_mad_nc_u64_u32 v[6:7], s26, s2, v[2:3]
	s_delay_alu instid0(VALU_DEP_1)
	v_mad_u32 v7, s27, s2, v7
.LBB154_16:                             ;   Parent Loop BB154_4 Depth=1
                                        ; =>  This Inner Loop Header: Depth=2
	global_load_b32 v5, v[6:7], off
	s_wait_xcnt 0x0
	v_add_nc_u64_e32 v[6:7], s[14:15], v[6:7]
	s_add_co_i32 s19, s19, 1
	s_delay_alu instid0(SALU_CYCLE_1)
	s_cmp_ge_i32 s19, s18
	s_wait_loadcnt 0x0
	v_add_f32_e32 v4, v4, v5
	s_cbranch_scc0 .LBB154_16
.LBB154_17:                             ;   in Loop: Header=BB154_4 Depth=1
	s_and_b32 vcc_lo, exec_lo, s24
	s_mov_b32 s18, -1
                                        ; implicit-def: $vgpr5
	s_cbranch_vccz .LBB154_19
; %bb.18:                               ;   in Loop: Header=BB154_4 Depth=1
	v_mul_f32_e32 v5, s9, v4
	s_mov_b32 s18, 0
.LBB154_19:                             ;   in Loop: Header=BB154_4 Depth=1
	s_delay_alu instid0(SALU_CYCLE_1)
	s_and_not1_b32 vcc_lo, exec_lo, s18
	s_cbranch_vccnz .LBB154_21
; %bb.20:                               ;   in Loop: Header=BB154_4 Depth=1
	v_lshl_add_u64 v[6:7], v[0:1], 2, s[16:17]
	flat_load_b32 v5, v[6:7]
	s_wait_xcnt 0x0
	v_mov_b64_e32 v[6:7], s[10:11]
	s_wait_loadcnt_dscnt 0x0
	s_delay_alu instid0(VALU_DEP_1) | instskip(NEXT) | instid1(VALU_DEP_1)
	v_pk_mul_f32 v[4:5], v[6:7], v[4:5]
	v_add_f32_e32 v5, v4, v5
.LBB154_21:                             ;   in Loop: Header=BB154_4 Depth=1
	s_or_b32 s8, s8, exec_lo
.LBB154_22:                             ;   in Loop: Header=BB154_4 Depth=1
	s_or_b32 exec_lo, exec_lo, s25
.LBB154_23:                             ;   in Loop: Header=BB154_4 Depth=1
	s_and_saveexec_b32 s18, s8
	s_cbranch_execz .LBB154_2
; %bb.24:                               ;   in Loop: Header=BB154_4 Depth=1
	v_lshl_add_u64 v[6:7], v[0:1], 2, s[16:17]
	flat_store_b32 v[6:7], v5
	s_branch .LBB154_2
.LBB154_25:
	s_endpgm
	.section	.rodata,"a",@progbits
	.p2align	6, 0x0
	.amdhsa_kernel _ZL36rocblas_hemvn_kernel_lower_block_sumILi64EifPKPffEviT1_lS3_lT2_lT0_lPT3_i
		.amdhsa_group_segment_fixed_size 0
		.amdhsa_private_segment_fixed_size 0
		.amdhsa_kernarg_size 336
		.amdhsa_user_sgpr_count 2
		.amdhsa_user_sgpr_dispatch_ptr 0
		.amdhsa_user_sgpr_queue_ptr 0
		.amdhsa_user_sgpr_kernarg_segment_ptr 1
		.amdhsa_user_sgpr_dispatch_id 0
		.amdhsa_user_sgpr_kernarg_preload_length 0
		.amdhsa_user_sgpr_kernarg_preload_offset 0
		.amdhsa_user_sgpr_private_segment_size 0
		.amdhsa_wavefront_size32 1
		.amdhsa_uses_dynamic_stack 0
		.amdhsa_enable_private_segment 0
		.amdhsa_system_sgpr_workgroup_id_x 1
		.amdhsa_system_sgpr_workgroup_id_y 0
		.amdhsa_system_sgpr_workgroup_id_z 1
		.amdhsa_system_sgpr_workgroup_info 0
		.amdhsa_system_vgpr_workitem_id 0
		.amdhsa_next_free_vgpr 8
		.amdhsa_next_free_sgpr 28
		.amdhsa_named_barrier_count 0
		.amdhsa_reserve_vcc 1
		.amdhsa_float_round_mode_32 0
		.amdhsa_float_round_mode_16_64 0
		.amdhsa_float_denorm_mode_32 3
		.amdhsa_float_denorm_mode_16_64 3
		.amdhsa_fp16_overflow 0
		.amdhsa_memory_ordered 1
		.amdhsa_forward_progress 1
		.amdhsa_inst_pref_size 6
		.amdhsa_round_robin_scheduling 0
		.amdhsa_exception_fp_ieee_invalid_op 0
		.amdhsa_exception_fp_denorm_src 0
		.amdhsa_exception_fp_ieee_div_zero 0
		.amdhsa_exception_fp_ieee_overflow 0
		.amdhsa_exception_fp_ieee_underflow 0
		.amdhsa_exception_fp_ieee_inexact 0
		.amdhsa_exception_int_div_zero 0
	.end_amdhsa_kernel
	.section	.text._ZL36rocblas_hemvn_kernel_lower_block_sumILi64EifPKPffEviT1_lS3_lT2_lT0_lPT3_i,"axG",@progbits,_ZL36rocblas_hemvn_kernel_lower_block_sumILi64EifPKPffEviT1_lS3_lT2_lT0_lPT3_i,comdat
.Lfunc_end154:
	.size	_ZL36rocblas_hemvn_kernel_lower_block_sumILi64EifPKPffEviT1_lS3_lT2_lT0_lPT3_i, .Lfunc_end154-_ZL36rocblas_hemvn_kernel_lower_block_sumILi64EifPKPffEviT1_lS3_lT2_lT0_lPT3_i
                                        ; -- End function
	.set _ZL36rocblas_hemvn_kernel_lower_block_sumILi64EifPKPffEviT1_lS3_lT2_lT0_lPT3_i.num_vgpr, 8
	.set _ZL36rocblas_hemvn_kernel_lower_block_sumILi64EifPKPffEviT1_lS3_lT2_lT0_lPT3_i.num_agpr, 0
	.set _ZL36rocblas_hemvn_kernel_lower_block_sumILi64EifPKPffEviT1_lS3_lT2_lT0_lPT3_i.numbered_sgpr, 28
	.set _ZL36rocblas_hemvn_kernel_lower_block_sumILi64EifPKPffEviT1_lS3_lT2_lT0_lPT3_i.num_named_barrier, 0
	.set _ZL36rocblas_hemvn_kernel_lower_block_sumILi64EifPKPffEviT1_lS3_lT2_lT0_lPT3_i.private_seg_size, 0
	.set _ZL36rocblas_hemvn_kernel_lower_block_sumILi64EifPKPffEviT1_lS3_lT2_lT0_lPT3_i.uses_vcc, 1
	.set _ZL36rocblas_hemvn_kernel_lower_block_sumILi64EifPKPffEviT1_lS3_lT2_lT0_lPT3_i.uses_flat_scratch, 0
	.set _ZL36rocblas_hemvn_kernel_lower_block_sumILi64EifPKPffEviT1_lS3_lT2_lT0_lPT3_i.has_dyn_sized_stack, 0
	.set _ZL36rocblas_hemvn_kernel_lower_block_sumILi64EifPKPffEviT1_lS3_lT2_lT0_lPT3_i.has_recursion, 0
	.set _ZL36rocblas_hemvn_kernel_lower_block_sumILi64EifPKPffEviT1_lS3_lT2_lT0_lPT3_i.has_indirect_call, 0
	.section	.AMDGPU.csdata,"",@progbits
; Kernel info:
; codeLenInByte = 720
; TotalNumSgprs: 30
; NumVgprs: 8
; ScratchSize: 0
; MemoryBound: 0
; FloatMode: 240
; IeeeMode: 1
; LDSByteSize: 0 bytes/workgroup (compile time only)
; SGPRBlocks: 0
; VGPRBlocks: 0
; NumSGPRsForWavesPerEU: 30
; NumVGPRsForWavesPerEU: 8
; NamedBarCnt: 0
; Occupancy: 16
; WaveLimiterHint : 1
; COMPUTE_PGM_RSRC2:SCRATCH_EN: 0
; COMPUTE_PGM_RSRC2:USER_SGPR: 2
; COMPUTE_PGM_RSRC2:TRAP_HANDLER: 0
; COMPUTE_PGM_RSRC2:TGID_X_EN: 1
; COMPUTE_PGM_RSRC2:TGID_Y_EN: 0
; COMPUTE_PGM_RSRC2:TGID_Z_EN: 1
; COMPUTE_PGM_RSRC2:TIDIG_COMP_CNT: 0
	.section	.text._ZL50rocblas_symv_kernel_upper_double_buffered_diagonalILi32ELi4E24rocblas_internal_val_ptrIdEPKPKdPKPdEvbiT1_lT2_lllSA_lllS9_lT3_llli,"axG",@progbits,_ZL50rocblas_symv_kernel_upper_double_buffered_diagonalILi32ELi4E24rocblas_internal_val_ptrIdEPKPKdPKPdEvbiT1_lT2_lllSA_lllS9_lT3_llli,comdat
	.globl	_ZL50rocblas_symv_kernel_upper_double_buffered_diagonalILi32ELi4E24rocblas_internal_val_ptrIdEPKPKdPKPdEvbiT1_lT2_lllSA_lllS9_lT3_llli ; -- Begin function _ZL50rocblas_symv_kernel_upper_double_buffered_diagonalILi32ELi4E24rocblas_internal_val_ptrIdEPKPKdPKPdEvbiT1_lT2_lllSA_lllS9_lT3_llli
	.p2align	8
	.type	_ZL50rocblas_symv_kernel_upper_double_buffered_diagonalILi32ELi4E24rocblas_internal_val_ptrIdEPKPKdPKPdEvbiT1_lT2_lllSA_lllS9_lT3_llli,@function
_ZL50rocblas_symv_kernel_upper_double_buffered_diagonalILi32ELi4E24rocblas_internal_val_ptrIdEPKPKdPKPdEvbiT1_lT2_lllSA_lllS9_lT3_llli: ; @_ZL50rocblas_symv_kernel_upper_double_buffered_diagonalILi32ELi4E24rocblas_internal_val_ptrIdEPKPKdPKPdEvbiT1_lT2_lllSA_lllS9_lT3_llli
; %bb.0:
	s_load_b64 s[4:5], s[0:1], 0x4
	s_clause 0x1
	s_load_b256 s[8:15], s[2:3], 0x8
	s_load_b128 s[16:19], s[2:3], 0x58
	v_bfe_u32 v8, v0, 10, 10
	s_load_b32 s33, s[2:3], 0x88
	v_and_b32_e32 v2, 0x3ff, v0
	v_bfe_u32 v0, v0, 20, 10
	s_wait_xcnt 0x0
	s_bfe_u32 s1, ttmp6, 0x40014
	s_lshr_b32 s0, ttmp7, 16
	s_add_co_i32 s1, s1, 1
	s_delay_alu instid0(SALU_CYCLE_1)
	s_mul_i32 s1, s0, s1
	s_wait_kmcnt 0x0
	v_mul_u32_u24_e32 v1, s5, v8
	s_lshr_b32 s4, s4, 16
	v_dual_mov_b32 v4, s8 :: v_dual_mov_b32 v5, s9
	s_mul_i32 s4, s4, s5
	s_bfe_u32 s5, ttmp6, 0x40008
	v_mad_u32_u24 v1, s4, v2, v1
	s_getreg_b32 s4, hwreg(HW_REG_IB_STS2, 6, 4)
	s_add_co_i32 s5, s5, s1
	s_cmp_eq_u32 s4, 0
	v_dual_mov_b32 v6, s16 :: v_dual_mov_b32 v7, s17
	v_add_lshl_u32 v0, v1, v0, 3
	s_cselect_b32 s16, s0, s5
	s_mov_b32 s17, 0
	s_cmp_ge_u32 s16, s33
	s_delay_alu instid0(VALU_DEP_1)
	v_add_nc_u32_e32 v1, 0x100, v0
	ds_store_2addr_stride64_b64 v1, v[6:7], v[4:5] offset0:20 offset1:22
	s_cbranch_scc1 .LBB155_48
; %bb.1:
	s_clause 0x5
	s_load_b32 s5, s[2:3], 0x0
	s_load_b64 s[40:41], s[2:3], 0x28
	s_load_b128 s[20:23], s[2:3], 0x38
	s_load_b64 s[6:7], s[2:3], 0x48
	s_load_b64 s[28:29], s[2:3], 0x68
	s_load_b128 s[24:27], s[2:3], 0x70
	v_dual_mov_b32 v3, 0 :: v_dual_add_nc_u32 v20, 0x2d00, v0
	v_dual_lshlrev_b32 v11, 3, v2 :: v_dual_lshlrev_b32 v12, 8, v8
	v_add_nc_u32_e32 v21, 0x2900, v0
	v_sub_co_u32 v13, s9, v2, v8
	s_delay_alu instid0(VALU_DEP_3) | instskip(SKIP_1) | instid1(VALU_DEP_3)
	v_dual_mov_b32 v9, v3 :: v_dual_add_nc_u32 v22, 0x2800, v11
	v_lshl_add_u32 v10, v8, 5, v2
	v_sub_nc_u32_e32 v14, 0, v13
	v_cmp_eq_u32_e64 s0, 0, v8
	v_add_nc_u32_e32 v15, 0x1400, v12
	v_add_nc_u32_e32 v16, 0x1800, v12
	;; [unrolled: 1-line block ×4, first 2 shown]
	v_cmp_gt_u32_e64 s1, 16, v2
	s_wait_kmcnt 0x0
	v_mul_u64_e32 v[6:7], s[6:7], v[2:3]
	v_mul_u64_e32 v[4:5], s[40:41], v[8:9]
	;; [unrolled: 1-line block ×3, first 2 shown]
	s_bitcmp1_b32 s5, 0
	v_lshlrev_b32_e32 v8, 3, v8
	s_cselect_b32 s2, -1, 0
	s_bfe_u32 s3, ttmp6, 0x4000c
	s_and_b32 s5, ttmp6, 15
	s_add_co_i32 s3, s3, 1
	v_dual_add_nc_u32 v24, v11, v12 :: v_dual_max_i32 v13, v13, v14
	s_mul_i32 s3, ttmp9, s3
	v_mul_u32_u24_e32 v14, 0xf8, v2
	s_xor_b32 s42, s2, -1
	s_add_co_i32 s5, s5, s3
	s_cmp_eq_u32 s4, 0
	v_add_nc_u32_e32 v9, 0x1000, v12
	s_cselect_b32 s4, ttmp9, s5
	v_add3_u32 v23, v11, v14, v8
	v_add_nc_u32_e32 v14, 0x400, v12
	v_add_nc_u32_e32 v12, 0xc00, v12
	s_lshl_b32 s4, s4, 5
	s_add_nc_u64 s[2:3], s[40:41], 1
	s_ashr_i32 s5, s4, 31
	v_cmp_lt_u32_e64 s8, 12, v13
	s_mul_u64 s[26:27], s[26:27], s[4:5]
	s_mul_u64 s[30:31], s[2:3], s[4:5]
	;; [unrolled: 1-line block ×3, first 2 shown]
	v_cmp_lt_u32_e64 s2, 16, v13
	v_cmp_lt_u32_e64 s3, 20, v13
	;; [unrolled: 1-line block ×6, first 2 shown]
	v_add_nc_u32_e32 v25, 0x2800, v8
	v_lshl_add_u32 v26, v10, 3, 0x2000
	v_or_b32_e32 v27, 0x2000, v11
	v_dual_lshlrev_b32 v2, 3, v2 :: v_dual_add_nc_u32 v28, v11, v9
	v_dual_add_nc_u32 v29, v11, v15 :: v_dual_add_nc_u32 v30, v11, v16
	v_dual_add_nc_u32 v31, v11, v17 :: v_dual_add_nc_u32 v32, v11, v14
	;; [unrolled: 1-line block ×3, first 2 shown]
	s_lshl_b64 s[36:37], s[40:41], 2
	s_lshl_b64 s[38:39], s[40:41], 7
	s_xor_b32 s43, s9, -1
	s_lshl_b64 s[40:41], s[40:41], 5
	s_lshl_b64 s[14:15], s[14:15], 3
	s_branch .LBB155_4
.LBB155_2:                              ;   in Loop: Header=BB155_4 Depth=1
	s_wait_xcnt 0x0
	s_or_b32 exec_lo, exec_lo, s9
.LBB155_3:                              ;   in Loop: Header=BB155_4 Depth=1
	s_delay_alu instid0(SALU_CYCLE_1) | instskip(SKIP_1) | instid1(SALU_CYCLE_1)
	s_or_b32 exec_lo, exec_lo, s44
	s_add_co_i32 s16, s16, 0x10000
	s_cmp_lt_u32 s16, s33
	s_cbranch_scc0 .LBB155_48
.LBB155_4:                              ; =>This Inner Loop Header: Depth=1
	s_and_b32 vcc_lo, exec_lo, s42
	s_mov_b32 s9, -1
                                        ; implicit-def: $vgpr8_vgpr9
	s_cbranch_vccnz .LBB155_38
; %bb.5:                                ;   in Loop: Header=BB155_4 Depth=1
	s_and_not1_b32 vcc_lo, exec_lo, s9
	s_cbranch_vccz .LBB155_39
.LBB155_6:                              ;   in Loop: Header=BB155_4 Depth=1
	s_and_b32 vcc_lo, exec_lo, s42
	s_mov_b32 s9, -1
                                        ; implicit-def: $vgpr10_vgpr11
	s_cbranch_vccnz .LBB155_40
.LBB155_7:                              ;   in Loop: Header=BB155_4 Depth=1
	s_and_not1_b32 vcc_lo, exec_lo, s9
	s_cbranch_vccnz .LBB155_9
.LBB155_8:                              ;   in Loop: Header=BB155_4 Depth=1
	s_wait_loadcnt_dscnt 0x0
	s_wait_xcnt 0x0
	ds_load_b64 v[10:11], v21
.LBB155_9:                              ;   in Loop: Header=BB155_4 Depth=1
	s_wait_loadcnt_dscnt 0x0
	v_cmp_neq_f64_e32 vcc_lo, 0, v[8:9]
	v_cmp_neq_f64_e64 s9, 1.0, v[10:11]
	s_or_b32 s9, vcc_lo, s9
	s_wait_xcnt 0x0
	s_and_saveexec_b32 s44, s9
	s_cbranch_execz .LBB155_3
; %bb.10:                               ;   in Loop: Header=BB155_4 Depth=1
	v_cmp_neq_f64_e64 s9, 0, v[8:9]
	v_cmp_eq_f64_e32 vcc_lo, 0, v[8:9]
	v_mov_b64_e32 v[12:13], s[16:17]
	s_and_saveexec_b32 s45, vcc_lo
	s_delay_alu instid0(SALU_CYCLE_1)
	s_xor_b32 s45, exec_lo, s45
; %bb.11:                               ;   in Loop: Header=BB155_4 Depth=1
	v_mov_b64_e32 v[12:13], s[16:17]
; %bb.12:                               ;   in Loop: Header=BB155_4 Depth=1
	s_or_saveexec_b32 s45, s45
	v_mov_b64_e32 v[18:19], 0
	v_mov_b64_e32 v[16:17], 0
	s_xor_b32 exec_lo, exec_lo, s45
	s_cbranch_execz .LBB155_14
; %bb.13:                               ;   in Loop: Header=BB155_4 Depth=1
	s_lshl_b64 s[46:47], s[16:17], 3
	s_delay_alu instid0(SALU_CYCLE_1)
	s_add_nc_u64 s[46:47], s[12:13], s[46:47]
	global_load_b64 v[14:15], v3, s[46:47]
	s_wait_loadcnt 0x0
	v_add_nc_u64_e32 v[16:17], s[14:15], v[14:15]
.LBB155_14:                             ;   in Loop: Header=BB155_4 Depth=1
	s_wait_xcnt 0x0
	s_or_b32 exec_lo, exec_lo, s45
	s_and_saveexec_b32 s45, s9
	s_cbranch_execz .LBB155_16
; %bb.15:                               ;   in Loop: Header=BB155_4 Depth=1
	v_lshl_add_u64 v[14:15], v[12:13], 3, s[20:21]
	global_load_b64 v[14:15], v[14:15], off
	s_wait_loadcnt 0x0
	v_lshl_add_u64 v[18:19], s[22:23], 3, v[14:15]
.LBB155_16:                             ;   in Loop: Header=BB155_4 Depth=1
	s_wait_xcnt 0x0
	s_or_b32 exec_lo, exec_lo, s45
	v_lshl_add_u64 v[12:13], v[12:13], 3, s[28:29]
	global_load_b64 v[12:13], v[12:13], off
	s_wait_loadcnt 0x0
	s_wait_xcnt 0x0
	v_lshl_add_u64 v[12:13], s[24:25], 3, v[12:13]
	s_delay_alu instid0(VALU_DEP_1) | instskip(SKIP_1) | instid1(SALU_CYCLE_1)
	v_lshl_add_u64 v[12:13], s[26:27], 3, v[12:13]
	s_and_saveexec_b32 s9, vcc_lo
	s_xor_b32 s9, exec_lo, s9
	s_cbranch_execz .LBB155_20
; %bb.17:                               ;   in Loop: Header=BB155_4 Depth=1
	s_and_saveexec_b32 s45, s0
	s_cbranch_execz .LBB155_19
; %bb.18:                               ;   in Loop: Header=BB155_4 Depth=1
	v_lshl_add_u64 v[8:9], v[0:1], 3, v[12:13]
	flat_load_b64 v[12:13], v[8:9]
	s_wait_loadcnt_dscnt 0x0
	v_mul_f64_e32 v[10:11], v[10:11], v[12:13]
	flat_store_b64 v[8:9], v[10:11]
.LBB155_19:                             ;   in Loop: Header=BB155_4 Depth=1
	s_wait_xcnt 0x0
	s_or_b32 exec_lo, exec_lo, s45
                                        ; implicit-def: $vgpr8_vgpr9
                                        ; implicit-def: $vgpr10_vgpr11
                                        ; implicit-def: $vgpr12_vgpr13
                                        ; implicit-def: $vgpr16_vgpr17
                                        ; implicit-def: $vgpr18_vgpr19
.LBB155_20:                             ;   in Loop: Header=BB155_4 Depth=1
	s_and_not1_saveexec_b32 s9, s9
	s_cbranch_execz .LBB155_3
; %bb.21:                               ;   in Loop: Header=BB155_4 Depth=1
	v_mov_b64_e32 v[14:15], 0
	s_and_saveexec_b32 s9, s0
	s_cbranch_execz .LBB155_25
; %bb.22:                               ;   in Loop: Header=BB155_4 Depth=1
	v_mov_b64_e32 v[14:15], 0
	s_mov_b32 s45, exec_lo
	v_cmpx_neq_f64_e32 0, v[10:11]
	s_cbranch_execz .LBB155_24
; %bb.23:                               ;   in Loop: Header=BB155_4 Depth=1
	v_lshl_add_u64 v[14:15], v[0:1], 3, v[12:13]
	flat_load_b64 v[14:15], v[14:15]
	s_wait_loadcnt_dscnt 0x0
	v_mul_f64_e32 v[14:15], v[10:11], v[14:15]
.LBB155_24:                             ;   in Loop: Header=BB155_4 Depth=1
	s_or_b32 exec_lo, exec_lo, s45
	v_lshl_add_u64 v[18:19], s[34:35], 3, v[18:19]
	s_delay_alu instid0(VALU_DEP_1)
	v_lshl_add_u64 v[18:19], v[6:7], 3, v[18:19]
	flat_load_b64 v[18:19], v[18:19]
	s_wait_loadcnt_dscnt 0x0
	ds_store_b64 v22, v[18:19]
.LBB155_25:                             ;   in Loop: Header=BB155_4 Depth=1
	s_wait_xcnt 0x0
	s_or_b32 exec_lo, exec_lo, s9
	v_lshl_add_u64 v[16:17], s[30:31], 3, v[16:17]
	s_delay_alu instid0(VALU_DEP_1) | instskip(NEXT) | instid1(VALU_DEP_1)
	v_lshl_add_u64 v[16:17], v[4:5], 3, v[16:17]
	v_add_nc_u64_e32 v[16:17], v[16:17], v[2:3]
	s_and_saveexec_b32 s9, s1
	s_cbranch_execz .LBB155_27
; %bb.26:                               ;   in Loop: Header=BB155_4 Depth=1
	s_delay_alu instid0(VALU_DEP_1) | instskip(NEXT) | instid1(VALU_DEP_1)
	v_lshl_add_u64 v[18:19], s[36:37], 3, v[16:17]
	v_add_nc_u64_e32 v[36:37], s[40:41], v[18:19]
	s_delay_alu instid0(VALU_DEP_1)
	v_add_nc_u64_e32 v[38:39], s[40:41], v[36:37]
	s_clause 0x3
	flat_load_b64 v[40:41], v[16:17]
	flat_load_b64 v[42:43], v[18:19]
	;; [unrolled: 1-line block ×4, first 2 shown]
	s_wait_loadcnt_dscnt 0x202
	ds_store_2addr_stride64_b64 v24, v[40:41], v[42:43] offset1:2
	s_wait_loadcnt_dscnt 0x1
	ds_store_2addr_stride64_b64 v24, v[44:45], v[46:47] offset0:4 offset1:6
.LBB155_27:                             ;   in Loop: Header=BB155_4 Depth=1
	s_wait_xcnt 0x0
	s_or_b32 exec_lo, exec_lo, s9
	s_delay_alu instid0(VALU_DEP_1) | instskip(NEXT) | instid1(VALU_DEP_1)
	v_add_nc_u64_e32 v[16:17], s[38:39], v[16:17]
	v_lshl_add_u64 v[18:19], s[36:37], 3, v[16:17]
	s_delay_alu instid0(VALU_DEP_1) | instskip(NEXT) | instid1(VALU_DEP_1)
	v_add_nc_u64_e32 v[36:37], s[40:41], v[18:19]
	v_add_nc_u64_e32 v[38:39], s[40:41], v[36:37]
	s_clause 0x3
	flat_load_b64 v[40:41], v[16:17]
	flat_load_b64 v[42:43], v[18:19]
	;; [unrolled: 1-line block ×4, first 2 shown]
	s_wait_loadcnt_dscnt 0x303
	ds_store_b64 v28, v[40:41]
	s_wait_loadcnt_dscnt 0x203
	ds_store_b64 v29, v[42:43]
	;; [unrolled: 2-line block ×4, first 2 shown]
	s_wait_storecnt_dscnt 0x0
	s_barrier_signal -1
	s_barrier_wait -1
	s_wait_xcnt 0x0
	s_and_saveexec_b32 s9, s2
	s_cbranch_execnz .LBB155_41
; %bb.28:                               ;   in Loop: Header=BB155_4 Depth=1
	s_or_b32 exec_lo, exec_lo, s9
	s_and_saveexec_b32 s9, s3
	s_cbranch_execnz .LBB155_42
.LBB155_29:                             ;   in Loop: Header=BB155_4 Depth=1
	s_or_b32 exec_lo, exec_lo, s9
	s_and_saveexec_b32 s9, s4
	s_cbranch_execnz .LBB155_43
.LBB155_30:                             ;   in Loop: Header=BB155_4 Depth=1
	s_or_b32 exec_lo, exec_lo, s9
	s_and_saveexec_b32 s9, s5
	s_cbranch_execnz .LBB155_44
.LBB155_31:                             ;   in Loop: Header=BB155_4 Depth=1
	s_or_b32 exec_lo, exec_lo, s9
	s_and_saveexec_b32 s9, s43
	s_cbranch_execnz .LBB155_45
.LBB155_32:                             ;   in Loop: Header=BB155_4 Depth=1
	s_or_b32 exec_lo, exec_lo, s9
	s_and_saveexec_b32 s9, s6
	s_cbranch_execnz .LBB155_46
.LBB155_33:                             ;   in Loop: Header=BB155_4 Depth=1
	s_or_b32 exec_lo, exec_lo, s9
	s_and_saveexec_b32 s9, s7
	s_cbranch_execnz .LBB155_47
.LBB155_34:                             ;   in Loop: Header=BB155_4 Depth=1
	s_or_b32 exec_lo, exec_lo, s9
	s_and_saveexec_b32 s9, s8
	s_cbranch_execz .LBB155_36
.LBB155_35:                             ;   in Loop: Header=BB155_4 Depth=1
	ds_load_b64 v[16:17], v23 offset:96
	s_wait_dscnt 0x0
	ds_store_b64 v34, v[16:17]
.LBB155_36:                             ;   in Loop: Header=BB155_4 Depth=1
	s_or_b32 exec_lo, exec_lo, s9
	s_wait_dscnt 0x0
	s_barrier_signal -1
	s_barrier_wait -1
	ds_load_2addr_b64 v[16:19], v25 offset1:4
	ds_load_b64 v[36:37], v24
	ds_load_b64 v[38:39], v28
	;; [unrolled: 1-line block ×4, first 2 shown]
	s_wait_dscnt 0x3
	v_fma_f64 v[36:37], v[36:37], v[16:17], 0
	ds_load_b64 v[16:17], v32
	ds_load_b64 v[44:45], v33
	;; [unrolled: 1-line block ×4, first 2 shown]
	s_wait_dscnt 0x3
	v_fmac_f64_e32 v[36:37], v[16:17], v[18:19]
	ds_load_2addr_b64 v[16:19], v25 offset0:8 offset1:12
	s_wait_dscnt 0x0
	v_fmac_f64_e32 v[36:37], v[44:45], v[16:17]
	s_delay_alu instid0(VALU_DEP_1) | instskip(SKIP_3) | instid1(VALU_DEP_1)
	v_fmac_f64_e32 v[36:37], v[46:47], v[18:19]
	ds_load_2addr_b64 v[16:19], v25 offset0:16 offset1:20
	s_wait_dscnt 0x0
	v_fmac_f64_e32 v[36:37], v[38:39], v[16:17]
	v_fmac_f64_e32 v[36:37], v[40:41], v[18:19]
	ds_load_2addr_b64 v[16:19], v25 offset0:24 offset1:28
	s_wait_dscnt 0x0
	v_fmac_f64_e32 v[36:37], v[42:43], v[16:17]
	s_delay_alu instid0(VALU_DEP_1)
	v_fmac_f64_e32 v[36:37], v[48:49], v[18:19]
	ds_store_b64 v26, v[36:37]
	s_wait_dscnt 0x0
	s_barrier_signal -1
	s_barrier_wait -1
	s_and_saveexec_b32 s9, s0
	s_cbranch_execz .LBB155_2
; %bb.37:                               ;   in Loop: Header=BB155_4 Depth=1
	ds_load_2addr_b64 v[16:19], v27 offset1:32
	v_cmp_neq_f64_e32 vcc_lo, 0, v[10:11]
	v_lshl_add_u64 v[10:11], v[0:1], 3, v[12:13]
	s_wait_dscnt 0x0
	v_add_f64_e32 v[16:17], 0, v[16:17]
	s_delay_alu instid0(VALU_DEP_1) | instskip(SKIP_3) | instid1(VALU_DEP_1)
	v_add_f64_e32 v[36:37], v[16:17], v[18:19]
	ds_load_2addr_b64 v[16:19], v27 offset0:64 offset1:96
	s_wait_dscnt 0x0
	v_add_f64_e32 v[16:17], v[36:37], v[16:17]
	v_add_f64_e32 v[16:17], v[16:17], v[18:19]
	s_delay_alu instid0(VALU_DEP_1) | instskip(SKIP_1) | instid1(VALU_DEP_1)
	v_mul_f64_e32 v[18:19], v[8:9], v[16:17]
	v_fmac_f64_e32 v[14:15], v[8:9], v[16:17]
	v_dual_cndmask_b32 v9, v19, v15 :: v_dual_cndmask_b32 v8, v18, v14
	flat_store_b64 v[10:11], v[8:9]
	s_branch .LBB155_2
.LBB155_38:                             ;   in Loop: Header=BB155_4 Depth=1
	ds_load_b64 v[8:9], v20
	s_mul_u64 s[44:45], s[10:11], s[16:17]
	s_wait_dscnt 0x0
	v_lshl_add_u64 v[8:9], s[44:45], 3, v[8:9]
	flat_load_b64 v[8:9], v[8:9]
	s_cbranch_execnz .LBB155_6
.LBB155_39:                             ;   in Loop: Header=BB155_4 Depth=1
	s_wait_loadcnt_dscnt 0x0
	s_wait_xcnt 0x0
	ds_load_b64 v[8:9], v20
	s_and_b32 vcc_lo, exec_lo, s42
	s_mov_b32 s9, -1
                                        ; implicit-def: $vgpr10_vgpr11
	s_cbranch_vccz .LBB155_7
.LBB155_40:                             ;   in Loop: Header=BB155_4 Depth=1
	ds_load_b64 v[10:11], v21
	s_mul_u64 s[44:45], s[18:19], s[16:17]
	s_wait_dscnt 0x0
	v_lshl_add_u64 v[10:11], s[44:45], 3, v[10:11]
	flat_load_b64 v[10:11], v[10:11]
	s_cbranch_execz .LBB155_8
	s_branch .LBB155_9
.LBB155_41:                             ;   in Loop: Header=BB155_4 Depth=1
	ds_load_b64 v[16:17], v23 offset:128
	s_wait_dscnt 0x0
	ds_store_b64 v28, v[16:17]
	s_or_b32 exec_lo, exec_lo, s9
	s_and_saveexec_b32 s9, s3
	s_cbranch_execz .LBB155_29
.LBB155_42:                             ;   in Loop: Header=BB155_4 Depth=1
	ds_load_b64 v[16:17], v23 offset:160
	s_wait_dscnt 0x0
	ds_store_b64 v29, v[16:17]
	s_or_b32 exec_lo, exec_lo, s9
	s_and_saveexec_b32 s9, s4
	s_cbranch_execz .LBB155_30
.LBB155_43:                             ;   in Loop: Header=BB155_4 Depth=1
	ds_load_b64 v[16:17], v23 offset:192
	s_wait_dscnt 0x0
	ds_store_b64 v30, v[16:17]
	s_or_b32 exec_lo, exec_lo, s9
	s_and_saveexec_b32 s9, s5
	s_cbranch_execz .LBB155_31
.LBB155_44:                             ;   in Loop: Header=BB155_4 Depth=1
	ds_load_b64 v[16:17], v23 offset:224
	s_wait_dscnt 0x0
	ds_store_b64 v31, v[16:17]
	s_or_b32 exec_lo, exec_lo, s9
	s_and_saveexec_b32 s9, s43
	s_cbranch_execz .LBB155_32
.LBB155_45:                             ;   in Loop: Header=BB155_4 Depth=1
	ds_load_b64 v[16:17], v23
	s_wait_dscnt 0x0
	ds_store_b64 v24, v[16:17]
	s_or_b32 exec_lo, exec_lo, s9
	s_and_saveexec_b32 s9, s6
	s_cbranch_execz .LBB155_33
.LBB155_46:                             ;   in Loop: Header=BB155_4 Depth=1
	ds_load_b64 v[16:17], v23 offset:32
	s_wait_dscnt 0x0
	ds_store_b64 v32, v[16:17]
	s_or_b32 exec_lo, exec_lo, s9
	s_and_saveexec_b32 s9, s7
	s_cbranch_execz .LBB155_34
.LBB155_47:                             ;   in Loop: Header=BB155_4 Depth=1
	ds_load_b64 v[16:17], v23 offset:64
	s_wait_dscnt 0x0
	ds_store_b64 v33, v[16:17]
	s_or_b32 exec_lo, exec_lo, s9
	s_and_saveexec_b32 s9, s8
	s_cbranch_execnz .LBB155_35
	s_branch .LBB155_36
.LBB155_48:
	s_endpgm
	.section	.rodata,"a",@progbits
	.p2align	6, 0x0
	.amdhsa_kernel _ZL50rocblas_symv_kernel_upper_double_buffered_diagonalILi32ELi4E24rocblas_internal_val_ptrIdEPKPKdPKPdEvbiT1_lT2_lllSA_lllS9_lT3_llli
		.amdhsa_group_segment_fixed_size 12544
		.amdhsa_private_segment_fixed_size 0
		.amdhsa_kernarg_size 140
		.amdhsa_user_sgpr_count 4
		.amdhsa_user_sgpr_dispatch_ptr 1
		.amdhsa_user_sgpr_queue_ptr 0
		.amdhsa_user_sgpr_kernarg_segment_ptr 1
		.amdhsa_user_sgpr_dispatch_id 0
		.amdhsa_user_sgpr_kernarg_preload_length 0
		.amdhsa_user_sgpr_kernarg_preload_offset 0
		.amdhsa_user_sgpr_private_segment_size 0
		.amdhsa_wavefront_size32 1
		.amdhsa_uses_dynamic_stack 0
		.amdhsa_enable_private_segment 0
		.amdhsa_system_sgpr_workgroup_id_x 1
		.amdhsa_system_sgpr_workgroup_id_y 0
		.amdhsa_system_sgpr_workgroup_id_z 1
		.amdhsa_system_sgpr_workgroup_info 0
		.amdhsa_system_vgpr_workitem_id 2
		.amdhsa_next_free_vgpr 50
		.amdhsa_next_free_sgpr 48
		.amdhsa_named_barrier_count 0
		.amdhsa_reserve_vcc 1
		.amdhsa_float_round_mode_32 0
		.amdhsa_float_round_mode_16_64 0
		.amdhsa_float_denorm_mode_32 3
		.amdhsa_float_denorm_mode_16_64 3
		.amdhsa_fp16_overflow 0
		.amdhsa_memory_ordered 1
		.amdhsa_forward_progress 1
		.amdhsa_inst_pref_size 18
		.amdhsa_round_robin_scheduling 0
		.amdhsa_exception_fp_ieee_invalid_op 0
		.amdhsa_exception_fp_denorm_src 0
		.amdhsa_exception_fp_ieee_div_zero 0
		.amdhsa_exception_fp_ieee_overflow 0
		.amdhsa_exception_fp_ieee_underflow 0
		.amdhsa_exception_fp_ieee_inexact 0
		.amdhsa_exception_int_div_zero 0
	.end_amdhsa_kernel
	.section	.text._ZL50rocblas_symv_kernel_upper_double_buffered_diagonalILi32ELi4E24rocblas_internal_val_ptrIdEPKPKdPKPdEvbiT1_lT2_lllSA_lllS9_lT3_llli,"axG",@progbits,_ZL50rocblas_symv_kernel_upper_double_buffered_diagonalILi32ELi4E24rocblas_internal_val_ptrIdEPKPKdPKPdEvbiT1_lT2_lllSA_lllS9_lT3_llli,comdat
.Lfunc_end155:
	.size	_ZL50rocblas_symv_kernel_upper_double_buffered_diagonalILi32ELi4E24rocblas_internal_val_ptrIdEPKPKdPKPdEvbiT1_lT2_lllSA_lllS9_lT3_llli, .Lfunc_end155-_ZL50rocblas_symv_kernel_upper_double_buffered_diagonalILi32ELi4E24rocblas_internal_val_ptrIdEPKPKdPKPdEvbiT1_lT2_lllSA_lllS9_lT3_llli
                                        ; -- End function
	.set _ZL50rocblas_symv_kernel_upper_double_buffered_diagonalILi32ELi4E24rocblas_internal_val_ptrIdEPKPKdPKPdEvbiT1_lT2_lllSA_lllS9_lT3_llli.num_vgpr, 50
	.set _ZL50rocblas_symv_kernel_upper_double_buffered_diagonalILi32ELi4E24rocblas_internal_val_ptrIdEPKPKdPKPdEvbiT1_lT2_lllSA_lllS9_lT3_llli.num_agpr, 0
	.set _ZL50rocblas_symv_kernel_upper_double_buffered_diagonalILi32ELi4E24rocblas_internal_val_ptrIdEPKPKdPKPdEvbiT1_lT2_lllSA_lllS9_lT3_llli.numbered_sgpr, 48
	.set _ZL50rocblas_symv_kernel_upper_double_buffered_diagonalILi32ELi4E24rocblas_internal_val_ptrIdEPKPKdPKPdEvbiT1_lT2_lllSA_lllS9_lT3_llli.num_named_barrier, 0
	.set _ZL50rocblas_symv_kernel_upper_double_buffered_diagonalILi32ELi4E24rocblas_internal_val_ptrIdEPKPKdPKPdEvbiT1_lT2_lllSA_lllS9_lT3_llli.private_seg_size, 0
	.set _ZL50rocblas_symv_kernel_upper_double_buffered_diagonalILi32ELi4E24rocblas_internal_val_ptrIdEPKPKdPKPdEvbiT1_lT2_lllSA_lllS9_lT3_llli.uses_vcc, 1
	.set _ZL50rocblas_symv_kernel_upper_double_buffered_diagonalILi32ELi4E24rocblas_internal_val_ptrIdEPKPKdPKPdEvbiT1_lT2_lllSA_lllS9_lT3_llli.uses_flat_scratch, 1
	.set _ZL50rocblas_symv_kernel_upper_double_buffered_diagonalILi32ELi4E24rocblas_internal_val_ptrIdEPKPKdPKPdEvbiT1_lT2_lllSA_lllS9_lT3_llli.has_dyn_sized_stack, 0
	.set _ZL50rocblas_symv_kernel_upper_double_buffered_diagonalILi32ELi4E24rocblas_internal_val_ptrIdEPKPKdPKPdEvbiT1_lT2_lllSA_lllS9_lT3_llli.has_recursion, 0
	.set _ZL50rocblas_symv_kernel_upper_double_buffered_diagonalILi32ELi4E24rocblas_internal_val_ptrIdEPKPKdPKPdEvbiT1_lT2_lllSA_lllS9_lT3_llli.has_indirect_call, 0
	.section	.AMDGPU.csdata,"",@progbits
; Kernel info:
; codeLenInByte = 2188
; TotalNumSgprs: 50
; NumVgprs: 50
; ScratchSize: 0
; MemoryBound: 0
; FloatMode: 240
; IeeeMode: 1
; LDSByteSize: 12544 bytes/workgroup (compile time only)
; SGPRBlocks: 0
; VGPRBlocks: 3
; NumSGPRsForWavesPerEU: 50
; NumVGPRsForWavesPerEU: 50
; NamedBarCnt: 0
; Occupancy: 16
; WaveLimiterHint : 1
; COMPUTE_PGM_RSRC2:SCRATCH_EN: 0
; COMPUTE_PGM_RSRC2:USER_SGPR: 4
; COMPUTE_PGM_RSRC2:TRAP_HANDLER: 0
; COMPUTE_PGM_RSRC2:TGID_X_EN: 1
; COMPUTE_PGM_RSRC2:TGID_Y_EN: 0
; COMPUTE_PGM_RSRC2:TGID_Z_EN: 1
; COMPUTE_PGM_RSRC2:TIDIG_COMP_CNT: 2
	.section	.text._ZL54rocblas_symv_kernel_upper_double_buffered_non_diagonalILi32ELi4ELi4E24rocblas_internal_val_ptrIdEPKPKdPKPdEvbiT2_lT3_lllSA_lllT4_llli,"axG",@progbits,_ZL54rocblas_symv_kernel_upper_double_buffered_non_diagonalILi32ELi4ELi4E24rocblas_internal_val_ptrIdEPKPKdPKPdEvbiT2_lT3_lllSA_lllT4_llli,comdat
	.globl	_ZL54rocblas_symv_kernel_upper_double_buffered_non_diagonalILi32ELi4ELi4E24rocblas_internal_val_ptrIdEPKPKdPKPdEvbiT2_lT3_lllSA_lllT4_llli ; -- Begin function _ZL54rocblas_symv_kernel_upper_double_buffered_non_diagonalILi32ELi4ELi4E24rocblas_internal_val_ptrIdEPKPKdPKPdEvbiT2_lT3_lllSA_lllT4_llli
	.p2align	8
	.type	_ZL54rocblas_symv_kernel_upper_double_buffered_non_diagonalILi32ELi4ELi4E24rocblas_internal_val_ptrIdEPKPKdPKPdEvbiT2_lT3_lllSA_lllT4_llli,@function
_ZL54rocblas_symv_kernel_upper_double_buffered_non_diagonalILi32ELi4ELi4E24rocblas_internal_val_ptrIdEPKPKdPKPdEvbiT2_lT3_lllSA_lllT4_llli: ; @_ZL54rocblas_symv_kernel_upper_double_buffered_non_diagonalILi32ELi4ELi4E24rocblas_internal_val_ptrIdEPKPKdPKPdEvbiT2_lT3_lllSA_lllT4_llli
; %bb.0:
	s_load_b64 s[12:13], s[0:1], 0x4
	s_load_b256 s[4:11], s[2:3], 0x8
	v_bfe_u32 v4, v0, 10, 10
	s_wait_xcnt 0x0
	s_load_b32 s1, s[2:3], 0x78
	v_and_b32_e32 v2, 0x3ff, v0
	s_bfe_u32 s0, ttmp6, 0x40014
	s_lshr_b32 s14, ttmp7, 16
	s_add_co_i32 s0, s0, 1
	v_bfe_u32 v0, v0, 20, 10
	s_mov_b32 s21, 0
	s_wait_kmcnt 0x0
	v_mul_u32_u24_e32 v1, s13, v4
	s_lshr_b32 s12, s12, 16
	v_dual_mov_b32 v6, s4 :: v_dual_mov_b32 v7, s5
	s_mul_i32 s12, s12, s13
	s_mul_i32 s4, s14, s0
	v_mad_u32_u24 v1, s12, v2, v1
	s_bfe_u32 s5, ttmp6, 0x40008
	s_getreg_b32 s0, hwreg(HW_REG_IB_STS2, 6, 4)
	s_add_co_i32 s5, s5, s4
	s_cmp_eq_u32 s0, 0
	v_add_lshl_u32 v0, v1, v0, 3
	s_cselect_b32 s4, s14, s5
	s_delay_alu instid0(SALU_CYCLE_1)
	s_cmp_ge_u32 s4, s1
	ds_store_b64 v0, v[6:7] offset:6400
	s_cbranch_scc1 .LBB156_29
; %bb.1:
	v_dual_mov_b32 v3, 0 :: v_dual_add_nc_u32 v80, 0x1900, v0
	v_lshl_add_u32 v0, v4, 5, v2
	s_clause 0x1
	s_load_b32 s5, s[2:3], 0x0
	s_load_b64 s[22:23], s[2:3], 0x28
	v_dual_add_nc_u32 v14, 1, v2 :: v_dual_bitop2_b32 v6, 15, v2 bitop3:0x40
	v_dual_lshlrev_b32 v23, 7, v2 :: v_dual_lshrrev_b32 v13, 4, v0
	v_add_nc_u32_e32 v16, 4, v2
	s_clause 0x1
	s_load_b128 s[12:15], s[2:3], 0x38
	s_load_b64 s[24:25], s[2:3], 0x48
	v_add_nc_u32_e32 v15, 3, v2
	s_clause 0x1
	s_load_b64 s[26:27], s[2:3], 0x58
	s_load_b128 s[16:19], s[2:3], 0x60
	v_dual_lshlrev_b32 v11, 2, v13 :: v_dual_lshlrev_b32 v22, 3, v6
	v_dual_lshlrev_b32 v12, 5, v13 :: v_dual_lshlrev_b32 v84, 8, v13
	v_dual_lshlrev_b32 v24, 9, v13 :: v_dual_bitop2_b32 v13, 15, v14 bitop3:0x40
	v_dual_add_nc_u32 v14, 2, v2 :: v_dual_bitop2_b32 v15, 15, v15 bitop3:0x40
	v_dual_add_nc_u32 v17, 6, v2 :: v_dual_lshlrev_b32 v10, 3, v2
	v_mov_b32_e32 v7, v3
	s_delay_alu instid0(VALU_DEP_4) | instskip(NEXT) | instid1(VALU_DEP_4)
	v_lshl_or_b32 v87, v13, 3, v23
	v_and_b32_e32 v13, 15, v14
	v_add_nc_u32_e32 v14, 5, v2
	s_wait_kmcnt 0x0
	s_bitcmp1_b32 s5, 0
	v_and_b32_e32 v16, 15, v16
	s_cselect_b32 s5, -1, 0
	v_lshl_or_b32 v88, v13, 3, v23
	v_and_b32_e32 v13, 15, v14
	s_bfe_u32 s28, ttmp6, 0x4000c
	s_bfe_u32 s30, ttmp6, 0x40010
	v_and_b32_e32 v14, 15, v17
	s_and_b32 s29, ttmp7, 0xffff
	v_lshl_or_b32 v91, v13, 3, v23
	v_add_nc_u32_e32 v13, 9, v2
	s_add_co_i32 s28, s28, 1
	s_add_co_i32 s30, s30, 1
	s_and_b32 s20, ttmp6, 15
	s_bfe_u32 s31, ttmp6, 0x40004
	s_xor_b32 s33, s5, -1
	s_mul_i32 s5, ttmp9, s28
	s_mul_i32 s28, s29, s30
	v_mad_nc_u64_u32 v[0:1], s22, v11, v[6:7]
	v_lshl_or_b32 v89, v15, 3, v23
	v_add_nc_u32_e32 v15, 7, v2
	v_lshl_or_b32 v90, v16, 3, v23
	v_dual_add_nc_u32 v16, 10, v2 :: v_dual_bitop2_b32 v13, 15, v13 bitop3:0x40
	v_add_nc_u32_e32 v17, 11, v2
	s_add_co_i32 s20, s20, s5
	s_add_co_i32 s31, s31, s28
	s_cmp_eq_u32 s0, 0
	v_lshl_or_b32 v92, v14, 3, v23
	s_cselect_b32 s28, ttmp9, s20
	v_and_b32_e32 v14, 15, v15
	v_bitop3_b32 v15, v2, 8, 15 bitop3:0x6c
	v_and_b32_e32 v16, 15, v16
	v_lshl_or_b32 v95, v13, 3, v23
	v_dual_mov_b32 v13, v3 :: v_dual_bitop2_b32 v25, 15, v17 bitop3:0x40
	s_cselect_b32 s54, s29, s31
	s_lshl_b32 s36, s28, 5
	v_dual_mov_b32 v9, v3 :: v_dual_bitop2_b32 v8, 16, v6 bitop3:0x54
	s_ashr_i32 s37, s36, 31
	s_lshl_b32 s55, s54, 5
	v_add_nc_u32_e32 v83, 0x1800, v12
	v_lshl_or_b32 v93, v14, 3, v23
	v_lshl_or_b32 v94, v15, 3, v23
	v_add_nc_u32_e32 v14, 12, v2
	v_lshl_or_b32 v96, v16, 3, v23
	v_dual_add_nc_u32 v15, 13, v2 :: v_dual_add_nc_u32 v16, 14, v2
	v_lshl_add_u64 v[12:13], s[36:37], 3, v[12:13]
	s_cmp_lg_u32 s28, 0
	v_cmp_eq_u32_e64 s0, 0, v4
	v_mul_u64_e32 v[4:5], s[24:25], v[2:3]
	v_add_nc_u32_e32 v81, 0x1800, v10
	v_mad_u32 v1, s23, v11, v1
	v_mul_u64_e32 v[6:7], s[24:25], v[6:7]
	v_mul_u64_e32 v[8:9], s[24:25], v[8:9]
	v_add_nc_u32_e32 v85, 0x1000, v10
	v_mul_u64_e32 v[10:11], s[18:19], v[2:3]
	s_cselect_b32 s56, -1, 0
	s_lshl_b64 s[10:11], s[10:11], 3
	v_dual_add_nc_u32 v2, -1, v2 :: v_dual_bitop2_b32 v27, 15, v15 bitop3:0x40
	v_and_b32_e32 v26, 15, v14
	v_and_b32_e32 v28, 15, v16
	v_or_b32_e32 v16, 16, v12
	v_mul_lo_u32 v29, s23, v12
	v_or_b32_e32 v18, 24, v12
	v_mad_nc_u64_u32 v[14:15], s22, v12, s[10:11]
	v_or_b32_e32 v12, 8, v12
	v_mul_lo_u32 v13, s22, v13
	v_mul_lo_u32 v30, s23, v16
	v_mad_nc_u64_u32 v[16:17], s22, v16, s[10:11]
	v_mul_lo_u32 v31, s23, v18
	v_mad_nc_u64_u32 v[18:19], s22, v18, s[10:11]
	;; [unrolled: 2-line block ×3, first 2 shown]
	v_and_b32_e32 v2, 15, v2
	v_dual_add_nc_u32 v102, v22, v24 :: v_dual_bitop2_b32 v86, v23, v22 bitop3:0x54
	v_lshl_or_b32 v97, v25, 3, v23
	v_lshl_or_b32 v98, v26, 3, v23
	;; [unrolled: 1-line block ×5, first 2 shown]
	v_add3_u32 v15, v29, v15, v13
	v_mov_b32_e32 v23, v3
	v_add3_u32 v17, v30, v17, v13
	v_add3_u32 v19, v31, v19, v13
	;; [unrolled: 1-line block ×3, first 2 shown]
	v_or_b32_e32 v82, 0x1000, v22
	v_add_nc_u64_e32 v[12:13], v[14:15], v[22:23]
	v_add_nc_u64_e32 v[14:15], v[16:17], v[22:23]
	;; [unrolled: 1-line block ×4, first 2 shown]
	v_or_b32_e32 v2, 0x100, v22
	v_or_b32_e32 v20, 0x80, v22
	v_mov_b32_e32 v21, v3
	s_mul_u64 s[42:43], s[22:23], s[36:37]
	s_mul_u64 s[40:41], s[24:25], s[36:37]
	;; [unrolled: 1-line block ×3, first 2 shown]
	s_add_nc_u64 s[2:3], s[2:3], 0x80
	s_lshl_b64 s[30:31], s[24:25], 8
	s_lshl_b64 s[34:35], s[18:19], 8
	s_mov_b32 s29, s21
	s_lshl_b64 s[36:37], s[22:23], 3
	s_lshl_b64 s[14:15], s[14:15], 3
	;; [unrolled: 1-line block ×7, first 2 shown]
	s_branch .LBB156_3
.LBB156_2:                              ;   in Loop: Header=BB156_3 Depth=1
	s_wait_xcnt 0x0
	s_or_b32 exec_lo, exec_lo, s5
	s_add_co_i32 s4, s4, 0x10000
	s_delay_alu instid0(SALU_CYCLE_1)
	s_cmp_lt_u32 s4, s1
	s_cbranch_scc0 .LBB156_29
.LBB156_3:                              ; =>This Loop Header: Depth=1
                                        ;     Child Loop BB156_17 Depth 2
	s_and_b32 vcc_lo, exec_lo, s33
	s_mov_b32 s5, -1
                                        ; implicit-def: $vgpr22_vgpr23
	s_cbranch_vccz .LBB156_5
; %bb.4:                                ;   in Loop: Header=BB156_3 Depth=1
	ds_load_b64 v[22:23], v80
	s_mov_b32 s5, s21
	s_wait_kmcnt 0x0
	s_mul_u64 s[46:47], s[6:7], s[4:5]
	s_mov_b32 s5, 0
	s_wait_dscnt 0x0
	v_lshl_add_u64 v[22:23], s[46:47], 3, v[22:23]
	flat_load_b64 v[22:23], v[22:23]
.LBB156_5:                              ;   in Loop: Header=BB156_3 Depth=1
	s_and_not1_b32 vcc_lo, exec_lo, s5
	s_cbranch_vccnz .LBB156_7
; %bb.6:                                ;   in Loop: Header=BB156_3 Depth=1
	s_wait_loadcnt_dscnt 0x0
	s_wait_xcnt 0x0
	ds_load_b64 v[22:23], v80
.LBB156_7:                              ;   in Loop: Header=BB156_3 Depth=1
	s_mov_b32 s5, exec_lo
	s_wait_loadcnt_dscnt 0x0
	s_wait_xcnt 0x0
	v_cmpx_neq_f64_e32 0, v[22:23]
	s_cbranch_execz .LBB156_2
; %bb.8:                                ;   in Loop: Header=BB156_3 Depth=1
	s_and_not1_b32 vcc_lo, exec_lo, s56
	s_cbranch_vccnz .LBB156_2
; %bb.9:                                ;   in Loop: Header=BB156_3 Depth=1
	v_mov_b32_e32 v24, s4
	s_clause 0x1
	global_load_b64 v[26:27], v24, s[12:13] scale_offset
	global_load_b64 v[28:29], v24, s[8:9] scale_offset
	s_wait_loadcnt 0x1
	s_wait_xcnt 0x0
	v_add_nc_u64_e32 v[24:25], s[14:15], v[26:27]
	s_and_saveexec_b32 s20, s0
	s_cbranch_execz .LBB156_11
; %bb.10:                               ;   in Loop: Header=BB156_3 Depth=1
	s_delay_alu instid0(VALU_DEP_1) | instskip(NEXT) | instid1(VALU_DEP_1)
	v_add_nc_u64_e32 v[30:31], s[40:41], v[24:25]
	v_lshl_add_u64 v[30:31], v[4:5], 3, v[30:31]
	flat_load_b64 v[30:31], v[30:31]
	s_wait_loadcnt_dscnt 0x0
	ds_store_b64 v81, v[30:31]
.LBB156_11:                             ;   in Loop: Header=BB156_3 Depth=1
	s_wait_xcnt 0x0
	s_or_b32 exec_lo, exec_lo, s20
	s_load_b32 s49, s[2:3], 0x4
	s_wait_kmcnt 0x0
	s_cvt_f32_u32 s20, s49
	s_sub_co_i32 s46, 0, s49
	s_delay_alu instid0(SALU_CYCLE_2) | instskip(SKIP_1) | instid1(TRANS32_DEP_1)
	v_rcp_iflag_f32_e32 v30, s20
	v_nop
	v_readfirstlane_b32 s20, v30
	s_mul_f32 s20, s20, 0x4f7ffffe
	s_delay_alu instid0(SALU_CYCLE_3) | instskip(NEXT) | instid1(SALU_CYCLE_3)
	s_cvt_u32_f32 s20, s20
	s_mul_i32 s46, s46, s20
	s_delay_alu instid0(SALU_CYCLE_1) | instskip(NEXT) | instid1(SALU_CYCLE_1)
	s_mul_hi_u32 s46, s20, s46
	s_add_co_i32 s20, s20, s46
	s_load_b64 s[46:47], s[26:27], s4 offset:0x0 scale_offset
	s_mul_u64 s[50:51], s[28:29], s[20:21]
	s_delay_alu instid0(SALU_CYCLE_1) | instskip(SKIP_2) | instid1(SALU_CYCLE_1)
	s_mul_i32 s20, s51, s49
	s_add_co_i32 s48, s51, 1
	s_sub_co_i32 s20, s28, s20
	s_sub_co_i32 s50, s20, s49
	s_cmp_ge_u32 s20, s49
	s_cselect_b32 s48, s48, s51
	s_cselect_b32 s20, s50, s20
	s_add_co_i32 s50, s48, 1
	s_cmp_ge_u32 s20, s49
	s_cselect_b32 s48, s50, s48
	s_add_co_i32 s20, s49, -1
	s_delay_alu instid0(SALU_CYCLE_1)
	s_cmp_lg_u32 s54, s20
	s_mov_b32 s20, s48
	s_cbranch_scc1 .LBB156_13
; %bb.12:                               ;   in Loop: Header=BB156_3 Depth=1
	s_mul_i32 s20, s48, s49
	s_delay_alu instid0(SALU_CYCLE_1) | instskip(NEXT) | instid1(SALU_CYCLE_1)
	s_sub_co_i32 s20, s28, s20
	s_add_co_i32 s20, s20, s48
.LBB156_13:                             ;   in Loop: Header=BB156_3 Depth=1
	s_delay_alu instid0(SALU_CYCLE_1)
	s_cmp_eq_u32 s20, 0
	s_cbranch_scc1 .LBB156_2
; %bb.14:                               ;   in Loop: Header=BB156_3 Depth=1
	s_wait_kmcnt 0x0
	s_add_nc_u64 s[46:47], s[46:47], s[16:17]
	s_cmp_lt_i32 s20, 1
	s_wait_loadcnt_dscnt 0x0
	s_barrier_signal -1
	s_barrier_wait -1
	s_cbranch_scc1 .LBB156_21
; %bb.15:                               ;   in Loop: Header=BB156_3 Depth=1
	v_add_nc_u64_e32 v[30:31], s[10:11], v[28:29]
	s_mul_i32 s50, s55, s48
	s_delay_alu instid0(SALU_CYCLE_1) | instskip(NEXT) | instid1(SALU_CYCLE_1)
	s_ashr_i32 s51, s50, 31
	s_lshl_b64 s[48:49], s[50:51], 3
	s_mul_u64 s[52:53], s[24:25], s[50:51]
	s_delay_alu instid0(VALU_DEP_1) | instskip(SKIP_1) | instid1(SALU_CYCLE_1)
	v_add_nc_u64_e32 v[34:35], s[42:43], v[30:31]
	s_lshl_b64 s[52:53], s[52:53], 3
	v_add_nc_u64_e32 v[52:53], s[52:53], v[24:25]
	s_mul_u64 s[52:53], s[18:19], s[50:51]
	s_delay_alu instid0(SALU_CYCLE_1) | instskip(NEXT) | instid1(VALU_DEP_2)
	s_lshl_b64 s[52:53], s[52:53], 3
	v_add_nc_u64_e32 v[48:49], s[48:49], v[34:35]
	s_add_nc_u64 s[52:53], s[46:47], s[52:53]
	s_cmp_eq_u32 s20, 1
	s_delay_alu instid0(VALU_DEP_2) | instskip(NEXT) | instid1(VALU_DEP_2)
	v_lshl_add_u64 v[38:39], v[6:7], 3, v[52:53]
	v_lshl_add_u64 v[30:31], v[0:1], 3, v[48:49]
	s_delay_alu instid0(VALU_DEP_1) | instskip(NEXT) | instid1(VALU_DEP_1)
	v_lshl_add_u64 v[32:33], s[22:23], 3, v[30:31]
	v_add_nc_u64_e32 v[36:37], s[36:37], v[32:33]
	s_delay_alu instid0(VALU_DEP_1)
	v_add_nc_u64_e32 v[24:25], s[36:37], v[36:37]
	s_clause 0x3
	flat_load_b64 v[58:59], v[30:31]
	flat_load_b64 v[64:65], v[32:33]
	;; [unrolled: 1-line block ×5, first 2 shown]
	s_wait_xcnt 0x1
	v_mov_b64_e32 v[24:25], 0
	s_cbranch_scc1 .LBB156_22
; %bb.16:                               ;   in Loop: Header=BB156_3 Depth=1
	v_add_nc_u64_e32 v[24:25], s[48:49], v[2:3]
	v_add_nc_u64_e32 v[30:31], s[48:49], v[20:21]
	s_mul_u64 s[50:51], s[38:39], s[50:51]
	v_add_nc_u64_e32 v[52:53], v[28:29], v[12:13]
	v_add_nc_u64_e32 v[54:55], v[28:29], v[14:15]
	v_add_nc_u64_e32 v[56:57], v[28:29], v[16:17]
	v_add_nc_u64_e32 v[62:63], v[28:29], v[18:19]
	v_mad_nc_u64_u32 v[48:49], s24, v24, v[26:27]
	v_mad_nc_u64_u32 v[50:51], s24, v30, v[26:27]
	v_add_nc_u64_e32 v[60:61], s[50:51], v[26:27]
	v_mov_b64_e32 v[26:27], 0
	v_mov_b64_e32 v[28:29], 0
	;; [unrolled: 1-line block ×3, first 2 shown]
	s_add_co_i32 s20, s20, -1
	v_mad_u32 v24, s25, v24, v49
	v_mad_u32 v30, s25, v30, v51
	s_delay_alu instid0(VALU_DEP_2) | instskip(NEXT) | instid1(VALU_DEP_2)
	v_mad_u32 v49, s24, v25, v24
	v_mad_u32 v51, s24, v31, v30
	v_mov_b64_e32 v[30:31], 0
	v_mov_b64_e32 v[24:25], 0
.LBB156_17:                             ;   Parent Loop BB156_3 Depth=1
                                        ; =>  This Inner Loop Header: Depth=2
	v_add_nc_u64_e32 v[104:105], s[48:49], v[52:53]
	v_add_nc_u64_e32 v[106:107], s[48:49], v[62:63]
	;; [unrolled: 1-line block ×6, first 2 shown]
	v_add_nc_u32_e32 v103, v82, v84
	flat_load_b64 v[70:71], v[104:105] offset:128
	flat_load_b64 v[72:73], v[106:107] offset:128
	;; [unrolled: 1-line block ×4, first 2 shown]
	flat_load_b64 v[78:79], v[112:113]
	flat_load_b64 v[42:43], v[104:105] offset:256
	flat_load_b64 v[40:41], v[106:107] offset:256
	;; [unrolled: 1-line block ×4, first 2 shown]
	flat_load_b64 v[44:45], v[114:115]
	s_wait_xcnt 0x3
	ds_load_b128 v[104:107], v83
	s_wait_xcnt 0x1
	ds_load_b128 v[108:111], v83 offset:16
	s_wait_loadcnt_dscnt 0x0
	s_barrier_signal -1
	s_barrier_wait -1
	v_fma_f64 v[112:113], v[58:59], v[104:105], 0
	s_delay_alu instid0(VALU_DEP_1) | instskip(NEXT) | instid1(VALU_DEP_1)
	v_fmac_f64_e32 v[112:113], v[64:65], v[106:107]
	v_fmac_f64_e32 v[112:113], v[66:67], v[108:109]
	s_delay_alu instid0(VALU_DEP_1) | instskip(SKIP_1) | instid1(VALU_DEP_1)
	v_fmac_f64_e32 v[112:113], v[68:69], v[110:111]
	v_fma_f64 v[104:105], v[70:71], v[104:105], 0
	v_fmac_f64_e32 v[104:105], v[72:73], v[106:107]
	s_delay_alu instid0(VALU_DEP_1) | instskip(NEXT) | instid1(VALU_DEP_1)
	v_fmac_f64_e32 v[104:105], v[74:75], v[108:109]
	v_fmac_f64_e32 v[104:105], v[76:77], v[110:111]
	ds_store_2addr_b64 v103, v[112:113], v[104:105] offset1:16
	s_wait_dscnt 0x0
	s_barrier_signal -1
	s_barrier_wait -1
	s_wait_xcnt 0x0
	s_and_saveexec_b32 s50, s0
	s_cbranch_execz .LBB156_19
; %bb.18:                               ;   in Loop: Header=BB156_17 Depth=2
	ds_load_2addr_b64 v[104:107], v85 offset1:32
	s_wait_dscnt 0x0
	v_add_f64_e32 v[104:105], 0, v[104:105]
	s_delay_alu instid0(VALU_DEP_1) | instskip(SKIP_3) | instid1(VALU_DEP_1)
	v_add_f64_e32 v[108:109], v[104:105], v[106:107]
	ds_load_2addr_b64 v[104:107], v85 offset0:64 offset1:96
	s_wait_dscnt 0x0
	v_add_f64_e32 v[104:105], v[108:109], v[104:105]
	v_add_f64_e32 v[108:109], v[104:105], v[106:107]
	ds_load_2addr_b64 v[104:107], v85 offset0:128 offset1:160
	s_wait_dscnt 0x0
	v_add_f64_e32 v[104:105], v[108:109], v[104:105]
	s_delay_alu instid0(VALU_DEP_1) | instskip(SKIP_3) | instid1(VALU_DEP_1)
	v_add_f64_e32 v[108:109], v[104:105], v[106:107]
	ds_load_2addr_b64 v[104:107], v85 offset0:192 offset1:224
	s_wait_dscnt 0x0
	v_add_f64_e32 v[104:105], v[108:109], v[104:105]
	v_add_f64_e32 v[104:105], v[104:105], v[106:107]
	v_lshl_add_u64 v[106:107], v[10:11], 3, v[32:33]
	v_add_nc_u64_e32 v[32:33], s[34:35], v[32:33]
	s_delay_alu instid0(VALU_DEP_3)
	v_mul_f64_e32 v[104:105], v[22:23], v[104:105]
	flat_atomic_add_f64 v[106:107], v[104:105] scope:SCOPE_DEV
.LBB156_19:                             ;   in Loop: Header=BB156_17 Depth=2
	s_wait_xcnt 0x0
	s_or_b32 exec_lo, exec_lo, s50
	v_fmac_f64_e32 v[26:27], v[46:47], v[58:59]
	v_fmac_f64_e32 v[30:31], v[46:47], v[64:65]
	;; [unrolled: 1-line block ×4, first 2 shown]
	v_add_nc_u64_e32 v[34:35], 0x100, v[34:35]
	v_add_nc_u64_e32 v[52:53], 0x100, v[52:53]
	;; [unrolled: 1-line block ×8, first 2 shown]
	s_add_co_i32 s20, s20, -1
	s_delay_alu instid0(SALU_CYCLE_1)
	s_cmp_eq_u32 s20, 0
	v_fmac_f64_e32 v[26:27], v[78:79], v[70:71]
	v_fmac_f64_e32 v[30:31], v[78:79], v[72:73]
	;; [unrolled: 1-line block ×4, first 2 shown]
	s_cbranch_scc1 .LBB156_23
; %bb.20:                               ;   in Loop: Header=BB156_17 Depth=2
	v_mov_b64_e32 v[46:47], v[44:45]
	v_mov_b64_e32 v[58:59], v[42:43]
	;; [unrolled: 1-line block ×5, first 2 shown]
	s_branch .LBB156_17
.LBB156_21:                             ;   in Loop: Header=BB156_3 Depth=1
	v_mov_b64_e32 v[24:25], 0
	v_mov_b64_e32 v[28:29], 0
	;; [unrolled: 1-line block ×4, first 2 shown]
	s_branch .LBB156_27
.LBB156_22:                             ;   in Loop: Header=BB156_3 Depth=1
	v_mov_b64_e32 v[32:33], s[52:53]
	s_wait_loadcnt_dscnt 0x101
	v_mov_b64_e32 v[36:37], v[68:69]
	s_wait_xcnt 0x0
	v_mov_b64_e32 v[38:39], v[66:67]
	v_mov_b64_e32 v[40:41], v[64:65]
	;; [unrolled: 1-line block ×6, first 2 shown]
	s_wait_loadcnt_dscnt 0x0
	v_mov_b64_e32 v[44:45], v[46:47]
	s_branch .LBB156_24
.LBB156_23:                             ;   in Loop: Header=BB156_3 Depth=1
	v_add_nc_u64_e32 v[52:53], s[14:15], v[60:61]
	v_add_nc_u64_e32 v[48:49], s[48:49], v[34:35]
.LBB156_24:                             ;   in Loop: Header=BB156_3 Depth=1
	s_delay_alu instid0(VALU_DEP_1) | instskip(NEXT) | instid1(VALU_DEP_3)
	v_lshl_add_u64 v[46:47], v[0:1], 3, v[48:49]
	v_lshl_add_u64 v[52:53], v[8:9], 3, v[52:53]
	flat_load_b64 v[34:35], v[46:47] offset:128
	v_lshl_add_u64 v[48:49], s[22:23], 3, v[46:47]
	flat_load_b64 v[52:53], v[52:53]
	flat_load_b64 v[46:47], v[48:49] offset:128
	v_add_nc_u64_e32 v[50:51], s[36:37], v[48:49]
	flat_load_b64 v[48:49], v[50:51] offset:128
	s_wait_xcnt 0x0
	v_add_nc_u64_e32 v[50:51], s[36:37], v[50:51]
	flat_load_b64 v[50:51], v[50:51] offset:128
	ds_load_b128 v[54:57], v83
	ds_load_b128 v[58:61], v83 offset:16
	s_wait_storecnt 0x0
	s_wait_loadcnt_dscnt 0x0
	s_barrier_signal -1
	s_barrier_wait -1
	v_fma_f64 v[62:63], v[42:43], v[54:55], 0
	s_delay_alu instid0(VALU_DEP_1) | instskip(NEXT) | instid1(VALU_DEP_1)
	v_fmac_f64_e32 v[62:63], v[40:41], v[56:57]
	v_fmac_f64_e32 v[62:63], v[38:39], v[58:59]
	s_delay_alu instid0(VALU_DEP_1) | instskip(SKIP_1) | instid1(VALU_DEP_1)
	v_fmac_f64_e32 v[62:63], v[36:37], v[60:61]
	v_fma_f64 v[54:55], v[34:35], v[54:55], 0
	v_fmac_f64_e32 v[54:55], v[46:47], v[56:57]
	v_add_nc_u32_e32 v56, v82, v84
	s_delay_alu instid0(VALU_DEP_2) | instskip(NEXT) | instid1(VALU_DEP_1)
	v_fmac_f64_e32 v[54:55], v[48:49], v[58:59]
	v_fmac_f64_e32 v[54:55], v[50:51], v[60:61]
	ds_store_2addr_b64 v56, v[62:63], v[54:55] offset1:16
	s_wait_dscnt 0x0
	s_barrier_signal -1
	s_barrier_wait -1
	s_and_saveexec_b32 s20, s0
	s_cbranch_execz .LBB156_26
; %bb.25:                               ;   in Loop: Header=BB156_3 Depth=1
	ds_load_2addr_b64 v[54:57], v85 offset1:32
	v_lshl_add_u64 v[32:33], v[10:11], 3, v[32:33]
	s_wait_dscnt 0x0
	v_add_f64_e32 v[54:55], 0, v[54:55]
	s_delay_alu instid0(VALU_DEP_1) | instskip(SKIP_3) | instid1(VALU_DEP_1)
	v_add_f64_e32 v[58:59], v[54:55], v[56:57]
	ds_load_2addr_b64 v[54:57], v85 offset0:64 offset1:96
	s_wait_dscnt 0x0
	v_add_f64_e32 v[54:55], v[58:59], v[54:55]
	v_add_f64_e32 v[58:59], v[54:55], v[56:57]
	ds_load_2addr_b64 v[54:57], v85 offset0:128 offset1:160
	s_wait_dscnt 0x0
	v_add_f64_e32 v[54:55], v[58:59], v[54:55]
	s_delay_alu instid0(VALU_DEP_1) | instskip(SKIP_3) | instid1(VALU_DEP_1)
	v_add_f64_e32 v[58:59], v[54:55], v[56:57]
	ds_load_2addr_b64 v[54:57], v85 offset0:192 offset1:224
	s_wait_dscnt 0x0
	v_add_f64_e32 v[54:55], v[58:59], v[54:55]
	v_add_f64_e32 v[54:55], v[54:55], v[56:57]
	s_delay_alu instid0(VALU_DEP_1)
	v_mul_f64_e32 v[54:55], v[22:23], v[54:55]
	flat_atomic_add_f64 v[32:33], v[54:55] scope:SCOPE_DEV
.LBB156_26:                             ;   in Loop: Header=BB156_3 Depth=1
	s_wait_xcnt 0x0
	s_or_b32 exec_lo, exec_lo, s20
	v_fmac_f64_e32 v[26:27], v[44:45], v[42:43]
	v_fmac_f64_e32 v[30:31], v[44:45], v[40:41]
	;; [unrolled: 1-line block ×4, first 2 shown]
	s_delay_alu instid0(VALU_DEP_4) | instskip(NEXT) | instid1(VALU_DEP_4)
	v_fmac_f64_e32 v[26:27], v[52:53], v[34:35]
	v_fmac_f64_e32 v[30:31], v[52:53], v[46:47]
	s_delay_alu instid0(VALU_DEP_4) | instskip(NEXT) | instid1(VALU_DEP_4)
	v_fmac_f64_e32 v[28:29], v[52:53], v[48:49]
	v_fmac_f64_e32 v[24:25], v[52:53], v[50:51]
.LBB156_27:                             ;   in Loop: Header=BB156_3 Depth=1
	ds_store_2addr_b64 v102, v[26:27], v[30:31] offset1:16
	ds_store_2addr_b64 v102, v[28:29], v[24:25] offset0:32 offset1:48
	s_wait_storecnt_dscnt 0x0
	s_barrier_signal -1
	s_barrier_wait -1
	s_and_b32 exec_lo, exec_lo, s0
	s_cbranch_execz .LBB156_2
; %bb.28:                               ;   in Loop: Header=BB156_3 Depth=1
	ds_load_b64 v[24:25], v86
	ds_load_b64 v[26:27], v87
	ds_load_b64 v[28:29], v88
	ds_load_b64 v[30:31], v89
	s_add_nc_u64 s[46:47], s[46:47], s[44:45]
	s_wait_dscnt 0x3
	v_add_f64_e32 v[24:25], 0, v[24:25]
	s_wait_dscnt 0x2
	s_delay_alu instid0(VALU_DEP_1) | instskip(SKIP_1) | instid1(VALU_DEP_1)
	v_add_f64_e32 v[24:25], v[24:25], v[26:27]
	s_wait_dscnt 0x1
	v_add_f64_e32 v[24:25], v[24:25], v[28:29]
	s_wait_dscnt 0x0
	s_delay_alu instid0(VALU_DEP_1)
	v_add_f64_e32 v[24:25], v[24:25], v[30:31]
	ds_load_b64 v[26:27], v90
	ds_load_b64 v[28:29], v91
	ds_load_b64 v[30:31], v92
	ds_load_b64 v[32:33], v93
	s_wait_dscnt 0x3
	v_add_f64_e32 v[24:25], v[24:25], v[26:27]
	s_wait_dscnt 0x2
	s_delay_alu instid0(VALU_DEP_1) | instskip(SKIP_1) | instid1(VALU_DEP_1)
	v_add_f64_e32 v[24:25], v[24:25], v[28:29]
	s_wait_dscnt 0x1
	v_add_f64_e32 v[24:25], v[24:25], v[30:31]
	s_wait_dscnt 0x0
	s_delay_alu instid0(VALU_DEP_1)
	v_add_f64_e32 v[24:25], v[24:25], v[32:33]
	ds_load_b64 v[26:27], v94
	ds_load_b64 v[28:29], v95
	ds_load_b64 v[30:31], v96
	ds_load_b64 v[32:33], v97
	;; [unrolled: 14-line block ×3, first 2 shown]
	s_wait_dscnt 0x3
	v_add_f64_e32 v[24:25], v[24:25], v[26:27]
	s_wait_dscnt 0x2
	s_delay_alu instid0(VALU_DEP_1) | instskip(SKIP_1) | instid1(VALU_DEP_1)
	v_add_f64_e32 v[24:25], v[24:25], v[28:29]
	s_wait_dscnt 0x1
	v_add_f64_e32 v[24:25], v[24:25], v[30:31]
	s_wait_dscnt 0x0
	s_delay_alu instid0(VALU_DEP_1) | instskip(NEXT) | instid1(VALU_DEP_1)
	v_add_f64_e32 v[24:25], v[24:25], v[32:33]
	v_mul_f64_e32 v[22:23], v[22:23], v[24:25]
	v_lshl_add_u64 v[24:25], v[10:11], 3, s[46:47]
	flat_atomic_add_f64 v[24:25], v[22:23] scope:SCOPE_DEV
	s_branch .LBB156_2
.LBB156_29:
	s_sendmsg sendmsg(MSG_DEALLOC_VGPRS)
	s_endpgm
	.section	.rodata,"a",@progbits
	.p2align	6, 0x0
	.amdhsa_kernel _ZL54rocblas_symv_kernel_upper_double_buffered_non_diagonalILi32ELi4ELi4E24rocblas_internal_val_ptrIdEPKPKdPKPdEvbiT2_lT3_lllSA_lllT4_llli
		.amdhsa_group_segment_fixed_size 7424
		.amdhsa_private_segment_fixed_size 0
		.amdhsa_kernarg_size 384
		.amdhsa_user_sgpr_count 4
		.amdhsa_user_sgpr_dispatch_ptr 1
		.amdhsa_user_sgpr_queue_ptr 0
		.amdhsa_user_sgpr_kernarg_segment_ptr 1
		.amdhsa_user_sgpr_dispatch_id 0
		.amdhsa_user_sgpr_kernarg_preload_length 0
		.amdhsa_user_sgpr_kernarg_preload_offset 0
		.amdhsa_user_sgpr_private_segment_size 0
		.amdhsa_wavefront_size32 1
		.amdhsa_uses_dynamic_stack 0
		.amdhsa_enable_private_segment 0
		.amdhsa_system_sgpr_workgroup_id_x 1
		.amdhsa_system_sgpr_workgroup_id_y 1
		.amdhsa_system_sgpr_workgroup_id_z 1
		.amdhsa_system_sgpr_workgroup_info 0
		.amdhsa_system_vgpr_workitem_id 2
		.amdhsa_next_free_vgpr 116
		.amdhsa_next_free_sgpr 57
		.amdhsa_named_barrier_count 0
		.amdhsa_reserve_vcc 1
		.amdhsa_float_round_mode_32 0
		.amdhsa_float_round_mode_16_64 0
		.amdhsa_float_denorm_mode_32 3
		.amdhsa_float_denorm_mode_16_64 3
		.amdhsa_fp16_overflow 0
		.amdhsa_memory_ordered 1
		.amdhsa_forward_progress 1
		.amdhsa_inst_pref_size 25
		.amdhsa_round_robin_scheduling 0
		.amdhsa_exception_fp_ieee_invalid_op 0
		.amdhsa_exception_fp_denorm_src 0
		.amdhsa_exception_fp_ieee_div_zero 0
		.amdhsa_exception_fp_ieee_overflow 0
		.amdhsa_exception_fp_ieee_underflow 0
		.amdhsa_exception_fp_ieee_inexact 0
		.amdhsa_exception_int_div_zero 0
	.end_amdhsa_kernel
	.section	.text._ZL54rocblas_symv_kernel_upper_double_buffered_non_diagonalILi32ELi4ELi4E24rocblas_internal_val_ptrIdEPKPKdPKPdEvbiT2_lT3_lllSA_lllT4_llli,"axG",@progbits,_ZL54rocblas_symv_kernel_upper_double_buffered_non_diagonalILi32ELi4ELi4E24rocblas_internal_val_ptrIdEPKPKdPKPdEvbiT2_lT3_lllSA_lllT4_llli,comdat
.Lfunc_end156:
	.size	_ZL54rocblas_symv_kernel_upper_double_buffered_non_diagonalILi32ELi4ELi4E24rocblas_internal_val_ptrIdEPKPKdPKPdEvbiT2_lT3_lllSA_lllT4_llli, .Lfunc_end156-_ZL54rocblas_symv_kernel_upper_double_buffered_non_diagonalILi32ELi4ELi4E24rocblas_internal_val_ptrIdEPKPKdPKPdEvbiT2_lT3_lllSA_lllT4_llli
                                        ; -- End function
	.set _ZL54rocblas_symv_kernel_upper_double_buffered_non_diagonalILi32ELi4ELi4E24rocblas_internal_val_ptrIdEPKPKdPKPdEvbiT2_lT3_lllSA_lllT4_llli.num_vgpr, 116
	.set _ZL54rocblas_symv_kernel_upper_double_buffered_non_diagonalILi32ELi4ELi4E24rocblas_internal_val_ptrIdEPKPKdPKPdEvbiT2_lT3_lllSA_lllT4_llli.num_agpr, 0
	.set _ZL54rocblas_symv_kernel_upper_double_buffered_non_diagonalILi32ELi4ELi4E24rocblas_internal_val_ptrIdEPKPKdPKPdEvbiT2_lT3_lllSA_lllT4_llli.numbered_sgpr, 57
	.set _ZL54rocblas_symv_kernel_upper_double_buffered_non_diagonalILi32ELi4ELi4E24rocblas_internal_val_ptrIdEPKPKdPKPdEvbiT2_lT3_lllSA_lllT4_llli.num_named_barrier, 0
	.set _ZL54rocblas_symv_kernel_upper_double_buffered_non_diagonalILi32ELi4ELi4E24rocblas_internal_val_ptrIdEPKPKdPKPdEvbiT2_lT3_lllSA_lllT4_llli.private_seg_size, 0
	.set _ZL54rocblas_symv_kernel_upper_double_buffered_non_diagonalILi32ELi4ELi4E24rocblas_internal_val_ptrIdEPKPKdPKPdEvbiT2_lT3_lllSA_lllT4_llli.uses_vcc, 1
	.set _ZL54rocblas_symv_kernel_upper_double_buffered_non_diagonalILi32ELi4ELi4E24rocblas_internal_val_ptrIdEPKPKdPKPdEvbiT2_lT3_lllSA_lllT4_llli.uses_flat_scratch, 1
	.set _ZL54rocblas_symv_kernel_upper_double_buffered_non_diagonalILi32ELi4ELi4E24rocblas_internal_val_ptrIdEPKPKdPKPdEvbiT2_lT3_lllSA_lllT4_llli.has_dyn_sized_stack, 0
	.set _ZL54rocblas_symv_kernel_upper_double_buffered_non_diagonalILi32ELi4ELi4E24rocblas_internal_val_ptrIdEPKPKdPKPdEvbiT2_lT3_lllSA_lllT4_llli.has_recursion, 0
	.set _ZL54rocblas_symv_kernel_upper_double_buffered_non_diagonalILi32ELi4ELi4E24rocblas_internal_val_ptrIdEPKPKdPKPdEvbiT2_lT3_lllSA_lllT4_llli.has_indirect_call, 0
	.section	.AMDGPU.csdata,"",@progbits
; Kernel info:
; codeLenInByte = 3084
; TotalNumSgprs: 59
; NumVgprs: 116
; ScratchSize: 0
; MemoryBound: 0
; FloatMode: 240
; IeeeMode: 1
; LDSByteSize: 7424 bytes/workgroup (compile time only)
; SGPRBlocks: 0
; VGPRBlocks: 7
; NumSGPRsForWavesPerEU: 59
; NumVGPRsForWavesPerEU: 116
; NamedBarCnt: 0
; Occupancy: 8
; WaveLimiterHint : 1
; COMPUTE_PGM_RSRC2:SCRATCH_EN: 0
; COMPUTE_PGM_RSRC2:USER_SGPR: 4
; COMPUTE_PGM_RSRC2:TRAP_HANDLER: 0
; COMPUTE_PGM_RSRC2:TGID_X_EN: 1
; COMPUTE_PGM_RSRC2:TGID_Y_EN: 1
; COMPUTE_PGM_RSRC2:TGID_Z_EN: 1
; COMPUTE_PGM_RSRC2:TIDIG_COMP_CNT: 2
	.section	.text._ZL58rocblas_symv_kernel_upper_double_buffered_diagonal_genericILi32ELi8E24rocblas_internal_val_ptrIdEPKPKdPKPdEvbiT1_lT2_lllSA_lllS9_lT3_lllii,"axG",@progbits,_ZL58rocblas_symv_kernel_upper_double_buffered_diagonal_genericILi32ELi8E24rocblas_internal_val_ptrIdEPKPKdPKPdEvbiT1_lT2_lllSA_lllS9_lT3_lllii,comdat
	.globl	_ZL58rocblas_symv_kernel_upper_double_buffered_diagonal_genericILi32ELi8E24rocblas_internal_val_ptrIdEPKPKdPKPdEvbiT1_lT2_lllSA_lllS9_lT3_lllii ; -- Begin function _ZL58rocblas_symv_kernel_upper_double_buffered_diagonal_genericILi32ELi8E24rocblas_internal_val_ptrIdEPKPKdPKPdEvbiT1_lT2_lllSA_lllS9_lT3_lllii
	.p2align	8
	.type	_ZL58rocblas_symv_kernel_upper_double_buffered_diagonal_genericILi32ELi8E24rocblas_internal_val_ptrIdEPKPKdPKPdEvbiT1_lT2_lllSA_lllS9_lT3_lllii,@function
_ZL58rocblas_symv_kernel_upper_double_buffered_diagonal_genericILi32ELi8E24rocblas_internal_val_ptrIdEPKPKdPKPdEvbiT1_lT2_lllSA_lllS9_lT3_lllii: ; @_ZL58rocblas_symv_kernel_upper_double_buffered_diagonal_genericILi32ELi8E24rocblas_internal_val_ptrIdEPKPKdPKPdEvbiT1_lT2_lllSA_lllS9_lT3_lllii
; %bb.0:
	s_load_b64 s[4:5], s[0:1], 0x4
	s_clause 0x1
	s_load_b256 s[8:15], s[2:3], 0x8
	s_load_b128 s[16:19], s[2:3], 0x58
	v_bfe_u32 v8, v0, 10, 10
	v_and_b32_e32 v2, 0x3ff, v0
	s_load_b64 s[28:29], s[2:3], 0x88
	v_bfe_u32 v0, v0, 20, 10
	s_wait_xcnt 0x0
	s_lshr_b32 s1, ttmp7, 16
	s_getreg_b32 s6, hwreg(HW_REG_IB_STS2, 6, 4)
	s_wait_kmcnt 0x0
	v_mul_u32_u24_e32 v1, s5, v8
	s_lshr_b32 s0, s4, 16
	s_bfe_u32 s4, ttmp6, 0x40008
	s_mul_i32 s0, s0, s5
	v_dual_mov_b32 v4, s8 :: v_dual_mov_b32 v5, s9
	v_mad_u32 v1, s0, v2, v1
	s_bfe_u32 s0, ttmp6, 0x40014
	v_dual_mov_b32 v6, s16 :: v_dual_mov_b32 v7, s17
	s_add_co_i32 s0, s0, 1
	s_mov_b32 s9, 0
	s_mul_i32 s0, s1, s0
	s_delay_alu instid0(SALU_CYCLE_1) | instskip(SKIP_1) | instid1(VALU_DEP_2)
	s_add_co_i32 s4, s4, s0
	s_cmp_eq_u32 s6, 0
	v_add_lshl_u32 v0, v1, v0, 3
	s_cselect_b32 s8, s1, s4
	s_delay_alu instid0(SALU_CYCLE_1) | instskip(NEXT) | instid1(VALU_DEP_1)
	s_cmp_ge_u32 s8, s29
	v_add_nc_u32_e32 v1, 0x100, v0
	ds_store_2addr_stride64_b64 v1, v[6:7], v[4:5] offset0:24 offset1:28
	s_cbranch_scc1 .LBB157_57
; %bb.1:
	s_load_b64 s[16:17], s[2:3], 0x28
	v_dual_mov_b32 v3, 0 :: v_dual_add_nc_u32 v24, 0x3900, v0
	v_lshlrev_b32_e32 v12, 3, v2
	s_clause 0x4
	s_load_b32 s7, s[2:3], 0x0
	s_load_b128 s[20:23], s[2:3], 0x38
	s_load_b64 s[40:41], s[2:3], 0x48
	s_load_b64 s[30:31], s[2:3], 0x68
	s_load_b128 s[24:27], s[2:3], 0x70
	v_add_nc_u32_e32 v25, 0x3100, v0
	v_dual_lshlrev_b32 v5, 8, v8 :: v_dual_mov_b32 v9, v3
	v_sub_co_u32 v6, s47, v2, v8
	v_lshl_add_u32 v4, v8, 5, v2
	v_mul_u32_u24_e32 v7, 0xf8, v2
	s_add_nc_u64 s[34:35], s[2:3], 0x90
	v_cmp_gt_i32_e64 s33, s28, v2
	s_wait_xcnt 0x0
	v_cmp_ne_u32_e64 s2, 0, v8
	v_lshl_add_u32 v30, v4, 3, 0x2000
	v_dual_mov_b32 v13, v3 :: v_dual_add_nc_u32 v26, 0x3000, v12
	v_cmp_eq_u32_e64 s0, 0, v8
	v_cmp_le_i32_e64 s1, s28, v2
	s_wait_kmcnt 0x0
	v_mul_u64_e32 v[0:1], s[16:17], v[8:9]
	v_dual_lshlrev_b32 v9, 3, v8 :: v_dual_add_nc_u32 v27, v12, v5
	v_sub_nc_u32_e32 v10, 0, v6
	v_add_nc_u32_e32 v15, 0x1000, v5
	v_add_nc_u32_e32 v14, 0x800, v5
	s_delay_alu instid0(VALU_DEP_4) | instskip(SKIP_1) | instid1(VALU_DEP_4)
	v_add3_u32 v28, v12, v7, v9
	v_add_nc_u32_e32 v16, 0x1800, v5
	v_dual_add_nc_u32 v33, v12, v15 :: v_dual_max_i32 v6, v6, v10
	v_mul_u64_e32 v[4:5], s[26:27], v[2:3]
	s_bitcmp1_b32 s7, 0
	v_add_nc_u32_e32 v29, 0x3000, v9
	s_delay_alu instid0(VALU_DEP_3)
	v_cmp_lt_u32_e64 s3, 16, v6
	v_cmp_lt_u32_e64 s4, 24, v6
	;; [unrolled: 1-line block ×3, first 2 shown]
	v_mul_u64_e32 v[6:7], s[40:41], v[2:3]
	s_cselect_b32 s7, -1, 0
	s_bfe_u32 s36, ttmp6, 0x4000c
	s_and_b32 s37, ttmp6, 15
	s_add_co_i32 s36, s36, 1
	s_xor_b32 s42, s7, -1
	s_mul_i32 s36, ttmp9, s36
	v_or_b32_e32 v31, 0x2000, v12
	s_add_co_i32 s37, s37, s36
	s_cmp_eq_u32 s6, 0
	s_add_nc_u64 s[6:7], s[16:17], 1
	s_cselect_b32 s43, ttmp9, s37
	s_lshl_b64 s[36:37], s[16:17], 6
	s_lshl_b32 s48, s43, 5
	s_nor_b32 s44, s2, s33
	s_ashr_i32 s49, s48, 31
	v_lshlrev_b64_e32 v[10:11], 3, v[0:1]
	s_mul_u64 s[38:39], s[6:7], s[48:49]
	s_lshr_b32 s45, s28, 3
	s_cmp_gt_u32 s28, 7
	v_dual_lshlrev_b32 v2, 3, v2 :: v_dual_add_nc_u32 v34, v12, v16
	s_cselect_b32 s46, -1, 0
	s_delay_alu instid0(VALU_DEP_2)
	v_lshl_add_u64 v[10:11], s[38:39], 3, v[10:11]
	s_and_b32 s6, s28, 7
	v_add_nc_u32_e32 v32, v12, v14
	v_cmp_gt_u32_e64 s6, s6, v8
	s_mul_u64 s[26:27], s[26:27], s[48:49]
	v_add_nc_u64_e32 v[8:9], v[10:11], v[12:13]
	v_mov_b64_e32 v[10:11], 0
	s_mul_u64 s[40:41], s[40:41], s[48:49]
	s_xor_b32 s28, s47, -1
	s_lshl_b64 s[14:15], s[14:15], 3
	s_branch .LBB157_4
.LBB157_2:                              ;   in Loop: Header=BB157_4 Depth=1
	s_wait_xcnt 0x0
	s_or_b32 exec_lo, exec_lo, s7
.LBB157_3:                              ;   in Loop: Header=BB157_4 Depth=1
	s_delay_alu instid0(SALU_CYCLE_1) | instskip(SKIP_1) | instid1(SALU_CYCLE_1)
	s_or_b32 exec_lo, exec_lo, s47
	s_add_co_i32 s8, s8, 0x10000
	s_cmp_lt_u32 s8, s29
	s_cbranch_scc0 .LBB157_57
.LBB157_4:                              ; =>This Loop Header: Depth=1
                                        ;     Child Loop BB157_40 Depth 2
	s_and_b32 vcc_lo, exec_lo, s42
	s_mov_b32 s7, -1
                                        ; implicit-def: $vgpr14_vgpr15
	s_cbranch_vccnz .LBB157_51
; %bb.5:                                ;   in Loop: Header=BB157_4 Depth=1
	s_and_not1_b32 vcc_lo, exec_lo, s7
	s_cbranch_vccz .LBB157_52
.LBB157_6:                              ;   in Loop: Header=BB157_4 Depth=1
	s_and_b32 vcc_lo, exec_lo, s42
	s_mov_b32 s7, -1
                                        ; implicit-def: $vgpr12_vgpr13
	s_cbranch_vccnz .LBB157_53
.LBB157_7:                              ;   in Loop: Header=BB157_4 Depth=1
	s_and_not1_b32 vcc_lo, exec_lo, s7
	s_cbranch_vccnz .LBB157_9
.LBB157_8:                              ;   in Loop: Header=BB157_4 Depth=1
	s_wait_loadcnt_dscnt 0x0
	s_wait_xcnt 0x0
	ds_load_b64 v[12:13], v25
.LBB157_9:                              ;   in Loop: Header=BB157_4 Depth=1
	s_wait_loadcnt_dscnt 0x0
	v_cmp_neq_f64_e32 vcc_lo, 0, v[14:15]
	v_cmp_neq_f64_e64 s7, 1.0, v[12:13]
	s_or_b32 s7, vcc_lo, s7
	s_wait_xcnt 0x0
	s_and_saveexec_b32 s47, s7
	s_cbranch_execz .LBB157_3
; %bb.10:                               ;   in Loop: Header=BB157_4 Depth=1
	v_cmp_neq_f64_e64 s7, 0, v[14:15]
	v_cmp_eq_f64_e32 vcc_lo, 0, v[14:15]
	v_mov_b64_e32 v[16:17], s[8:9]
	s_and_saveexec_b32 s48, vcc_lo
	s_delay_alu instid0(SALU_CYCLE_1)
	s_xor_b32 s48, exec_lo, s48
; %bb.11:                               ;   in Loop: Header=BB157_4 Depth=1
	v_mov_b64_e32 v[16:17], s[8:9]
; %bb.12:                               ;   in Loop: Header=BB157_4 Depth=1
	s_or_saveexec_b32 s48, s48
	v_mov_b64_e32 v[22:23], 0
	v_mov_b64_e32 v[20:21], 0
	s_xor_b32 exec_lo, exec_lo, s48
	s_cbranch_execz .LBB157_14
; %bb.13:                               ;   in Loop: Header=BB157_4 Depth=1
	s_lshl_b64 s[50:51], s[8:9], 3
	s_delay_alu instid0(SALU_CYCLE_1)
	s_add_nc_u64 s[50:51], s[12:13], s[50:51]
	global_load_b64 v[18:19], v3, s[50:51]
	s_wait_loadcnt 0x0
	v_add_nc_u64_e32 v[20:21], s[14:15], v[18:19]
.LBB157_14:                             ;   in Loop: Header=BB157_4 Depth=1
	s_wait_xcnt 0x0
	s_or_b32 exec_lo, exec_lo, s48
	s_and_saveexec_b32 s48, s7
	s_cbranch_execz .LBB157_16
; %bb.15:                               ;   in Loop: Header=BB157_4 Depth=1
	v_lshl_add_u64 v[18:19], v[16:17], 3, s[20:21]
	global_load_b64 v[18:19], v[18:19], off
	s_wait_loadcnt 0x0
	v_lshl_add_u64 v[22:23], s[22:23], 3, v[18:19]
.LBB157_16:                             ;   in Loop: Header=BB157_4 Depth=1
	s_wait_xcnt 0x0
	s_or_b32 exec_lo, exec_lo, s48
	v_lshl_add_u64 v[16:17], v[16:17], 3, s[30:31]
	global_load_b64 v[16:17], v[16:17], off
	s_wait_loadcnt 0x0
	s_wait_xcnt 0x0
	v_lshl_add_u64 v[16:17], s[24:25], 3, v[16:17]
	s_delay_alu instid0(VALU_DEP_1) | instskip(SKIP_1) | instid1(SALU_CYCLE_1)
	v_lshl_add_u64 v[16:17], s[26:27], 3, v[16:17]
	s_and_saveexec_b32 s7, vcc_lo
	s_xor_b32 s7, exec_lo, s7
	s_cbranch_execz .LBB157_23
; %bb.17:                               ;   in Loop: Header=BB157_4 Depth=1
	s_and_saveexec_b32 s48, s0
	s_cbranch_execz .LBB157_22
; %bb.18:                               ;   in Loop: Header=BB157_4 Depth=1
	s_mov_b32 s50, s33
	s_and_saveexec_b32 s49, s1
	s_cbranch_execz .LBB157_20
; %bb.19:                               ;   in Loop: Header=BB157_4 Depth=1
	s_load_b32 s50, s[34:35], 0x0
	s_wait_kmcnt 0x0
	s_add_co_i32 s50, s50, -1
	s_delay_alu instid0(SALU_CYCLE_1) | instskip(SKIP_3) | instid1(SALU_CYCLE_1)
	s_cmp_lt_u32 s43, s50
	s_cselect_b32 s50, -1, 0
	s_and_not1_b32 s51, s33, exec_lo
	s_and_b32 s50, s50, exec_lo
	s_or_b32 s50, s51, s50
.LBB157_20:                             ;   in Loop: Header=BB157_4 Depth=1
	s_or_b32 exec_lo, exec_lo, s49
	s_delay_alu instid0(SALU_CYCLE_1)
	s_and_b32 exec_lo, exec_lo, s50
	s_cbranch_execz .LBB157_22
; %bb.21:                               ;   in Loop: Header=BB157_4 Depth=1
	v_lshl_add_u64 v[14:15], v[4:5], 3, v[16:17]
	flat_load_b64 v[16:17], v[14:15]
	s_wait_loadcnt_dscnt 0x0
	v_mul_f64_e32 v[12:13], v[12:13], v[16:17]
	flat_store_b64 v[14:15], v[12:13]
.LBB157_22:                             ;   in Loop: Header=BB157_4 Depth=1
	s_wait_xcnt 0x0
	s_or_b32 exec_lo, exec_lo, s48
                                        ; implicit-def: $vgpr12_vgpr13
                                        ; implicit-def: $vgpr14_vgpr15
                                        ; implicit-def: $vgpr16_vgpr17
                                        ; implicit-def: $vgpr20_vgpr21
                                        ; implicit-def: $vgpr22_vgpr23
.LBB157_23:                             ;   in Loop: Header=BB157_4 Depth=1
	s_and_not1_saveexec_b32 s7, s7
	s_cbranch_execz .LBB157_3
; %bb.24:                               ;   in Loop: Header=BB157_4 Depth=1
	v_mov_b64_e32 v[18:19], 0
	s_and_saveexec_b32 s7, s0
	s_cbranch_execz .LBB157_32
; %bb.25:                               ;   in Loop: Header=BB157_4 Depth=1
	s_mov_b32 s49, s33
	s_and_saveexec_b32 s48, s1
	s_cbranch_execz .LBB157_27
; %bb.26:                               ;   in Loop: Header=BB157_4 Depth=1
	s_load_b32 s49, s[34:35], 0x0
	s_wait_kmcnt 0x0
	s_add_co_i32 s49, s49, -1
	s_delay_alu instid0(SALU_CYCLE_1) | instskip(SKIP_3) | instid1(SALU_CYCLE_1)
	s_cmp_lt_u32 s43, s49
	s_cselect_b32 s49, -1, 0
	s_and_not1_b32 s50, s33, exec_lo
	s_and_b32 s49, s49, exec_lo
	s_or_b32 s49, s50, s49
.LBB157_27:                             ;   in Loop: Header=BB157_4 Depth=1
	s_or_b32 exec_lo, exec_lo, s48
	v_mov_b64_e32 v[18:19], 0
	s_and_saveexec_b32 s48, s49
	s_cbranch_execz .LBB157_31
; %bb.28:                               ;   in Loop: Header=BB157_4 Depth=1
	v_lshl_add_u64 v[18:19], s[40:41], 3, v[22:23]
	s_mov_b32 s49, exec_lo
	s_delay_alu instid0(VALU_DEP_1)
	v_lshl_add_u64 v[18:19], v[6:7], 3, v[18:19]
	flat_load_b64 v[22:23], v[18:19]
	s_wait_xcnt 0x0
	v_mov_b64_e32 v[18:19], 0
	s_wait_loadcnt_dscnt 0x0
	ds_store_b64 v26, v[22:23]
	v_cmpx_neq_f64_e32 0, v[12:13]
	s_cbranch_execz .LBB157_30
; %bb.29:                               ;   in Loop: Header=BB157_4 Depth=1
	v_lshl_add_u64 v[18:19], v[4:5], 3, v[16:17]
	flat_load_b64 v[18:19], v[18:19]
	s_wait_loadcnt_dscnt 0x0
	v_mul_f64_e32 v[18:19], v[12:13], v[18:19]
.LBB157_30:                             ;   in Loop: Header=BB157_4 Depth=1
	s_or_b32 exec_lo, exec_lo, s49
.LBB157_31:                             ;   in Loop: Header=BB157_4 Depth=1
	s_delay_alu instid0(SALU_CYCLE_1)
	s_or_b32 exec_lo, exec_lo, s48
.LBB157_32:                             ;   in Loop: Header=BB157_4 Depth=1
	s_delay_alu instid0(SALU_CYCLE_1) | instskip(SKIP_3) | instid1(VALU_DEP_1)
	s_or_b32 exec_lo, exec_lo, s7
	s_load_b32 s7, s[34:35], 0x0
	v_lshl_add_u64 v[22:23], s[38:39], 3, v[20:21]
	s_mov_b32 s48, -1
	v_lshl_add_u64 v[22:23], v[0:1], 3, v[22:23]
	s_delay_alu instid0(VALU_DEP_1) | instskip(SKIP_2) | instid1(SALU_CYCLE_1)
	v_add_nc_u64_e32 v[22:23], v[22:23], v[2:3]
	s_wait_kmcnt 0x0
	s_add_co_i32 s7, s7, -1
	s_cmp_eq_u32 s43, s7
	s_cbranch_scc1 .LBB157_34
; %bb.33:                               ;   in Loop: Header=BB157_4 Depth=1
	s_delay_alu instid0(VALU_DEP_1) | instskip(SKIP_1) | instid1(VALU_DEP_1)
	v_add_nc_u64_e32 v[36:37], s[36:37], v[22:23]
	s_mov_b32 s48, 0
	v_add_nc_u64_e32 v[38:39], s[36:37], v[36:37]
	s_delay_alu instid0(VALU_DEP_1)
	v_add_nc_u64_e32 v[40:41], s[36:37], v[38:39]
	s_clause 0x3
	flat_load_b64 v[42:43], v[22:23]
	flat_load_b64 v[44:45], v[36:37]
	;; [unrolled: 1-line block ×4, first 2 shown]
	s_wait_loadcnt_dscnt 0x202
	ds_store_2addr_stride64_b64 v27, v[42:43], v[44:45] offset1:4
	s_wait_loadcnt_dscnt 0x1
	ds_store_2addr_stride64_b64 v27, v[46:47], v[48:49] offset0:8 offset1:12
.LBB157_34:                             ;   in Loop: Header=BB157_4 Depth=1
	s_and_not1_b32 vcc_lo, exec_lo, s48
	s_cbranch_vccnz .LBB157_44
; %bb.35:                               ;   in Loop: Header=BB157_4 Depth=1
	ds_store_2addr_stride64_b64 v27, v[10:11], v[10:11] offset1:4
	ds_store_2addr_stride64_b64 v27, v[10:11], v[10:11] offset0:8 offset1:12
	s_wait_xcnt 0x0
	s_and_saveexec_b32 s48, s44
; %bb.36:                               ;   in Loop: Header=BB157_4 Depth=1
	ds_store_b64 v26, v[10:11]
; %bb.37:                               ;   in Loop: Header=BB157_4 Depth=1
	s_or_b32 exec_lo, exec_lo, s48
	s_and_saveexec_b32 s48, s33
	s_cbranch_execz .LBB157_43
; %bb.38:                               ;   in Loop: Header=BB157_4 Depth=1
	s_and_not1_b32 vcc_lo, exec_lo, s46
	s_mov_b32 s49, 0
	s_cbranch_vccnz .LBB157_41
; %bb.39:                               ;   in Loop: Header=BB157_4 Depth=1
	v_add_nc_u64_e32 v[20:21], v[20:21], v[8:9]
	v_mov_b32_e32 v35, v27
	s_mov_b32 s50, s45
.LBB157_40:                             ;   Parent Loop BB157_4 Depth=1
                                        ; =>  This Inner Loop Header: Depth=2
	flat_load_b64 v[36:37], v[20:21]
	s_wait_xcnt 0x0
	v_add_nc_u64_e32 v[20:21], s[36:37], v[20:21]
	s_add_co_i32 s50, s50, -1
	s_mov_b32 s49, s45
	s_cmp_lg_u32 s50, 0
	s_wait_loadcnt_dscnt 0x0
	ds_store_b64 v35, v[36:37]
	v_add_nc_u32_e32 v35, 0x800, v35
	s_cbranch_scc1 .LBB157_40
.LBB157_41:                             ;   in Loop: Header=BB157_4 Depth=1
	s_and_b32 exec_lo, exec_lo, s6
	s_cbranch_execz .LBB157_43
; %bb.42:                               ;   in Loop: Header=BB157_4 Depth=1
	s_lshl_b32 s50, s49, 3
	s_mov_b32 s51, s9
	s_delay_alu instid0(SALU_CYCLE_1) | instskip(NEXT) | instid1(SALU_CYCLE_1)
	s_mul_u64 s[50:51], s[16:17], s[50:51]
	v_lshl_add_u64 v[20:21], s[50:51], 3, v[22:23]
	v_lshl_add_u32 v22, s49, 11, v27
	flat_load_b64 v[20:21], v[20:21]
	s_wait_loadcnt_dscnt 0x0
	ds_store_b64 v22, v[20:21]
.LBB157_43:                             ;   in Loop: Header=BB157_4 Depth=1
	s_wait_xcnt 0x0
	s_or_b32 exec_lo, exec_lo, s48
.LBB157_44:                             ;   in Loop: Header=BB157_4 Depth=1
	s_wait_storecnt_dscnt 0x0
	s_barrier_signal -1
	s_barrier_wait -1
	s_wait_xcnt 0x0
	s_and_saveexec_b32 s48, s3
	s_cbranch_execnz .LBB157_54
; %bb.45:                               ;   in Loop: Header=BB157_4 Depth=1
	s_or_b32 exec_lo, exec_lo, s48
	s_and_saveexec_b32 s48, s4
	s_cbranch_execnz .LBB157_55
.LBB157_46:                             ;   in Loop: Header=BB157_4 Depth=1
	s_or_b32 exec_lo, exec_lo, s48
	s_and_saveexec_b32 s48, s28
	s_cbranch_execnz .LBB157_56
.LBB157_47:                             ;   in Loop: Header=BB157_4 Depth=1
	s_or_b32 exec_lo, exec_lo, s48
	s_and_saveexec_b32 s48, s5
	s_cbranch_execz .LBB157_49
.LBB157_48:                             ;   in Loop: Header=BB157_4 Depth=1
	ds_load_b64 v[20:21], v28 offset:64
	s_wait_dscnt 0x0
	ds_store_b64 v32, v[20:21]
.LBB157_49:                             ;   in Loop: Header=BB157_4 Depth=1
	s_or_b32 exec_lo, exec_lo, s48
	s_wait_dscnt 0x0
	s_barrier_signal -1
	s_barrier_wait -1
	ds_load_2addr_b64 v[20:23], v29 offset1:8
	ds_load_b64 v[36:37], v27
	ds_load_b64 v[38:39], v32
	;; [unrolled: 1-line block ×4, first 2 shown]
	s_cmp_ge_u32 s43, s7
	s_cselect_b32 s7, -1, 0
	s_delay_alu instid0(SALU_CYCLE_1) | instskip(NEXT) | instid1(SALU_CYCLE_1)
	s_and_b32 s7, s1, s7
	s_nor_b32 s48, s7, s2
	s_wait_dscnt 0x3
	v_fma_f64 v[36:37], v[36:37], v[20:21], 0
	s_wait_dscnt 0x2
	s_delay_alu instid0(VALU_DEP_1) | instskip(SKIP_3) | instid1(VALU_DEP_1)
	v_fmac_f64_e32 v[36:37], v[38:39], v[22:23]
	ds_load_2addr_b64 v[20:23], v29 offset0:16 offset1:24
	s_wait_dscnt 0x0
	v_fmac_f64_e32 v[36:37], v[40:41], v[20:21]
	v_fmac_f64_e32 v[36:37], v[42:43], v[22:23]
	ds_store_b64 v30, v[36:37]
	s_wait_dscnt 0x0
	s_barrier_signal -1
	s_barrier_wait -1
	s_and_saveexec_b32 s7, s48
	s_cbranch_execz .LBB157_2
; %bb.50:                               ;   in Loop: Header=BB157_4 Depth=1
	ds_load_2addr_b64 v[20:23], v31 offset1:32
	v_cmp_neq_f64_e32 vcc_lo, 0, v[12:13]
	s_wait_dscnt 0x0
	v_add_f64_e32 v[20:21], 0, v[20:21]
	s_delay_alu instid0(VALU_DEP_1) | instskip(SKIP_3) | instid1(VALU_DEP_1)
	v_add_f64_e32 v[36:37], v[20:21], v[22:23]
	ds_load_2addr_b64 v[20:23], v31 offset0:64 offset1:96
	s_wait_dscnt 0x0
	v_add_f64_e32 v[20:21], v[36:37], v[20:21]
	v_add_f64_e32 v[36:37], v[20:21], v[22:23]
	ds_load_2addr_b64 v[20:23], v31 offset0:128 offset1:160
	s_wait_dscnt 0x0
	v_add_f64_e32 v[20:21], v[36:37], v[20:21]
	s_delay_alu instid0(VALU_DEP_1) | instskip(SKIP_3) | instid1(VALU_DEP_1)
	v_add_f64_e32 v[36:37], v[20:21], v[22:23]
	ds_load_2addr_b64 v[20:23], v31 offset0:192 offset1:224
	s_wait_dscnt 0x0
	v_add_f64_e32 v[20:21], v[36:37], v[20:21]
	v_add_f64_e32 v[20:21], v[20:21], v[22:23]
	s_delay_alu instid0(VALU_DEP_1) | instskip(SKIP_2) | instid1(VALU_DEP_2)
	v_mul_f64_e32 v[22:23], v[14:15], v[20:21]
	v_fmac_f64_e32 v[18:19], v[14:15], v[20:21]
	v_lshl_add_u64 v[14:15], v[4:5], 3, v[16:17]
	v_dual_cndmask_b32 v13, v23, v19 :: v_dual_cndmask_b32 v12, v22, v18
	flat_store_b64 v[14:15], v[12:13]
	s_branch .LBB157_2
.LBB157_51:                             ;   in Loop: Header=BB157_4 Depth=1
	ds_load_b64 v[12:13], v24
	s_mul_u64 s[48:49], s[10:11], s[8:9]
	s_wait_dscnt 0x0
	v_lshl_add_u64 v[12:13], s[48:49], 3, v[12:13]
	flat_load_b64 v[14:15], v[12:13]
	s_cbranch_execnz .LBB157_6
.LBB157_52:                             ;   in Loop: Header=BB157_4 Depth=1
	s_wait_loadcnt_dscnt 0x0
	ds_load_b64 v[14:15], v24
	s_and_b32 vcc_lo, exec_lo, s42
	s_mov_b32 s7, -1
                                        ; implicit-def: $vgpr12_vgpr13
	s_cbranch_vccz .LBB157_7
.LBB157_53:                             ;   in Loop: Header=BB157_4 Depth=1
	s_wait_xcnt 0x0
	ds_load_b64 v[12:13], v25
	s_mul_u64 s[48:49], s[18:19], s[8:9]
	s_wait_dscnt 0x0
	v_lshl_add_u64 v[12:13], s[48:49], 3, v[12:13]
	flat_load_b64 v[12:13], v[12:13]
	s_cbranch_execz .LBB157_8
	s_branch .LBB157_9
.LBB157_54:                             ;   in Loop: Header=BB157_4 Depth=1
	ds_load_b64 v[20:21], v28 offset:128
	s_wait_dscnt 0x0
	ds_store_b64 v27, v[20:21] offset:4096
	s_or_b32 exec_lo, exec_lo, s48
	s_and_saveexec_b32 s48, s4
	s_cbranch_execz .LBB157_46
.LBB157_55:                             ;   in Loop: Header=BB157_4 Depth=1
	ds_load_b64 v[20:21], v28 offset:192
	s_wait_dscnt 0x0
	ds_store_b64 v27, v[20:21] offset:6144
	s_or_b32 exec_lo, exec_lo, s48
	s_and_saveexec_b32 s48, s28
	s_cbranch_execz .LBB157_47
.LBB157_56:                             ;   in Loop: Header=BB157_4 Depth=1
	ds_load_b64 v[20:21], v28
	s_wait_dscnt 0x0
	ds_store_b64 v27, v[20:21]
	s_or_b32 exec_lo, exec_lo, s48
	s_and_saveexec_b32 s48, s5
	s_cbranch_execnz .LBB157_48
	s_branch .LBB157_49
.LBB157_57:
	s_endpgm
	.section	.rodata,"a",@progbits
	.p2align	6, 0x0
	.amdhsa_kernel _ZL58rocblas_symv_kernel_upper_double_buffered_diagonal_genericILi32ELi8E24rocblas_internal_val_ptrIdEPKPKdPKPdEvbiT1_lT2_lllSA_lllS9_lT3_lllii
		.amdhsa_group_segment_fixed_size 16640
		.amdhsa_private_segment_fixed_size 0
		.amdhsa_kernarg_size 400
		.amdhsa_user_sgpr_count 4
		.amdhsa_user_sgpr_dispatch_ptr 1
		.amdhsa_user_sgpr_queue_ptr 0
		.amdhsa_user_sgpr_kernarg_segment_ptr 1
		.amdhsa_user_sgpr_dispatch_id 0
		.amdhsa_user_sgpr_kernarg_preload_length 0
		.amdhsa_user_sgpr_kernarg_preload_offset 0
		.amdhsa_user_sgpr_private_segment_size 0
		.amdhsa_wavefront_size32 1
		.amdhsa_uses_dynamic_stack 0
		.amdhsa_enable_private_segment 0
		.amdhsa_system_sgpr_workgroup_id_x 1
		.amdhsa_system_sgpr_workgroup_id_y 0
		.amdhsa_system_sgpr_workgroup_id_z 1
		.amdhsa_system_sgpr_workgroup_info 0
		.amdhsa_system_vgpr_workitem_id 2
		.amdhsa_next_free_vgpr 50
		.amdhsa_next_free_sgpr 52
		.amdhsa_named_barrier_count 0
		.amdhsa_reserve_vcc 1
		.amdhsa_float_round_mode_32 0
		.amdhsa_float_round_mode_16_64 0
		.amdhsa_float_denorm_mode_32 3
		.amdhsa_float_denorm_mode_16_64 3
		.amdhsa_fp16_overflow 0
		.amdhsa_memory_ordered 1
		.amdhsa_forward_progress 1
		.amdhsa_inst_pref_size 18
		.amdhsa_round_robin_scheduling 0
		.amdhsa_exception_fp_ieee_invalid_op 0
		.amdhsa_exception_fp_denorm_src 0
		.amdhsa_exception_fp_ieee_div_zero 0
		.amdhsa_exception_fp_ieee_overflow 0
		.amdhsa_exception_fp_ieee_underflow 0
		.amdhsa_exception_fp_ieee_inexact 0
		.amdhsa_exception_int_div_zero 0
	.end_amdhsa_kernel
	.section	.text._ZL58rocblas_symv_kernel_upper_double_buffered_diagonal_genericILi32ELi8E24rocblas_internal_val_ptrIdEPKPKdPKPdEvbiT1_lT2_lllSA_lllS9_lT3_lllii,"axG",@progbits,_ZL58rocblas_symv_kernel_upper_double_buffered_diagonal_genericILi32ELi8E24rocblas_internal_val_ptrIdEPKPKdPKPdEvbiT1_lT2_lllSA_lllS9_lT3_lllii,comdat
.Lfunc_end157:
	.size	_ZL58rocblas_symv_kernel_upper_double_buffered_diagonal_genericILi32ELi8E24rocblas_internal_val_ptrIdEPKPKdPKPdEvbiT1_lT2_lllSA_lllS9_lT3_lllii, .Lfunc_end157-_ZL58rocblas_symv_kernel_upper_double_buffered_diagonal_genericILi32ELi8E24rocblas_internal_val_ptrIdEPKPKdPKPdEvbiT1_lT2_lllSA_lllS9_lT3_lllii
                                        ; -- End function
	.set _ZL58rocblas_symv_kernel_upper_double_buffered_diagonal_genericILi32ELi8E24rocblas_internal_val_ptrIdEPKPKdPKPdEvbiT1_lT2_lllSA_lllS9_lT3_lllii.num_vgpr, 50
	.set _ZL58rocblas_symv_kernel_upper_double_buffered_diagonal_genericILi32ELi8E24rocblas_internal_val_ptrIdEPKPKdPKPdEvbiT1_lT2_lllSA_lllS9_lT3_lllii.num_agpr, 0
	.set _ZL58rocblas_symv_kernel_upper_double_buffered_diagonal_genericILi32ELi8E24rocblas_internal_val_ptrIdEPKPKdPKPdEvbiT1_lT2_lllSA_lllS9_lT3_lllii.numbered_sgpr, 52
	.set _ZL58rocblas_symv_kernel_upper_double_buffered_diagonal_genericILi32ELi8E24rocblas_internal_val_ptrIdEPKPKdPKPdEvbiT1_lT2_lllSA_lllS9_lT3_lllii.num_named_barrier, 0
	.set _ZL58rocblas_symv_kernel_upper_double_buffered_diagonal_genericILi32ELi8E24rocblas_internal_val_ptrIdEPKPKdPKPdEvbiT1_lT2_lllSA_lllS9_lT3_lllii.private_seg_size, 0
	.set _ZL58rocblas_symv_kernel_upper_double_buffered_diagonal_genericILi32ELi8E24rocblas_internal_val_ptrIdEPKPKdPKPdEvbiT1_lT2_lllSA_lllS9_lT3_lllii.uses_vcc, 1
	.set _ZL58rocblas_symv_kernel_upper_double_buffered_diagonal_genericILi32ELi8E24rocblas_internal_val_ptrIdEPKPKdPKPdEvbiT1_lT2_lllSA_lllS9_lT3_lllii.uses_flat_scratch, 1
	.set _ZL58rocblas_symv_kernel_upper_double_buffered_diagonal_genericILi32ELi8E24rocblas_internal_val_ptrIdEPKPKdPKPdEvbiT1_lT2_lllSA_lllS9_lT3_lllii.has_dyn_sized_stack, 0
	.set _ZL58rocblas_symv_kernel_upper_double_buffered_diagonal_genericILi32ELi8E24rocblas_internal_val_ptrIdEPKPKdPKPdEvbiT1_lT2_lllSA_lllS9_lT3_lllii.has_recursion, 0
	.set _ZL58rocblas_symv_kernel_upper_double_buffered_diagonal_genericILi32ELi8E24rocblas_internal_val_ptrIdEPKPKdPKPdEvbiT1_lT2_lllSA_lllS9_lT3_lllii.has_indirect_call, 0
	.section	.AMDGPU.csdata,"",@progbits
; Kernel info:
; codeLenInByte = 2228
; TotalNumSgprs: 54
; NumVgprs: 50
; ScratchSize: 0
; MemoryBound: 0
; FloatMode: 240
; IeeeMode: 1
; LDSByteSize: 16640 bytes/workgroup (compile time only)
; SGPRBlocks: 0
; VGPRBlocks: 3
; NumSGPRsForWavesPerEU: 54
; NumVGPRsForWavesPerEU: 50
; NamedBarCnt: 0
; Occupancy: 16
; WaveLimiterHint : 1
; COMPUTE_PGM_RSRC2:SCRATCH_EN: 0
; COMPUTE_PGM_RSRC2:USER_SGPR: 4
; COMPUTE_PGM_RSRC2:TRAP_HANDLER: 0
; COMPUTE_PGM_RSRC2:TGID_X_EN: 1
; COMPUTE_PGM_RSRC2:TGID_Y_EN: 0
; COMPUTE_PGM_RSRC2:TGID_Z_EN: 1
; COMPUTE_PGM_RSRC2:TIDIG_COMP_CNT: 2
	.section	.text._ZL62rocblas_symv_kernel_upper_double_buffered_non_diagonal_genericILi32ELi8ELi2ELi0E24rocblas_internal_val_ptrIdEPKPKdPKPdEvbiT3_lT4_lllSA_lllT5_lllii,"axG",@progbits,_ZL62rocblas_symv_kernel_upper_double_buffered_non_diagonal_genericILi32ELi8ELi2ELi0E24rocblas_internal_val_ptrIdEPKPKdPKPdEvbiT3_lT4_lllSA_lllT5_lllii,comdat
	.globl	_ZL62rocblas_symv_kernel_upper_double_buffered_non_diagonal_genericILi32ELi8ELi2ELi0E24rocblas_internal_val_ptrIdEPKPKdPKPdEvbiT3_lT4_lllSA_lllT5_lllii ; -- Begin function _ZL62rocblas_symv_kernel_upper_double_buffered_non_diagonal_genericILi32ELi8ELi2ELi0E24rocblas_internal_val_ptrIdEPKPKdPKPdEvbiT3_lT4_lllSA_lllT5_lllii
	.p2align	8
	.type	_ZL62rocblas_symv_kernel_upper_double_buffered_non_diagonal_genericILi32ELi8ELi2ELi0E24rocblas_internal_val_ptrIdEPKPKdPKPdEvbiT3_lT4_lllSA_lllT5_lllii,@function
_ZL62rocblas_symv_kernel_upper_double_buffered_non_diagonal_genericILi32ELi8ELi2ELi0E24rocblas_internal_val_ptrIdEPKPKdPKPdEvbiT3_lT4_lllSA_lllT5_lllii: ; @_ZL62rocblas_symv_kernel_upper_double_buffered_non_diagonal_genericILi32ELi8ELi2ELi0E24rocblas_internal_val_ptrIdEPKPKdPKPdEvbiT3_lT4_lllSA_lllT5_lllii
; %bb.0:
	s_load_b64 s[12:13], s[0:1], 0x4
	s_load_b256 s[4:11], s[2:3], 0x8
	v_bfe_u32 v1, v0, 10, 10
	s_load_b64 s[20:21], s[2:3], 0x78
	v_and_b32_e32 v2, 0x3ff, v0
	s_wait_xcnt 0x0
	s_lshr_b32 s1, ttmp7, 16
	v_bfe_u32 v0, v0, 20, 10
	s_mov_b32 s23, 0
	s_wait_kmcnt 0x0
	v_mul_u32_u24_e32 v3, s13, v1
	s_lshr_b32 s0, s12, 16
	v_dual_mov_b32 v4, s4 :: v_dual_mov_b32 v5, s5
	s_mul_i32 s0, s0, s13
	s_bfe_u32 s5, ttmp6, 0x40008
	v_mad_u32 v3, s0, v2, v3
	s_bfe_u32 s0, ttmp6, 0x40014
	s_delay_alu instid0(SALU_CYCLE_1) | instskip(NEXT) | instid1(SALU_CYCLE_1)
	s_add_co_i32 s0, s0, 1
	s_mul_i32 s4, s1, s0
	s_getreg_b32 s0, hwreg(HW_REG_IB_STS2, 6, 4)
	s_add_co_i32 s5, s5, s4
	s_cmp_eq_u32 s0, 0
	s_cselect_b32 s4, s1, s5
	s_delay_alu instid0(VALU_DEP_1)
	v_add_lshl_u32 v0, v3, v0, 3
	s_cmp_ge_u32 s4, s21
	ds_store_b64 v0, v[4:5] offset:8448
	s_cbranch_scc1 .LBB158_44
; %bb.1:
	s_clause 0x1
	s_load_b32 s1, s[2:3], 0x0
	s_load_b64 s[24:25], s[2:3], 0x28
	v_lshl_add_u32 v8, v1, 5, v2
	v_add_nc_u32_e32 v68, 0x2100, v0
	v_dual_mov_b32 v0, 0 :: v_dual_bitop2_b32 v4, 15, v2 bitop3:0x40
	s_clause 0x1
	s_load_b128 s[12:15], s[2:3], 0x38
	s_load_b64 s[26:27], s[2:3], 0x48
	v_lshrrev_b32_e32 v9, 4, v8
	s_clause 0x1
	s_load_b64 s[28:29], s[2:3], 0x58
	s_load_b128 s[16:19], s[2:3], 0x60
	v_lshl_add_u32 v10, v2, 7, 0x1000
	v_dual_mov_b32 v5, v0 :: v_dual_mov_b32 v3, v0
	v_dual_lshlrev_b32 v14, 3, v4 :: v_dual_lshlrev_b32 v6, 1, v9
	v_dual_lshlrev_b32 v69, 3, v2 :: v_dual_lshlrev_b32 v70, 8, v9
	v_and_b32_e32 v8, 0xfff0, v8
	s_delay_alu instid0(VALU_DEP_3)
	v_dual_mov_b32 v15, v0 :: v_dual_bitop2_b32 v75, v10, v14 bitop3:0x54
	v_mov_b64_e32 v[34:35], 0
	s_wait_kmcnt 0x0
	s_bitcmp1_b32 s1, 0
	v_mad_nc_u64_u32 v[16:17], s24, v6, v[4:5]
	s_cselect_b32 s1, -1, 0
	s_bfe_u32 s22, ttmp6, 0x4000c
	s_bfe_u32 s30, ttmp6, 0x40010
	s_and_b32 s31, ttmp7, 0xffff
	s_add_co_i32 s22, s22, 1
	s_add_co_i32 s30, s30, 1
	s_and_b32 s5, ttmp6, 15
	s_bfe_u32 s34, ttmp6, 0x40004
	s_xor_b32 s33, s1, -1
	s_mul_i32 s1, ttmp9, s22
	s_mul_i32 s22, s31, s30
	s_add_co_i32 s5, s5, s1
	s_add_co_i32 s34, s34, s22
	s_cmp_eq_u32 s0, 0
	v_mad_u32 v17, s25, v6, v17
	s_cselect_b32 s30, ttmp9, s5
	s_cselect_b32 s54, s31, s34
	s_lshl_b32 s38, s30, 5
	s_lshl_b32 s55, s54, 5
	s_ashr_i32 s39, s38, 31
	s_cmp_lg_u32 s30, 0
	v_dual_mov_b32 v7, v0 :: v_dual_bitop2_b32 v6, 16, v4 bitop3:0x54
	s_cselect_b32 s56, -1, 0
	s_lshr_b32 s0, s20, 31
	v_mul_u64_e32 v[20:21], s[26:27], v[4:5]
	s_add_co_i32 s0, s20, s0
	v_add_nc_u32_e32 v4, 2, v2
	s_ashr_i32 s5, s0, 1
	v_cmp_eq_u32_e64 s0, 0, v1
	v_or_b32_e32 v1, 0x1000, v14
	v_or_b32_e32 v72, v14, v70
	v_mul_u64_e32 v[18:19], s[26:27], v[2:3]
	v_mul_u64_e32 v[22:23], s[26:27], v[6:7]
	;; [unrolled: 1-line block ×3, first 2 shown]
	v_add_nc_u32_e32 v73, v1, v70
	v_dual_add_nc_u32 v1, 1, v2 :: v_dual_add_nc_u32 v3, 3, v2
	v_dual_add_nc_u32 v5, 5, v2 :: v_dual_add_nc_u32 v6, 6, v2
	v_cmp_gt_i32_e64 s1, s20, v2
	s_delay_alu instid0(VALU_DEP_3) | instskip(SKIP_3) | instid1(VALU_DEP_4)
	v_and_b32_e32 v1, 15, v1
	v_cmp_gt_i32_e64 s20, s5, v9
	v_dual_mov_b32 v9, v0 :: v_dual_add_nc_u32 v74, 0x2000, v8
	v_mov_b32_e32 v31, v0
	v_lshl_or_b32 v76, v1, 3, v10
	v_dual_add_nc_u32 v4, 4, v2 :: v_dual_bitop2_b32 v1, 15, v4 bitop3:0x40
	v_dual_mov_b32 v33, v0 :: v_dual_add_nc_u32 v7, 12, v2
	s_lshl_b64 s[10:11], s[10:11], 3
	s_delay_alu instid0(VALU_DEP_2)
	v_lshl_or_b32 v77, v1, 3, v10
	v_and_b32_e32 v1, 15, v3
	v_and_b32_e32 v3, 15, v4
	;; [unrolled: 1-line block ×4, first 2 shown]
	v_add_nc_u32_e32 v6, 7, v2
	v_lshl_or_b32 v78, v1, 3, v10
	v_add_nc_u32_e32 v13, 14, v2
	v_or_b32_e32 v71, 0x2000, v69
	v_lshl_or_b32 v81, v5, 3, v10
	v_and_b32_e32 v1, 15, v6
	v_add_nc_u32_e32 v5, 10, v2
	v_lshl_or_b32 v80, v4, 3, v10
	v_add_nc_u32_e32 v4, 9, v2
	v_lshl_or_b32 v79, v3, 3, v10
	v_bitop3_b32 v3, v2, 8, 15 bitop3:0x6c
	v_lshl_or_b32 v82, v1, 3, v10
	s_delay_alu instid0(VALU_DEP_4) | instskip(SKIP_1) | instid1(VALU_DEP_4)
	v_dual_add_nc_u32 v6, 11, v2 :: v_dual_bitop2_b32 v1, 15, v4 bitop3:0x40
	v_or_b32_e32 v30, 0x100, v14
	v_lshl_or_b32 v83, v3, 3, v10
	v_and_b32_e32 v3, 15, v5
	v_lshl_add_u64 v[4:5], s[38:39], 3, v[8:9]
	v_lshl_or_b32 v84, v1, 3, v10
	v_dual_add_nc_u32 v9, 13, v2 :: v_dual_bitop2_b32 v8, 15, v7 bitop3:0x40
	s_delay_alu instid0(VALU_DEP_4) | instskip(NEXT) | instid1(VALU_DEP_4)
	v_lshl_or_b32 v85, v3, 3, v10
	v_or_b32_e32 v1, 8, v4
	v_and_b32_e32 v3, 15, v6
	v_mul_lo_u32 v12, s25, v4
	v_dual_add_nc_u32 v2, -1, v2 :: v_dual_bitop2_b32 v9, 15, v9 bitop3:0x40
	s_delay_alu instid0(VALU_DEP_4)
	v_mul_lo_u32 v11, s25, v1
	v_mad_nc_u64_u32 v[6:7], s24, v1, s[10:11]
	v_mul_lo_u32 v1, s24, v5
	v_mad_nc_u64_u32 v[4:5], s24, v4, s[10:11]
	v_lshl_or_b32 v86, v3, 3, v10
	v_and_b32_e32 v3, 15, v13
	v_and_b32_e32 v2, 15, v2
	v_lshl_or_b32 v87, v8, 3, v10
	v_lshl_or_b32 v88, v9, 3, v10
	v_or_b32_e32 v32, 0x80, v14
	v_lshl_or_b32 v89, v3, 3, v10
	v_lshl_or_b32 v90, v2, 3, v10
	s_mul_u64 s[42:43], s[24:25], s[38:39]
	v_add3_u32 v7, v11, v7, v1
	v_add3_u32 v5, v12, v5, v1
	s_mul_u64 s[40:41], s[26:27], s[38:39]
	s_mul_u64 s[44:45], s[18:19], s[38:39]
	s_add_nc_u64 s[2:3], s[2:3], 0x80
	v_add_nc_u64_e32 v[26:27], v[6:7], v[14:15]
	v_add_nc_u64_e32 v[28:29], v[4:5], v[14:15]
	s_lshl_b64 s[34:35], s[26:27], 8
	s_lshl_b64 s[36:37], s[18:19], 8
	s_mov_b32 s31, s23
	s_lshl_b64 s[38:39], s[26:27], 3
	s_lshl_b64 s[14:15], s[14:15], 3
	;; [unrolled: 1-line block ×6, first 2 shown]
	s_branch .LBB158_3
.LBB158_2:                              ;   in Loop: Header=BB158_3 Depth=1
	s_wait_xcnt 0x0
	s_or_b32 exec_lo, exec_lo, s5
	s_add_co_i32 s4, s4, 0x10000
	s_delay_alu instid0(SALU_CYCLE_1)
	s_cmp_lt_u32 s4, s21
	s_cbranch_scc0 .LBB158_44
.LBB158_3:                              ; =>This Loop Header: Depth=1
                                        ;     Child Loop BB158_27 Depth 2
	s_and_b32 vcc_lo, exec_lo, s33
	s_mov_b32 s5, -1
                                        ; implicit-def: $vgpr36_vgpr37
	s_cbranch_vccz .LBB158_5
; %bb.4:                                ;   in Loop: Header=BB158_3 Depth=1
	s_wait_loadcnt 0x0
	ds_load_b64 v[2:3], v68
	s_mov_b32 s5, s23
	s_delay_alu instid0(SALU_CYCLE_1)
	s_mul_u64 s[46:47], s[6:7], s[4:5]
	s_mov_b32 s5, 0
	s_wait_dscnt 0x0
	v_lshl_add_u64 v[2:3], s[46:47], 3, v[2:3]
	flat_load_b64 v[36:37], v[2:3]
.LBB158_5:                              ;   in Loop: Header=BB158_3 Depth=1
	s_and_not1_b32 vcc_lo, exec_lo, s5
	s_cbranch_vccnz .LBB158_7
; %bb.6:                                ;   in Loop: Header=BB158_3 Depth=1
	s_wait_loadcnt_dscnt 0x0
	ds_load_b64 v[36:37], v68
.LBB158_7:                              ;   in Loop: Header=BB158_3 Depth=1
	s_mov_b32 s5, exec_lo
	s_wait_loadcnt_dscnt 0x0
	s_wait_xcnt 0x0
	v_cmpx_neq_f64_e32 0, v[36:37]
	s_cbranch_execz .LBB158_2
; %bb.8:                                ;   in Loop: Header=BB158_3 Depth=1
	s_and_not1_b32 vcc_lo, exec_lo, s56
	s_cbranch_vccnz .LBB158_2
; %bb.9:                                ;   in Loop: Header=BB158_3 Depth=1
	v_mov_b32_e32 v1, s4
	s_clause 0x1
	global_load_b64 v[4:5], v1, s[8:9] scale_offset
	global_load_b64 v[2:3], v1, s[12:13] scale_offset
	s_load_b32 s46, s[2:3], 0x4
	s_wait_kmcnt 0x0
	s_cvt_f32_u32 s22, s46
	s_sub_co_i32 s47, 0, s46
	s_delay_alu instid0(SALU_CYCLE_2) | instskip(SKIP_1) | instid1(TRANS32_DEP_1)
	v_rcp_iflag_f32_e32 v1, s22
	v_nop
	v_readfirstlane_b32 s22, v1
	s_mul_f32 s22, s22, 0x4f7ffffe
	s_delay_alu instid0(SALU_CYCLE_3) | instskip(NEXT) | instid1(SALU_CYCLE_3)
	s_cvt_u32_f32 s22, s22
	s_mul_i32 s47, s47, s22
	s_delay_alu instid0(SALU_CYCLE_1) | instskip(NEXT) | instid1(SALU_CYCLE_1)
	s_mul_hi_u32 s47, s22, s47
	s_add_co_i32 s22, s22, s47
	s_delay_alu instid0(SALU_CYCLE_1) | instskip(NEXT) | instid1(SALU_CYCLE_1)
	s_mul_u64 s[48:49], s[30:31], s[22:23]
	s_mul_i32 s22, s49, s46
	s_add_co_i32 s47, s49, 1
	s_sub_co_i32 s22, s30, s22
	s_delay_alu instid0(SALU_CYCLE_1)
	s_sub_co_i32 s48, s22, s46
	s_cmp_ge_u32 s22, s46
	s_cselect_b32 s47, s47, s49
	s_cselect_b32 s22, s48, s22
	s_add_co_i32 s48, s47, 1
	s_cmp_ge_u32 s22, s46
	s_cselect_b32 s48, s48, s47
	s_add_co_i32 s22, s46, -1
	s_mov_b32 s58, s48
	s_cmp_lg_u32 s54, s22
	s_cbranch_scc1 .LBB158_11
; %bb.10:                               ;   in Loop: Header=BB158_3 Depth=1
	s_mul_i32 s22, s48, s46
	s_delay_alu instid0(SALU_CYCLE_1) | instskip(NEXT) | instid1(SALU_CYCLE_1)
	s_sub_co_i32 s22, s30, s22
	s_add_co_i32 s58, s22, s48
.LBB158_11:                             ;   in Loop: Header=BB158_3 Depth=1
	s_delay_alu instid0(SALU_CYCLE_1)
	s_cmp_eq_u32 s58, 0
	s_cbranch_scc1 .LBB158_2
; %bb.12:                               ;   in Loop: Header=BB158_3 Depth=1
	s_load_b32 s22, s[2:3], 0x0
	s_load_b64 s[46:47], s[28:29], s4 offset:0x0 scale_offset
	s_wait_loadcnt 0x0
	v_add_nc_u64_e32 v[38:39], s[14:15], v[2:3]
	s_mov_b32 s57, -1
	s_mov_b32 s49, -1
	s_delay_alu instid0(VALU_DEP_1) | instskip(SKIP_2) | instid1(SALU_CYCLE_1)
	v_add_nc_u64_e32 v[2:3], s[40:41], v[38:39]
	s_wait_kmcnt 0x0
	s_add_co_i32 s22, s22, -1
	s_cmp_lg_u32 s30, s22
	s_cbranch_scc0 .LBB158_16
; %bb.13:                               ;   in Loop: Header=BB158_3 Depth=1
	s_and_saveexec_b32 s49, s0
	s_cbranch_execz .LBB158_15
; %bb.14:                               ;   in Loop: Header=BB158_3 Depth=1
	v_lshl_add_u64 v[6:7], v[18:19], 3, v[2:3]
	flat_load_b64 v[6:7], v[6:7]
	s_wait_loadcnt_dscnt 0x0
	ds_store_b64 v71, v[6:7]
.LBB158_15:                             ;   in Loop: Header=BB158_3 Depth=1
	s_wait_xcnt 0x0
	s_or_b32 exec_lo, exec_lo, s49
	s_mov_b32 s49, 0
.LBB158_16:                             ;   in Loop: Header=BB158_3 Depth=1
	s_delay_alu instid0(SALU_CYCLE_1)
	s_and_not1_b32 vcc_lo, exec_lo, s49
	s_cbranch_vccnz .LBB158_22
; %bb.17:                               ;   in Loop: Header=BB158_3 Depth=1
	s_and_saveexec_b32 s49, s0
	s_cbranch_execz .LBB158_21
; %bb.18:                               ;   in Loop: Header=BB158_3 Depth=1
	v_mov_b64_e32 v[6:7], 0
	s_and_saveexec_b32 s50, s1
	s_cbranch_execz .LBB158_20
; %bb.19:                               ;   in Loop: Header=BB158_3 Depth=1
	v_lshl_add_u64 v[2:3], v[18:19], 3, v[2:3]
	flat_load_b64 v[6:7], v[2:3]
.LBB158_20:                             ;   in Loop: Header=BB158_3 Depth=1
	s_wait_xcnt 0x0
	s_or_b32 exec_lo, exec_lo, s50
	s_wait_loadcnt_dscnt 0x0
	ds_store_b64 v71, v[6:7]
.LBB158_21:                             ;   in Loop: Header=BB158_3 Depth=1
	s_or_b32 exec_lo, exec_lo, s49
	s_mov_b32 s57, s20
	ds_store_2addr_b64 v72, v[34:35], v[34:35] offset1:16
	ds_store_2addr_b64 v73, v[34:35], v[34:35] offset1:16
.LBB158_22:                             ;   in Loop: Header=BB158_3 Depth=1
	v_add_nc_u64_e32 v[2:3], s[10:11], v[4:5]
	s_mul_i32 s50, s55, s48
	v_mov_b32_e32 v1, v0
	s_ashr_i32 s51, s50, 31
	s_wait_dscnt 0x0
	s_lshl_b64 s[48:49], s[50:51], 3
	s_barrier_signal -1
	v_add_nc_u64_e32 v[50:51], s[42:43], v[2:3]
	v_dual_mov_b32 v2, v0 :: v_dual_mov_b32 v3, v0
	s_barrier_wait -1
	s_delay_alu instid0(VALU_DEP_1) | instskip(NEXT) | instid1(VALU_DEP_3)
	v_mov_b64_e32 v[8:9], v[2:3]
	v_add_nc_u64_e32 v[10:11], s[48:49], v[50:51]
	v_mov_b64_e32 v[6:7], v[0:1]
	s_and_saveexec_b32 s52, s57
	s_cbranch_execz .LBB158_24
; %bb.23:                               ;   in Loop: Header=BB158_3 Depth=1
	s_delay_alu instid0(VALU_DEP_2) | instskip(NEXT) | instid1(VALU_DEP_1)
	v_lshl_add_u64 v[2:3], v[16:17], 3, v[10:11]
	v_lshl_add_u64 v[8:9], s[24:25], 3, v[2:3]
	s_clause 0x1
	flat_load_b64 v[6:7], v[2:3]
	flat_load_b64 v[8:9], v[8:9]
.LBB158_24:                             ;   in Loop: Header=BB158_3 Depth=1
	s_wait_xcnt 0x0
	s_or_b32 exec_lo, exec_lo, s52
	s_cmp_lt_i32 s58, 1
	s_add_nc_u64 s[46:47], s[46:47], s[16:17]
	s_cbranch_scc1 .LBB158_35
; %bb.25:                               ;   in Loop: Header=BB158_3 Depth=1
	s_mul_u64 s[52:53], s[26:27], s[50:51]
	v_mov_b64_e32 v[44:45], 0
	s_lshl_b64 s[52:53], s[52:53], 3
	s_delay_alu instid0(SALU_CYCLE_1) | instskip(SKIP_1) | instid1(SALU_CYCLE_1)
	v_add_nc_u64_e32 v[12:13], s[52:53], v[38:39]
	s_mul_u64 s[52:53], s[18:19], s[50:51]
	s_lshl_b64 s[52:53], s[52:53], 3
	s_cmp_eq_u32 s58, 1
	s_add_nc_u64 s[52:53], s[46:47], s[52:53]
	s_delay_alu instid0(VALU_DEP_1)
	v_lshl_add_u64 v[2:3], v[20:21], 3, v[12:13]
	flat_load_b64 v[54:55], v[2:3]
	s_cbranch_scc1 .LBB158_36
; %bb.26:                               ;   in Loop: Header=BB158_3 Depth=1
	s_wait_xcnt 0x0
	v_add_nc_u64_e32 v[2:3], s[48:49], v[30:31]
	v_add_nc_u64_e32 v[10:11], s[48:49], v[32:33]
	;; [unrolled: 1-line block ×4, first 2 shown]
	v_mov_b64_e32 v[40:41], 0
	v_mov_b64_e32 v[42:43], 0
	;; [unrolled: 1-line block ×3, first 2 shown]
	v_mul_u64_e32 v[56:57], s[26:27], v[2:3]
	v_mul_u64_e32 v[58:59], s[26:27], v[10:11]
	v_mov_b64_e32 v[44:45], 0
	v_mov_b64_e32 v[48:49], s[52:53]
	s_add_co_i32 s52, s58, -1
	s_mul_u64 s[50:51], s[38:39], s[50:51]
.LBB158_27:                             ;   Parent Loop BB158_3 Depth=1
                                        ; =>  This Inner Loop Header: Depth=2
	s_delay_alu instid0(VALU_DEP_3)
	v_add_nc_u64_e32 v[2:3], v[38:39], v[58:59]
	v_add_nc_u64_e32 v[52:53], s[48:49], v[62:63]
	;; [unrolled: 1-line block ×3, first 2 shown]
	flat_load_b64 v[64:65], v[2:3]
	s_wait_xcnt 0x0
	s_and_saveexec_b32 s53, s57
	s_cbranch_execz .LBB158_29
; %bb.28:                               ;   in Loop: Header=BB158_27 Depth=2
	flat_load_b64 v[46:47], v[52:53] offset:128
	flat_load_b64 v[44:45], v[66:67] offset:128
.LBB158_29:                             ;   in Loop: Header=BB158_27 Depth=2
	s_wait_xcnt 0x0
	s_or_b32 exec_lo, exec_lo, s53
	ds_load_b128 v[10:13], v74
	s_wait_loadcnt_dscnt 0x203
	v_mov_b64_e32 v[2:3], v[6:7]
	v_mov_b64_e32 v[4:5], v[8:9]
	s_and_saveexec_b32 s53, s57
	s_cbranch_execz .LBB158_31
; %bb.30:                               ;   in Loop: Header=BB158_27 Depth=2
	flat_load_b64 v[2:3], v[52:53] offset:256
	flat_load_b64 v[4:5], v[66:67] offset:256
.LBB158_31:                             ;   in Loop: Header=BB158_27 Depth=2
	s_wait_xcnt 0x0
	s_or_b32 exec_lo, exec_lo, s53
	v_add_nc_u64_e32 v[52:53], v[38:39], v[56:57]
	s_wait_dscnt 0x0
	v_fma_f64 v[66:67], v[6:7], v[10:11], 0
	s_wait_loadcnt 0x1
	v_fma_f64 v[10:11], v[46:47], v[10:11], 0
	v_add_nc_u32_e32 v1, v14, v70
	flat_load_b64 v[52:53], v[52:53]
	s_wait_loadcnt_dscnt 0x0
	s_barrier_signal -1
	s_barrier_wait -1
	v_fmac_f64_e32 v[66:67], v[8:9], v[12:13]
	v_fmac_f64_e32 v[10:11], v[44:45], v[12:13]
	ds_store_2addr_b64 v1, v[66:67], v[10:11] offset1:16
	s_wait_dscnt 0x0
	s_barrier_signal -1
	s_barrier_wait -1
	s_wait_xcnt 0x0
	s_and_saveexec_b32 s53, s0
	s_cbranch_execz .LBB158_33
; %bb.32:                               ;   in Loop: Header=BB158_27 Depth=2
	ds_load_2addr_b64 v[10:13], v69 offset1:32
	v_add_nc_u32_e32 v1, 0x800, v69
	s_wait_dscnt 0x0
	v_add_f64_e32 v[10:11], 0, v[10:11]
	s_delay_alu instid0(VALU_DEP_1) | instskip(SKIP_3) | instid1(VALU_DEP_1)
	v_add_f64_e32 v[66:67], v[10:11], v[12:13]
	ds_load_2addr_b64 v[10:13], v69 offset0:64 offset1:96
	s_wait_dscnt 0x0
	v_add_f64_e32 v[10:11], v[66:67], v[10:11]
	v_add_f64_e32 v[66:67], v[10:11], v[12:13]
	ds_load_2addr_b64 v[10:13], v69 offset0:128 offset1:160
	s_wait_dscnt 0x0
	v_add_f64_e32 v[10:11], v[66:67], v[10:11]
	s_delay_alu instid0(VALU_DEP_1) | instskip(SKIP_3) | instid1(VALU_DEP_1)
	v_add_f64_e32 v[66:67], v[10:11], v[12:13]
	ds_load_2addr_b64 v[10:13], v69 offset0:192 offset1:224
	s_wait_dscnt 0x0
	v_add_f64_e32 v[10:11], v[66:67], v[10:11]
	v_add_f64_e32 v[66:67], v[10:11], v[12:13]
	ds_load_2addr_b64 v[10:13], v1 offset1:32
	s_wait_dscnt 0x0
	v_add_f64_e32 v[10:11], v[66:67], v[10:11]
	s_delay_alu instid0(VALU_DEP_1) | instskip(SKIP_3) | instid1(VALU_DEP_1)
	v_add_f64_e32 v[66:67], v[10:11], v[12:13]
	ds_load_2addr_b64 v[10:13], v1 offset0:64 offset1:96
	s_wait_dscnt 0x0
	v_add_f64_e32 v[10:11], v[66:67], v[10:11]
	v_add_f64_e32 v[66:67], v[10:11], v[12:13]
	ds_load_2addr_b64 v[10:13], v1 offset0:128 offset1:160
	s_wait_dscnt 0x0
	v_add_f64_e32 v[10:11], v[66:67], v[10:11]
	s_delay_alu instid0(VALU_DEP_1) | instskip(SKIP_3) | instid1(VALU_DEP_1)
	v_add_f64_e32 v[66:67], v[10:11], v[12:13]
	ds_load_2addr_b64 v[10:13], v1 offset0:192 offset1:224
	s_wait_dscnt 0x0
	v_add_f64_e32 v[10:11], v[66:67], v[10:11]
	v_add_f64_e32 v[10:11], v[10:11], v[12:13]
	v_lshl_add_u64 v[12:13], v[24:25], 3, v[48:49]
	v_add_nc_u64_e32 v[48:49], s[36:37], v[48:49]
	s_delay_alu instid0(VALU_DEP_3)
	v_mul_f64_e32 v[10:11], v[36:37], v[10:11]
	flat_atomic_add_f64 v[12:13], v[10:11] scope:SCOPE_DEV
.LBB158_33:                             ;   in Loop: Header=BB158_27 Depth=2
	s_wait_xcnt 0x0
	s_or_b32 exec_lo, exec_lo, s53
	v_fmac_f64_e32 v[40:41], v[54:55], v[6:7]
	v_fmac_f64_e32 v[42:43], v[54:55], v[8:9]
	v_add_nc_u64_e32 v[60:61], 0x100, v[60:61]
	v_add_nc_u64_e32 v[62:63], 0x100, v[62:63]
	v_add_nc_u64_e32 v[50:51], 0x100, v[50:51]
	v_add_nc_u64_e32 v[38:39], s[34:35], v[38:39]
	s_add_co_i32 s52, s52, -1
	s_delay_alu instid0(SALU_CYCLE_1)
	s_cmp_eq_u32 s52, 0
	v_fmac_f64_e32 v[40:41], v[64:65], v[46:47]
	v_fmac_f64_e32 v[42:43], v[64:65], v[44:45]
	s_cbranch_scc1 .LBB158_37
; %bb.34:                               ;   in Loop: Header=BB158_27 Depth=2
	v_mov_b64_e32 v[8:9], v[4:5]
	v_mov_b64_e32 v[54:55], v[52:53]
	;; [unrolled: 1-line block ×3, first 2 shown]
	s_branch .LBB158_27
.LBB158_35:                             ;   in Loop: Header=BB158_3 Depth=1
	v_mov_b64_e32 v[42:43], 0
	v_mov_b64_e32 v[40:41], 0
	s_branch .LBB158_42
.LBB158_36:                             ;   in Loop: Header=BB158_3 Depth=1
	s_wait_loadcnt_dscnt 0x101
	s_wait_xcnt 0x0
	v_mov_b64_e32 v[2:3], v[6:7]
	v_mov_b64_e32 v[48:49], s[52:53]
	;; [unrolled: 1-line block ×6, first 2 shown]
	s_wait_loadcnt_dscnt 0x0
	v_mov_b64_e32 v[52:53], v[54:55]
	v_lshl_add_u64 v[6:7], v[22:23], 3, v[12:13]
	flat_load_b64 v[6:7], v[6:7]
	s_wait_xcnt 0x0
	s_and_saveexec_b32 s48, s57
	s_cbranch_execnz .LBB158_38
	s_branch .LBB158_39
.LBB158_37:                             ;   in Loop: Header=BB158_3 Depth=1
	s_delay_alu instid0(VALU_DEP_3) | instskip(SKIP_1) | instid1(VALU_DEP_2)
	v_add_nc_u64_e32 v[12:13], s[50:51], v[38:39]
	v_add_nc_u64_e32 v[10:11], s[48:49], v[50:51]
	v_lshl_add_u64 v[6:7], v[22:23], 3, v[12:13]
	flat_load_b64 v[6:7], v[6:7]
	s_wait_xcnt 0x0
	s_and_saveexec_b32 s48, s57
	s_cbranch_execz .LBB158_39
.LBB158_38:                             ;   in Loop: Header=BB158_3 Depth=1
	v_lshl_add_u64 v[8:9], v[16:17], 3, v[10:11]
	s_delay_alu instid0(VALU_DEP_1)
	v_lshl_add_u64 v[10:11], s[24:25], 3, v[8:9]
	s_clause 0x1
	flat_load_b64 v[46:47], v[8:9] offset:128
	flat_load_b64 v[44:45], v[10:11] offset:128
.LBB158_39:                             ;   in Loop: Header=BB158_3 Depth=1
	s_wait_xcnt 0x0
	s_or_b32 exec_lo, exec_lo, s48
	ds_load_b128 v[8:11], v74
	v_add_nc_u32_e32 v1, v14, v70
	s_wait_storecnt 0x0
	s_wait_loadcnt_dscnt 0x0
	s_barrier_signal -1
	s_barrier_wait -1
	v_fma_f64 v[12:13], v[2:3], v[8:9], 0
	v_fma_f64 v[8:9], v[46:47], v[8:9], 0
	s_delay_alu instid0(VALU_DEP_2) | instskip(NEXT) | instid1(VALU_DEP_2)
	v_fmac_f64_e32 v[12:13], v[4:5], v[10:11]
	v_fmac_f64_e32 v[8:9], v[44:45], v[10:11]
	ds_store_2addr_b64 v1, v[12:13], v[8:9] offset1:16
	s_wait_dscnt 0x0
	s_barrier_signal -1
	s_barrier_wait -1
	s_and_saveexec_b32 s48, s0
	s_cbranch_execz .LBB158_41
; %bb.40:                               ;   in Loop: Header=BB158_3 Depth=1
	ds_load_2addr_b64 v[8:11], v69 offset1:32
	v_add_nc_u32_e32 v1, 0x800, v69
	s_wait_dscnt 0x0
	v_add_f64_e32 v[8:9], 0, v[8:9]
	s_delay_alu instid0(VALU_DEP_1) | instskip(SKIP_3) | instid1(VALU_DEP_1)
	v_add_f64_e32 v[12:13], v[8:9], v[10:11]
	ds_load_2addr_b64 v[8:11], v69 offset0:64 offset1:96
	s_wait_dscnt 0x0
	v_add_f64_e32 v[8:9], v[12:13], v[8:9]
	v_add_f64_e32 v[12:13], v[8:9], v[10:11]
	ds_load_2addr_b64 v[8:11], v69 offset0:128 offset1:160
	s_wait_dscnt 0x0
	v_add_f64_e32 v[8:9], v[12:13], v[8:9]
	s_delay_alu instid0(VALU_DEP_1) | instskip(SKIP_3) | instid1(VALU_DEP_1)
	v_add_f64_e32 v[12:13], v[8:9], v[10:11]
	ds_load_2addr_b64 v[8:11], v69 offset0:192 offset1:224
	s_wait_dscnt 0x0
	v_add_f64_e32 v[8:9], v[12:13], v[8:9]
	v_add_f64_e32 v[12:13], v[8:9], v[10:11]
	ds_load_2addr_b64 v[8:11], v1 offset1:32
	s_wait_dscnt 0x0
	v_add_f64_e32 v[8:9], v[12:13], v[8:9]
	s_delay_alu instid0(VALU_DEP_1) | instskip(SKIP_3) | instid1(VALU_DEP_1)
	v_add_f64_e32 v[12:13], v[8:9], v[10:11]
	ds_load_2addr_b64 v[8:11], v1 offset0:64 offset1:96
	s_wait_dscnt 0x0
	v_add_f64_e32 v[8:9], v[12:13], v[8:9]
	v_add_f64_e32 v[12:13], v[8:9], v[10:11]
	ds_load_2addr_b64 v[8:11], v1 offset0:128 offset1:160
	s_wait_dscnt 0x0
	v_add_f64_e32 v[8:9], v[12:13], v[8:9]
	s_delay_alu instid0(VALU_DEP_1) | instskip(SKIP_3) | instid1(VALU_DEP_1)
	v_add_f64_e32 v[12:13], v[8:9], v[10:11]
	ds_load_2addr_b64 v[8:11], v1 offset0:192 offset1:224
	s_wait_dscnt 0x0
	v_add_f64_e32 v[8:9], v[12:13], v[8:9]
	v_add_f64_e32 v[8:9], v[8:9], v[10:11]
	v_lshl_add_u64 v[10:11], v[24:25], 3, v[48:49]
	s_delay_alu instid0(VALU_DEP_2)
	v_mul_f64_e32 v[8:9], v[36:37], v[8:9]
	flat_atomic_add_f64 v[10:11], v[8:9] scope:SCOPE_DEV
.LBB158_41:                             ;   in Loop: Header=BB158_3 Depth=1
	s_wait_xcnt 0x0
	s_or_b32 exec_lo, exec_lo, s48
	v_fmac_f64_e32 v[40:41], v[52:53], v[2:3]
	v_fmac_f64_e32 v[42:43], v[52:53], v[4:5]
	s_delay_alu instid0(VALU_DEP_2) | instskip(NEXT) | instid1(VALU_DEP_2)
	v_fmac_f64_e32 v[40:41], v[6:7], v[46:47]
	v_fmac_f64_e32 v[42:43], v[6:7], v[44:45]
.LBB158_42:                             ;   in Loop: Header=BB158_3 Depth=1
	s_cmp_lt_u32 s30, s22
	ds_store_2addr_b64 v73, v[40:41], v[42:43] offset1:16
	s_cselect_b32 s22, -1, 0
	s_wait_storecnt 0x0
	s_wait_loadcnt_dscnt 0x0
	s_or_b32 s22, s1, s22
	s_barrier_signal -1
	s_and_b32 s22, s0, s22
	s_barrier_wait -1
	s_and_b32 exec_lo, exec_lo, s22
	s_cbranch_execz .LBB158_2
; %bb.43:                               ;   in Loop: Header=BB158_3 Depth=1
	ds_load_b64 v[2:3], v75
	ds_load_b64 v[4:5], v76
	;; [unrolled: 1-line block ×4, first 2 shown]
	s_add_nc_u64 s[46:47], s[46:47], s[44:45]
	s_wait_dscnt 0x3
	v_add_f64_e32 v[2:3], 0, v[2:3]
	s_wait_dscnt 0x2
	s_delay_alu instid0(VALU_DEP_1) | instskip(SKIP_1) | instid1(VALU_DEP_1)
	v_add_f64_e32 v[2:3], v[2:3], v[4:5]
	s_wait_dscnt 0x1
	v_add_f64_e32 v[2:3], v[2:3], v[6:7]
	s_wait_dscnt 0x0
	s_delay_alu instid0(VALU_DEP_1)
	v_add_f64_e32 v[2:3], v[2:3], v[8:9]
	ds_load_b64 v[4:5], v79
	ds_load_b64 v[6:7], v80
	ds_load_b64 v[8:9], v81
	ds_load_b64 v[10:11], v82
	s_wait_dscnt 0x3
	v_add_f64_e32 v[2:3], v[2:3], v[4:5]
	s_wait_dscnt 0x2
	s_delay_alu instid0(VALU_DEP_1) | instskip(SKIP_1) | instid1(VALU_DEP_1)
	v_add_f64_e32 v[2:3], v[2:3], v[6:7]
	s_wait_dscnt 0x1
	v_add_f64_e32 v[2:3], v[2:3], v[8:9]
	s_wait_dscnt 0x0
	s_delay_alu instid0(VALU_DEP_1)
	v_add_f64_e32 v[2:3], v[2:3], v[10:11]
	ds_load_b64 v[4:5], v83
	ds_load_b64 v[6:7], v84
	ds_load_b64 v[8:9], v85
	ds_load_b64 v[10:11], v86
	;; [unrolled: 14-line block ×3, first 2 shown]
	s_wait_dscnt 0x3
	v_add_f64_e32 v[2:3], v[2:3], v[4:5]
	v_lshl_add_u64 v[4:5], v[24:25], 3, s[46:47]
	s_wait_dscnt 0x2
	s_delay_alu instid0(VALU_DEP_2) | instskip(SKIP_1) | instid1(VALU_DEP_1)
	v_add_f64_e32 v[2:3], v[2:3], v[6:7]
	s_wait_dscnt 0x1
	v_add_f64_e32 v[2:3], v[2:3], v[8:9]
	s_wait_dscnt 0x0
	s_delay_alu instid0(VALU_DEP_1) | instskip(NEXT) | instid1(VALU_DEP_1)
	v_add_f64_e32 v[2:3], v[2:3], v[10:11]
	v_mul_f64_e32 v[2:3], v[36:37], v[2:3]
	flat_atomic_add_f64 v[4:5], v[2:3] scope:SCOPE_DEV
	s_branch .LBB158_2
.LBB158_44:
	s_sendmsg sendmsg(MSG_DEALLOC_VGPRS)
	s_endpgm
	.section	.rodata,"a",@progbits
	.p2align	6, 0x0
	.amdhsa_kernel _ZL62rocblas_symv_kernel_upper_double_buffered_non_diagonal_genericILi32ELi8ELi2ELi0E24rocblas_internal_val_ptrIdEPKPKdPKPdEvbiT3_lT4_lllSA_lllT5_lllii
		.amdhsa_group_segment_fixed_size 10496
		.amdhsa_private_segment_fixed_size 0
		.amdhsa_kernarg_size 384
		.amdhsa_user_sgpr_count 4
		.amdhsa_user_sgpr_dispatch_ptr 1
		.amdhsa_user_sgpr_queue_ptr 0
		.amdhsa_user_sgpr_kernarg_segment_ptr 1
		.amdhsa_user_sgpr_dispatch_id 0
		.amdhsa_user_sgpr_kernarg_preload_length 0
		.amdhsa_user_sgpr_kernarg_preload_offset 0
		.amdhsa_user_sgpr_private_segment_size 0
		.amdhsa_wavefront_size32 1
		.amdhsa_uses_dynamic_stack 0
		.amdhsa_enable_private_segment 0
		.amdhsa_system_sgpr_workgroup_id_x 1
		.amdhsa_system_sgpr_workgroup_id_y 1
		.amdhsa_system_sgpr_workgroup_id_z 1
		.amdhsa_system_sgpr_workgroup_info 0
		.amdhsa_system_vgpr_workitem_id 2
		.amdhsa_next_free_vgpr 91
		.amdhsa_next_free_sgpr 59
		.amdhsa_named_barrier_count 0
		.amdhsa_reserve_vcc 1
		.amdhsa_float_round_mode_32 0
		.amdhsa_float_round_mode_16_64 0
		.amdhsa_float_denorm_mode_32 3
		.amdhsa_float_denorm_mode_16_64 3
		.amdhsa_fp16_overflow 0
		.amdhsa_memory_ordered 1
		.amdhsa_forward_progress 1
		.amdhsa_inst_pref_size 26
		.amdhsa_round_robin_scheduling 0
		.amdhsa_exception_fp_ieee_invalid_op 0
		.amdhsa_exception_fp_denorm_src 0
		.amdhsa_exception_fp_ieee_div_zero 0
		.amdhsa_exception_fp_ieee_overflow 0
		.amdhsa_exception_fp_ieee_underflow 0
		.amdhsa_exception_fp_ieee_inexact 0
		.amdhsa_exception_int_div_zero 0
	.end_amdhsa_kernel
	.section	.text._ZL62rocblas_symv_kernel_upper_double_buffered_non_diagonal_genericILi32ELi8ELi2ELi0E24rocblas_internal_val_ptrIdEPKPKdPKPdEvbiT3_lT4_lllSA_lllT5_lllii,"axG",@progbits,_ZL62rocblas_symv_kernel_upper_double_buffered_non_diagonal_genericILi32ELi8ELi2ELi0E24rocblas_internal_val_ptrIdEPKPKdPKPdEvbiT3_lT4_lllSA_lllT5_lllii,comdat
.Lfunc_end158:
	.size	_ZL62rocblas_symv_kernel_upper_double_buffered_non_diagonal_genericILi32ELi8ELi2ELi0E24rocblas_internal_val_ptrIdEPKPKdPKPdEvbiT3_lT4_lllSA_lllT5_lllii, .Lfunc_end158-_ZL62rocblas_symv_kernel_upper_double_buffered_non_diagonal_genericILi32ELi8ELi2ELi0E24rocblas_internal_val_ptrIdEPKPKdPKPdEvbiT3_lT4_lllSA_lllT5_lllii
                                        ; -- End function
	.set _ZL62rocblas_symv_kernel_upper_double_buffered_non_diagonal_genericILi32ELi8ELi2ELi0E24rocblas_internal_val_ptrIdEPKPKdPKPdEvbiT3_lT4_lllSA_lllT5_lllii.num_vgpr, 91
	.set _ZL62rocblas_symv_kernel_upper_double_buffered_non_diagonal_genericILi32ELi8ELi2ELi0E24rocblas_internal_val_ptrIdEPKPKdPKPdEvbiT3_lT4_lllSA_lllT5_lllii.num_agpr, 0
	.set _ZL62rocblas_symv_kernel_upper_double_buffered_non_diagonal_genericILi32ELi8ELi2ELi0E24rocblas_internal_val_ptrIdEPKPKdPKPdEvbiT3_lT4_lllSA_lllT5_lllii.numbered_sgpr, 59
	.set _ZL62rocblas_symv_kernel_upper_double_buffered_non_diagonal_genericILi32ELi8ELi2ELi0E24rocblas_internal_val_ptrIdEPKPKdPKPdEvbiT3_lT4_lllSA_lllT5_lllii.num_named_barrier, 0
	.set _ZL62rocblas_symv_kernel_upper_double_buffered_non_diagonal_genericILi32ELi8ELi2ELi0E24rocblas_internal_val_ptrIdEPKPKdPKPdEvbiT3_lT4_lllSA_lllT5_lllii.private_seg_size, 0
	.set _ZL62rocblas_symv_kernel_upper_double_buffered_non_diagonal_genericILi32ELi8ELi2ELi0E24rocblas_internal_val_ptrIdEPKPKdPKPdEvbiT3_lT4_lllSA_lllT5_lllii.uses_vcc, 1
	.set _ZL62rocblas_symv_kernel_upper_double_buffered_non_diagonal_genericILi32ELi8ELi2ELi0E24rocblas_internal_val_ptrIdEPKPKdPKPdEvbiT3_lT4_lllSA_lllT5_lllii.uses_flat_scratch, 1
	.set _ZL62rocblas_symv_kernel_upper_double_buffered_non_diagonal_genericILi32ELi8ELi2ELi0E24rocblas_internal_val_ptrIdEPKPKdPKPdEvbiT3_lT4_lllSA_lllT5_lllii.has_dyn_sized_stack, 0
	.set _ZL62rocblas_symv_kernel_upper_double_buffered_non_diagonal_genericILi32ELi8ELi2ELi0E24rocblas_internal_val_ptrIdEPKPKdPKPdEvbiT3_lT4_lllSA_lllT5_lllii.has_recursion, 0
	.set _ZL62rocblas_symv_kernel_upper_double_buffered_non_diagonal_genericILi32ELi8ELi2ELi0E24rocblas_internal_val_ptrIdEPKPKdPKPdEvbiT3_lT4_lllSA_lllT5_lllii.has_indirect_call, 0
	.section	.AMDGPU.csdata,"",@progbits
; Kernel info:
; codeLenInByte = 3220
; TotalNumSgprs: 61
; NumVgprs: 91
; ScratchSize: 0
; MemoryBound: 1
; FloatMode: 240
; IeeeMode: 1
; LDSByteSize: 10496 bytes/workgroup (compile time only)
; SGPRBlocks: 0
; VGPRBlocks: 5
; NumSGPRsForWavesPerEU: 61
; NumVGPRsForWavesPerEU: 91
; NamedBarCnt: 0
; Occupancy: 10
; WaveLimiterHint : 1
; COMPUTE_PGM_RSRC2:SCRATCH_EN: 0
; COMPUTE_PGM_RSRC2:USER_SGPR: 4
; COMPUTE_PGM_RSRC2:TRAP_HANDLER: 0
; COMPUTE_PGM_RSRC2:TGID_X_EN: 1
; COMPUTE_PGM_RSRC2:TGID_Y_EN: 1
; COMPUTE_PGM_RSRC2:TGID_Z_EN: 1
; COMPUTE_PGM_RSRC2:TIDIG_COMP_CNT: 2
	.section	.text._ZL62rocblas_symv_kernel_upper_double_buffered_non_diagonal_genericILi32ELi8ELi2ELi1E24rocblas_internal_val_ptrIdEPKPKdPKPdEvbiT3_lT4_lllSA_lllT5_lllii,"axG",@progbits,_ZL62rocblas_symv_kernel_upper_double_buffered_non_diagonal_genericILi32ELi8ELi2ELi1E24rocblas_internal_val_ptrIdEPKPKdPKPdEvbiT3_lT4_lllSA_lllT5_lllii,comdat
	.globl	_ZL62rocblas_symv_kernel_upper_double_buffered_non_diagonal_genericILi32ELi8ELi2ELi1E24rocblas_internal_val_ptrIdEPKPKdPKPdEvbiT3_lT4_lllSA_lllT5_lllii ; -- Begin function _ZL62rocblas_symv_kernel_upper_double_buffered_non_diagonal_genericILi32ELi8ELi2ELi1E24rocblas_internal_val_ptrIdEPKPKdPKPdEvbiT3_lT4_lllSA_lllT5_lllii
	.p2align	8
	.type	_ZL62rocblas_symv_kernel_upper_double_buffered_non_diagonal_genericILi32ELi8ELi2ELi1E24rocblas_internal_val_ptrIdEPKPKdPKPdEvbiT3_lT4_lllSA_lllT5_lllii,@function
_ZL62rocblas_symv_kernel_upper_double_buffered_non_diagonal_genericILi32ELi8ELi2ELi1E24rocblas_internal_val_ptrIdEPKPKdPKPdEvbiT3_lT4_lllSA_lllT5_lllii: ; @_ZL62rocblas_symv_kernel_upper_double_buffered_non_diagonal_genericILi32ELi8ELi2ELi1E24rocblas_internal_val_ptrIdEPKPKdPKPdEvbiT3_lT4_lllSA_lllT5_lllii
; %bb.0:
	s_load_b64 s[12:13], s[0:1], 0x4
	s_load_b256 s[4:11], s[2:3], 0x8
	v_bfe_u32 v1, v0, 10, 10
	s_load_b64 s[20:21], s[2:3], 0x78
	v_and_b32_e32 v2, 0x3ff, v0
	s_wait_xcnt 0x0
	s_lshr_b32 s1, ttmp7, 16
	v_bfe_u32 v0, v0, 20, 10
	s_mov_b32 s23, 0
	s_wait_kmcnt 0x0
	v_mul_u32_u24_e32 v3, s13, v1
	s_lshr_b32 s0, s12, 16
	v_dual_mov_b32 v4, s4 :: v_dual_mov_b32 v5, s5
	s_mul_i32 s0, s0, s13
	s_bfe_u32 s5, ttmp6, 0x40008
	v_mad_u32 v3, s0, v2, v3
	s_bfe_u32 s0, ttmp6, 0x40014
	s_delay_alu instid0(SALU_CYCLE_1) | instskip(NEXT) | instid1(SALU_CYCLE_1)
	s_add_co_i32 s0, s0, 1
	s_mul_i32 s4, s1, s0
	s_getreg_b32 s0, hwreg(HW_REG_IB_STS2, 6, 4)
	s_add_co_i32 s5, s5, s4
	s_cmp_eq_u32 s0, 0
	s_cselect_b32 s4, s1, s5
	s_delay_alu instid0(VALU_DEP_1)
	v_add_lshl_u32 v0, v3, v0, 3
	s_cmp_ge_u32 s4, s21
	ds_store_b64 v0, v[4:5] offset:8448
	s_cbranch_scc1 .LBB159_77
; %bb.1:
	s_clause 0x5
	s_load_b32 s1, s[2:3], 0x0
	s_load_b64 s[24:25], s[2:3], 0x28
	s_load_b128 s[12:15], s[2:3], 0x38
	s_load_b64 s[26:27], s[2:3], 0x48
	s_load_b64 s[28:29], s[2:3], 0x58
	s_load_b128 s[16:19], s[2:3], 0x60
	s_add_nc_u64 s[30:31], s[2:3], 0x80
	v_lshl_add_u32 v8, v1, 5, v2
	v_add_nc_u32_e32 v66, 0x2100, v0
	v_dual_mov_b32 v0, 0 :: v_dual_bitop2_b32 v4, 15, v2 bitop3:0x40
	v_lshl_add_u32 v10, v2, 7, 0x1000
	s_delay_alu instid0(VALU_DEP_4) | instskip(SKIP_3) | instid1(VALU_DEP_4)
	v_lshrrev_b32_e32 v9, 4, v8
	v_and_b32_e32 v8, 0xfff0, v8
	v_mov_b64_e32 v[34:35], 0
	v_dual_mov_b32 v5, v0 :: v_dual_mov_b32 v3, v0
	v_dual_lshlrev_b32 v14, 3, v4 :: v_dual_lshlrev_b32 v6, 1, v9
	v_dual_lshlrev_b32 v67, 3, v2 :: v_dual_lshlrev_b32 v68, 8, v9
	v_add_nc_u32_e32 v72, 0x2000, v8
	s_wait_kmcnt 0x0
	s_bitcmp1_b32 s1, 0
	v_mad_nc_u64_u32 v[16:17], s24, v6, v[4:5]
	s_cselect_b32 s1, -1, 0
	s_bfe_u32 s3, ttmp6, 0x4000c
	s_bfe_u32 s22, ttmp6, 0x40010
	s_and_b32 s5, ttmp7, 0xffff
	s_add_co_i32 s3, s3, 1
	s_add_co_i32 s22, s22, 1
	s_and_b32 s2, ttmp6, 15
	s_bfe_u32 s34, ttmp6, 0x40004
	s_xor_b32 s33, s1, -1
	s_mul_i32 s1, ttmp9, s3
	s_mul_i32 s3, s5, s22
	s_add_co_i32 s2, s2, s1
	s_add_co_i32 s1, s34, s3
	s_cmp_eq_u32 s0, 0
	v_mad_u32 v17, s25, v6, v17
	s_cselect_b32 s34, ttmp9, s2
	s_cselect_b32 s56, s5, s1
	s_lshl_b32 s40, s34, 5
	s_lshl_b32 s57, s56, 5
	s_ashr_i32 s41, s40, 31
	s_cmp_lg_u32 s34, 0
	v_dual_mov_b32 v7, v0 :: v_dual_bitop2_b32 v6, 16, v4 bitop3:0x54
	s_cselect_b32 s58, -1, 0
	s_lshr_b32 s0, s20, 31
	v_mul_u64_e32 v[20:21], s[26:27], v[4:5]
	s_add_co_i32 s0, s20, s0
	v_add_nc_u32_e32 v4, 2, v2
	s_ashr_i32 s3, s0, 1
	v_cmp_eq_u32_e64 s0, 0, v1
	v_or_b32_e32 v1, 0x1000, v14
	v_or_b32_e32 v70, v14, v68
	v_mul_u64_e32 v[18:19], s[26:27], v[2:3]
	v_mul_u64_e32 v[22:23], s[26:27], v[6:7]
	v_mul_u64_e32 v[24:25], s[18:19], v[2:3]
	v_dual_add_nc_u32 v71, v1, v68 :: v_dual_add_nc_u32 v1, 1, v2
	v_dual_add_nc_u32 v3, 3, v2 :: v_dual_add_nc_u32 v5, 5, v2
	v_add_nc_u32_e32 v6, 6, v2
	v_cmp_le_i32_e64 s2, s3, v9
	s_delay_alu instid0(VALU_DEP_4) | instskip(SKIP_3) | instid1(VALU_DEP_4)
	v_and_b32_e32 v1, 15, v1
	v_cmp_eq_u32_e64 s3, s3, v9
	v_dual_mov_b32 v9, v0 :: v_dual_mov_b32 v31, v0
	v_mov_b32_e32 v33, v0
	v_lshl_or_b32 v74, v1, 3, v10
	v_dual_add_nc_u32 v4, 4, v2 :: v_dual_bitop2_b32 v1, 15, v4 bitop3:0x40
	s_lshl_b64 s[10:11], s[10:11], 3
	v_add_nc_u32_e32 v7, 12, v2
	v_cmp_gt_i32_e64 s1, s20, v2
	s_delay_alu instid0(VALU_DEP_3)
	v_lshl_or_b32 v75, v1, 3, v10
	v_and_b32_e32 v1, 15, v3
	v_and_b32_e32 v3, 15, v4
	;; [unrolled: 1-line block ×4, first 2 shown]
	v_add_nc_u32_e32 v6, 7, v2
	v_lshl_or_b32 v76, v1, 3, v10
	v_add_nc_u32_e32 v13, 14, v2
	v_dual_mov_b32 v15, v0 :: v_dual_bitop2_b32 v73, v10, v14 bitop3:0x54
	v_lshl_or_b32 v79, v5, 3, v10
	v_and_b32_e32 v1, 15, v6
	v_add_nc_u32_e32 v5, 10, v2
	v_lshl_or_b32 v78, v4, 3, v10
	v_add_nc_u32_e32 v4, 9, v2
	v_lshl_or_b32 v77, v3, 3, v10
	v_bitop3_b32 v3, v2, 8, 15 bitop3:0x6c
	v_lshl_or_b32 v80, v1, 3, v10
	s_delay_alu instid0(VALU_DEP_4) | instskip(SKIP_1) | instid1(VALU_DEP_4)
	v_dual_add_nc_u32 v6, 11, v2 :: v_dual_bitop2_b32 v1, 15, v4 bitop3:0x40
	v_or_b32_e32 v69, 0x2000, v67
	v_lshl_or_b32 v81, v3, 3, v10
	v_and_b32_e32 v3, 15, v5
	v_lshl_add_u64 v[4:5], s[40:41], 3, v[8:9]
	v_lshl_or_b32 v82, v1, 3, v10
	v_dual_add_nc_u32 v9, 13, v2 :: v_dual_bitop2_b32 v8, 15, v7 bitop3:0x40
	s_delay_alu instid0(VALU_DEP_4) | instskip(NEXT) | instid1(VALU_DEP_4)
	v_lshl_or_b32 v83, v3, 3, v10
	v_or_b32_e32 v1, 8, v4
	v_and_b32_e32 v3, 15, v6
	v_mul_lo_u32 v12, s25, v4
	v_dual_add_nc_u32 v2, -1, v2 :: v_dual_bitop2_b32 v9, 15, v9 bitop3:0x40
	s_delay_alu instid0(VALU_DEP_4)
	v_mul_lo_u32 v11, s25, v1
	v_mad_nc_u64_u32 v[6:7], s24, v1, s[10:11]
	v_mul_lo_u32 v1, s24, v5
	v_mad_nc_u64_u32 v[4:5], s24, v4, s[10:11]
	v_lshl_or_b32 v84, v3, 3, v10
	v_and_b32_e32 v3, 15, v13
	v_and_b32_e32 v2, 15, v2
	v_lshl_or_b32 v85, v8, 3, v10
	v_lshl_or_b32 v86, v9, 3, v10
	v_or_b32_e32 v30, 0x100, v14
	v_lshl_or_b32 v87, v3, 3, v10
	v_lshl_or_b32 v88, v2, 3, v10
	v_or_b32_e32 v32, 0x80, v14
	v_add3_u32 v7, v11, v7, v1
	v_add3_u32 v5, v12, v5, v1
	s_mul_u64 s[44:45], s[24:25], s[40:41]
	s_mul_u64 s[42:43], s[26:27], s[40:41]
	;; [unrolled: 1-line block ×3, first 2 shown]
	v_add_nc_u64_e32 v[26:27], v[6:7], v[14:15]
	v_add_nc_u64_e32 v[28:29], v[4:5], v[14:15]
	s_lshl_b64 s[36:37], s[26:27], 8
	s_lshl_b64 s[38:39], s[18:19], 8
	s_mov_b32 s35, s23
	s_lshl_b64 s[40:41], s[26:27], 3
	s_lshl_b64 s[14:15], s[14:15], 3
	;; [unrolled: 1-line block ×6, first 2 shown]
	s_branch .LBB159_3
.LBB159_2:                              ;   in Loop: Header=BB159_3 Depth=1
	s_wait_xcnt 0x0
	s_or_b32 exec_lo, exec_lo, s5
	s_add_co_i32 s4, s4, 0x10000
	s_delay_alu instid0(SALU_CYCLE_1)
	s_cmp_lt_u32 s4, s21
	s_cbranch_scc0 .LBB159_77
.LBB159_3:                              ; =>This Loop Header: Depth=1
                                        ;     Child Loop BB159_27 Depth 2
	s_and_b32 vcc_lo, exec_lo, s33
	s_mov_b32 s5, -1
                                        ; implicit-def: $vgpr36_vgpr37
	s_cbranch_vccz .LBB159_5
; %bb.4:                                ;   in Loop: Header=BB159_3 Depth=1
	s_wait_loadcnt 0x0
	ds_load_b64 v[2:3], v66
	s_mov_b32 s5, s23
	s_delay_alu instid0(SALU_CYCLE_1)
	s_mul_u64 s[48:49], s[6:7], s[4:5]
	s_mov_b32 s5, 0
	s_wait_dscnt 0x0
	v_lshl_add_u64 v[2:3], s[48:49], 3, v[2:3]
	flat_load_b64 v[36:37], v[2:3]
.LBB159_5:                              ;   in Loop: Header=BB159_3 Depth=1
	s_and_not1_b32 vcc_lo, exec_lo, s5
	s_cbranch_vccnz .LBB159_7
; %bb.6:                                ;   in Loop: Header=BB159_3 Depth=1
	s_wait_loadcnt_dscnt 0x0
	ds_load_b64 v[36:37], v66
.LBB159_7:                              ;   in Loop: Header=BB159_3 Depth=1
	s_mov_b32 s5, exec_lo
	s_wait_loadcnt_dscnt 0x0
	s_wait_xcnt 0x0
	v_cmpx_neq_f64_e32 0, v[36:37]
	s_cbranch_execz .LBB159_2
; %bb.8:                                ;   in Loop: Header=BB159_3 Depth=1
	s_and_not1_b32 vcc_lo, exec_lo, s58
	s_cbranch_vccnz .LBB159_2
; %bb.9:                                ;   in Loop: Header=BB159_3 Depth=1
	v_mov_b32_e32 v1, s4
	s_clause 0x1
	global_load_b64 v[6:7], v1, s[8:9] scale_offset
	global_load_b64 v[2:3], v1, s[12:13] scale_offset
	s_load_b32 s20, s[30:31], 0x4
	s_wait_kmcnt 0x0
	s_cvt_f32_u32 s22, s20
	s_sub_co_i32 s48, 0, s20
	s_delay_alu instid0(SALU_CYCLE_2) | instskip(SKIP_1) | instid1(TRANS32_DEP_1)
	v_rcp_iflag_f32_e32 v1, s22
	v_nop
	v_readfirstlane_b32 s22, v1
	s_mul_f32 s22, s22, 0x4f7ffffe
	s_delay_alu instid0(SALU_CYCLE_3) | instskip(NEXT) | instid1(SALU_CYCLE_3)
	s_cvt_u32_f32 s22, s22
	s_mul_i32 s48, s48, s22
	s_delay_alu instid0(SALU_CYCLE_1) | instskip(NEXT) | instid1(SALU_CYCLE_1)
	s_mul_hi_u32 s48, s22, s48
	s_add_co_i32 s22, s22, s48
	s_delay_alu instid0(SALU_CYCLE_1) | instskip(NEXT) | instid1(SALU_CYCLE_1)
	s_mul_u64 s[48:49], s[34:35], s[22:23]
	s_mul_i32 s22, s49, s20
	s_add_co_i32 s48, s49, 1
	s_sub_co_i32 s22, s34, s22
	s_delay_alu instid0(SALU_CYCLE_1)
	s_sub_co_i32 s50, s22, s20
	s_cmp_ge_u32 s22, s20
	s_cselect_b32 s48, s48, s49
	s_cselect_b32 s22, s50, s22
	s_add_co_i32 s49, s48, 1
	s_cmp_ge_u32 s22, s20
	s_cselect_b32 s50, s49, s48
	s_add_co_i32 s22, s20, -1
	s_delay_alu instid0(SALU_CYCLE_1)
	s_cmp_lg_u32 s56, s22
	s_mov_b32 s22, s50
	s_cbranch_scc1 .LBB159_11
; %bb.10:                               ;   in Loop: Header=BB159_3 Depth=1
	s_mul_i32 s20, s50, s20
	s_delay_alu instid0(SALU_CYCLE_1) | instskip(NEXT) | instid1(SALU_CYCLE_1)
	s_sub_co_i32 s20, s34, s20
	s_add_co_i32 s22, s20, s50
.LBB159_11:                             ;   in Loop: Header=BB159_3 Depth=1
	s_delay_alu instid0(SALU_CYCLE_1)
	s_cmp_eq_u32 s22, 0
	s_cbranch_scc1 .LBB159_2
; %bb.12:                               ;   in Loop: Header=BB159_3 Depth=1
	s_load_b32 s20, s[30:31], 0x0
	s_load_b64 s[48:49], s[28:29], s4 offset:0x0 scale_offset
	s_wait_loadcnt 0x0
	v_add_nc_u64_e32 v[38:39], s[14:15], v[2:3]
	s_mov_b32 s51, -1
	s_delay_alu instid0(VALU_DEP_1) | instskip(SKIP_2) | instid1(SALU_CYCLE_1)
	v_add_nc_u64_e32 v[2:3], s[42:43], v[38:39]
	s_wait_kmcnt 0x0
	s_add_co_i32 s20, s20, -1
	s_cmp_lg_u32 s34, s20
	s_cselect_b32 s54, -1, 0
	s_delay_alu instid0(SALU_CYCLE_1)
	s_and_b32 vcc_lo, exec_lo, s54
	s_cbranch_vccz .LBB159_16
; %bb.13:                               ;   in Loop: Header=BB159_3 Depth=1
	s_and_saveexec_b32 s51, s0
	s_cbranch_execz .LBB159_15
; %bb.14:                               ;   in Loop: Header=BB159_3 Depth=1
	v_lshl_add_u64 v[4:5], v[18:19], 3, v[2:3]
	flat_load_b64 v[4:5], v[4:5]
	s_wait_loadcnt_dscnt 0x0
	ds_store_b64 v69, v[4:5]
.LBB159_15:                             ;   in Loop: Header=BB159_3 Depth=1
	s_wait_xcnt 0x0
	s_or_b32 exec_lo, exec_lo, s51
	s_mov_b32 s51, 0
.LBB159_16:                             ;   in Loop: Header=BB159_3 Depth=1
	s_delay_alu instid0(SALU_CYCLE_1)
	s_and_not1_b32 vcc_lo, exec_lo, s51
	s_cbranch_vccnz .LBB159_22
; %bb.17:                               ;   in Loop: Header=BB159_3 Depth=1
	s_and_saveexec_b32 s51, s0
	s_cbranch_execz .LBB159_21
; %bb.18:                               ;   in Loop: Header=BB159_3 Depth=1
	v_mov_b64_e32 v[4:5], 0
	s_and_saveexec_b32 s52, s1
	s_cbranch_execz .LBB159_20
; %bb.19:                               ;   in Loop: Header=BB159_3 Depth=1
	v_lshl_add_u64 v[2:3], v[18:19], 3, v[2:3]
	flat_load_b64 v[4:5], v[2:3]
.LBB159_20:                             ;   in Loop: Header=BB159_3 Depth=1
	s_wait_xcnt 0x0
	s_or_b32 exec_lo, exec_lo, s52
	s_wait_loadcnt_dscnt 0x0
	ds_store_b64 v69, v[4:5]
.LBB159_21:                             ;   in Loop: Header=BB159_3 Depth=1
	s_or_b32 exec_lo, exec_lo, s51
	ds_store_2addr_b64 v70, v[34:35], v[34:35] offset1:16
	ds_store_2addr_b64 v71, v[34:35], v[34:35] offset1:16
.LBB159_22:                             ;   in Loop: Header=BB159_3 Depth=1
	v_add_nc_u64_e32 v[2:3], s[10:11], v[6:7]
	s_mul_i32 s52, s57, s50
	v_cndmask_b32_e64 v15, 0, 1, s54
	s_ashr_i32 s53, s52, 31
	s_and_not1_b32 vcc_lo, exec_lo, s54
	s_lshl_b64 s[50:51], s[52:53], 3
	s_mov_b32 s54, -1
	v_add_nc_u64_e32 v[46:47], s[44:45], v[2:3]
	s_wait_dscnt 0x0
	s_barrier_signal -1
	s_barrier_wait -1
                                        ; implicit-def: $vgpr2_vgpr3_vgpr4_vgpr5
	s_delay_alu instid0(VALU_DEP_1)
	v_add_nc_u64_e32 v[10:11], s[50:51], v[46:47]
	s_cbranch_vccz .LBB159_51
; %bb.23:                               ;   in Loop: Header=BB159_3 Depth=1
	s_and_not1_b32 vcc_lo, exec_lo, s54
	s_cbranch_vccz .LBB159_52
.LBB159_24:                             ;   in Loop: Header=BB159_3 Depth=1
	s_cmp_lt_i32 s22, 1
	s_add_nc_u64 s[48:49], s[48:49], s[16:17]
	s_cbranch_scc1 .LBB159_59
.LBB159_25:                             ;   in Loop: Header=BB159_3 Depth=1
	s_mul_u64 s[54:55], s[26:27], s[52:53]
	v_mov_b64_e32 v[48:49], 0
	s_lshl_b64 s[54:55], s[54:55], 3
	s_delay_alu instid0(SALU_CYCLE_1) | instskip(SKIP_1) | instid1(SALU_CYCLE_1)
	v_add_nc_u64_e32 v[12:13], s[54:55], v[38:39]
	s_mul_u64 s[54:55], s[18:19], s[52:53]
	s_lshl_b64 s[54:55], s[54:55], 3
	s_cmp_eq_u32 s22, 1
	s_add_nc_u64 s[54:55], s[48:49], s[54:55]
	s_delay_alu instid0(VALU_DEP_1)
	v_lshl_add_u64 v[8:9], v[20:21], 3, v[12:13]
	flat_load_b64 v[52:53], v[8:9]
	s_cbranch_scc1 .LBB159_60
; %bb.26:                               ;   in Loop: Header=BB159_3 Depth=1
	s_wait_xcnt 0x0
	v_add_nc_u64_e32 v[8:9], s[50:51], v[30:31]
	v_add_nc_u64_e32 v[10:11], s[50:51], v[32:33]
	;; [unrolled: 1-line block ×4, first 2 shown]
	v_mov_b64_e32 v[40:41], 0
	v_mov_b64_e32 v[42:43], 0
	;; [unrolled: 1-line block ×3, first 2 shown]
	v_mul_u64_e32 v[54:55], s[26:27], v[8:9]
	v_mul_u64_e32 v[56:57], s[26:27], v[10:11]
	v_mov_b64_e32 v[8:9], 0
	v_mov_b64_e32 v[44:45], s[54:55]
	s_add_co_i32 s22, s22, -1
	s_mul_u64 s[52:53], s[40:41], s[52:53]
.LBB159_27:                             ;   Parent Loop BB159_3 Depth=1
                                        ; =>  This Inner Loop Header: Depth=2
	s_delay_alu instid0(VALU_DEP_3)
	v_add_nc_u64_e32 v[10:11], v[38:39], v[56:57]
	v_cmp_ne_u32_e32 vcc_lo, 1, v15
	s_mov_b32 s54, -1
                                        ; implicit-def: $vgpr48_vgpr49
                                        ; implicit-def: $vgpr50_vgpr51
	flat_load_b64 v[64:65], v[10:11]
	s_cbranch_vccnz .LBB159_29
; %bb.28:                               ;   in Loop: Header=BB159_27 Depth=2
	s_wait_xcnt 0x0
	v_add_nc_u64_e32 v[10:11], s[50:51], v[60:61]
	v_add_nc_u64_e32 v[12:13], s[50:51], v[58:59]
	s_mov_b32 s54, 0
	flat_load_b64 v[50:51], v[10:11] offset:128
	flat_load_b64 v[48:49], v[12:13] offset:128
.LBB159_29:                             ;   in Loop: Header=BB159_27 Depth=2
	s_and_not1_b32 vcc_lo, exec_lo, s54
	s_cbranch_vccnz .LBB159_37
; %bb.30:                               ;   in Loop: Header=BB159_27 Depth=2
	s_wait_xcnt 0x0
	s_and_saveexec_b32 s54, s2
	s_delay_alu instid0(SALU_CYCLE_1)
	s_xor_b32 s54, exec_lo, s54
	s_cbranch_execz .LBB159_34
; %bb.31:                               ;   in Loop: Header=BB159_27 Depth=2
	s_and_saveexec_b32 s55, s3
	s_cbranch_execz .LBB159_33
; %bb.32:                               ;   in Loop: Header=BB159_27 Depth=2
	v_add_nc_u64_e32 v[8:9], s[50:51], v[60:61]
	flat_load_b64 v[8:9], v[8:9] offset:128
.LBB159_33:                             ;   in Loop: Header=BB159_27 Depth=2
	s_wait_xcnt 0x0
	s_or_b32 exec_lo, exec_lo, s55
.LBB159_34:                             ;   in Loop: Header=BB159_27 Depth=2
	s_and_not1_saveexec_b32 s54, s54
	s_cbranch_execz .LBB159_36
; %bb.35:                               ;   in Loop: Header=BB159_27 Depth=2
	v_add_nc_u64_e32 v[6:7], s[50:51], v[60:61]
	v_add_nc_u64_e32 v[10:11], s[50:51], v[58:59]
	s_wait_loadcnt_dscnt 0x0
	flat_load_b64 v[8:9], v[6:7] offset:128
	flat_load_b64 v[6:7], v[10:11] offset:128
.LBB159_36:                             ;   in Loop: Header=BB159_27 Depth=2
	s_wait_xcnt 0x0
	s_or_b32 exec_lo, exec_lo, s54
	s_wait_loadcnt_dscnt 0x0
	v_mov_b64_e32 v[50:51], v[8:9]
	v_mov_b64_e32 v[48:49], v[6:7]
.LBB159_37:                             ;   in Loop: Header=BB159_27 Depth=2
	s_wait_xcnt 0x0
	ds_load_b128 v[10:13], v72
	v_cmp_ne_u32_e32 vcc_lo, 1, v15
	s_mov_b32 s54, -1
                                        ; implicit-def: $vgpr6_vgpr7_vgpr8_vgpr9
	s_cbranch_vccnz .LBB159_39
; %bb.38:                               ;   in Loop: Header=BB159_27 Depth=2
	v_add_nc_u64_e32 v[6:7], s[50:51], v[60:61]
	v_add_nc_u64_e32 v[8:9], s[50:51], v[58:59]
	s_mov_b32 s54, 0
	flat_load_b64 v[6:7], v[6:7] offset:256
	flat_load_b64 v[8:9], v[8:9] offset:256
.LBB159_39:                             ;   in Loop: Header=BB159_27 Depth=2
	s_and_not1_b32 vcc_lo, exec_lo, s54
	s_cbranch_vccnz .LBB159_47
; %bb.40:                               ;   in Loop: Header=BB159_27 Depth=2
                                        ; implicit-def: $vgpr6_vgpr7_vgpr8_vgpr9
	s_wait_xcnt 0x0
	s_and_saveexec_b32 s54, s2
	s_delay_alu instid0(SALU_CYCLE_1)
	s_xor_b32 s54, exec_lo, s54
	s_cbranch_execz .LBB159_44
; %bb.41:                               ;   in Loop: Header=BB159_27 Depth=2
	s_wait_loadcnt_dscnt 0x0
	v_mov_b64_e32 v[8:9], v[4:5]
	v_mov_b64_e32 v[6:7], v[2:3]
	s_and_saveexec_b32 s55, s3
	s_cbranch_execz .LBB159_43
; %bb.42:                               ;   in Loop: Header=BB159_27 Depth=2
	v_add_nc_u64_e32 v[6:7], s[50:51], v[60:61]
	flat_load_b64 v[62:63], v[6:7] offset:256
	s_wait_xcnt 0x0
	v_mov_b64_e32 v[8:9], v[4:5]
	v_mov_b64_e32 v[6:7], v[2:3]
	s_wait_loadcnt_dscnt 0x0
	v_dual_mov_b32 v6, v62 :: v_dual_mov_b32 v7, v63
.LBB159_43:                             ;   in Loop: Header=BB159_27 Depth=2
	s_or_b32 exec_lo, exec_lo, s55
.LBB159_44:                             ;   in Loop: Header=BB159_27 Depth=2
	s_and_not1_saveexec_b32 s54, s54
	s_cbranch_execz .LBB159_46
; %bb.45:                               ;   in Loop: Header=BB159_27 Depth=2
	s_wait_loadcnt_dscnt 0x101
	v_add_nc_u64_e32 v[6:7], s[50:51], v[60:61]
	s_wait_loadcnt_dscnt 0x0
	v_add_nc_u64_e32 v[8:9], s[50:51], v[58:59]
	flat_load_b64 v[6:7], v[6:7] offset:256
	flat_load_b64 v[8:9], v[8:9] offset:256
.LBB159_46:                             ;   in Loop: Header=BB159_27 Depth=2
	s_wait_xcnt 0x0
	s_or_b32 exec_lo, exec_lo, s54
.LBB159_47:                             ;   in Loop: Header=BB159_27 Depth=2
	v_add_nc_u64_e32 v[62:63], v[38:39], v[54:55]
	s_wait_loadcnt_dscnt 0x200
	v_fma_f64 v[90:91], v[2:3], v[10:11], 0
	s_wait_loadcnt 0x1
	v_fma_f64 v[10:11], v[50:51], v[10:11], 0
	v_add_nc_u32_e32 v1, v14, v68
	flat_load_b64 v[62:63], v[62:63]
	s_wait_loadcnt_dscnt 0x0
	s_barrier_signal -1
	s_barrier_wait -1
	v_fmac_f64_e32 v[90:91], v[4:5], v[12:13]
	v_fmac_f64_e32 v[10:11], v[48:49], v[12:13]
	ds_store_2addr_b64 v1, v[90:91], v[10:11] offset1:16
	s_wait_dscnt 0x0
	s_barrier_signal -1
	s_barrier_wait -1
	s_wait_xcnt 0x0
	s_and_saveexec_b32 s54, s0
	s_cbranch_execz .LBB159_49
; %bb.48:                               ;   in Loop: Header=BB159_27 Depth=2
	ds_load_2addr_b64 v[10:13], v67 offset1:32
	v_add_nc_u32_e32 v1, 0x800, v67
	s_wait_dscnt 0x0
	v_add_f64_e32 v[10:11], 0, v[10:11]
	s_delay_alu instid0(VALU_DEP_1) | instskip(SKIP_3) | instid1(VALU_DEP_1)
	v_add_f64_e32 v[90:91], v[10:11], v[12:13]
	ds_load_2addr_b64 v[10:13], v67 offset0:64 offset1:96
	s_wait_dscnt 0x0
	v_add_f64_e32 v[10:11], v[90:91], v[10:11]
	v_add_f64_e32 v[90:91], v[10:11], v[12:13]
	ds_load_2addr_b64 v[10:13], v67 offset0:128 offset1:160
	s_wait_dscnt 0x0
	v_add_f64_e32 v[10:11], v[90:91], v[10:11]
	s_delay_alu instid0(VALU_DEP_1) | instskip(SKIP_3) | instid1(VALU_DEP_1)
	v_add_f64_e32 v[90:91], v[10:11], v[12:13]
	ds_load_2addr_b64 v[10:13], v67 offset0:192 offset1:224
	s_wait_dscnt 0x0
	v_add_f64_e32 v[10:11], v[90:91], v[10:11]
	v_add_f64_e32 v[90:91], v[10:11], v[12:13]
	ds_load_2addr_b64 v[10:13], v1 offset1:32
	s_wait_dscnt 0x0
	v_add_f64_e32 v[10:11], v[90:91], v[10:11]
	s_delay_alu instid0(VALU_DEP_1) | instskip(SKIP_3) | instid1(VALU_DEP_1)
	v_add_f64_e32 v[90:91], v[10:11], v[12:13]
	ds_load_2addr_b64 v[10:13], v1 offset0:64 offset1:96
	s_wait_dscnt 0x0
	v_add_f64_e32 v[10:11], v[90:91], v[10:11]
	v_add_f64_e32 v[90:91], v[10:11], v[12:13]
	ds_load_2addr_b64 v[10:13], v1 offset0:128 offset1:160
	s_wait_dscnt 0x0
	v_add_f64_e32 v[10:11], v[90:91], v[10:11]
	s_delay_alu instid0(VALU_DEP_1) | instskip(SKIP_3) | instid1(VALU_DEP_1)
	v_add_f64_e32 v[90:91], v[10:11], v[12:13]
	ds_load_2addr_b64 v[10:13], v1 offset0:192 offset1:224
	s_wait_dscnt 0x0
	v_add_f64_e32 v[10:11], v[90:91], v[10:11]
	v_add_f64_e32 v[10:11], v[10:11], v[12:13]
	v_lshl_add_u64 v[12:13], v[24:25], 3, v[44:45]
	v_add_nc_u64_e32 v[44:45], s[38:39], v[44:45]
	s_delay_alu instid0(VALU_DEP_3)
	v_mul_f64_e32 v[10:11], v[36:37], v[10:11]
	flat_atomic_add_f64 v[12:13], v[10:11] scope:SCOPE_DEV
.LBB159_49:                             ;   in Loop: Header=BB159_27 Depth=2
	s_wait_xcnt 0x0
	s_or_b32 exec_lo, exec_lo, s54
	v_fmac_f64_e32 v[40:41], v[52:53], v[2:3]
	v_fmac_f64_e32 v[42:43], v[52:53], v[4:5]
	v_add_nc_u64_e32 v[58:59], 0x100, v[58:59]
	v_add_nc_u64_e32 v[60:61], 0x100, v[60:61]
	;; [unrolled: 1-line block ×4, first 2 shown]
	s_add_co_i32 s22, s22, -1
	s_delay_alu instid0(SALU_CYCLE_1)
	s_cmp_eq_u32 s22, 0
	v_fmac_f64_e32 v[40:41], v[64:65], v[50:51]
	v_fmac_f64_e32 v[42:43], v[64:65], v[48:49]
	s_cbranch_scc1 .LBB159_61
; %bb.50:                               ;   in Loop: Header=BB159_27 Depth=2
	v_mov_b64_e32 v[2:3], v[6:7]
	v_mov_b64_e32 v[52:53], v[62:63]
	;; [unrolled: 1-line block ×5, first 2 shown]
	s_branch .LBB159_27
.LBB159_51:                             ;   in Loop: Header=BB159_3 Depth=1
	s_delay_alu instid0(VALU_DEP_1) | instskip(NEXT) | instid1(VALU_DEP_1)
	v_lshl_add_u64 v[2:3], v[16:17], 3, v[10:11]
	v_lshl_add_u64 v[4:5], s[24:25], 3, v[2:3]
	s_clause 0x1
	flat_load_b64 v[2:3], v[2:3]
	flat_load_b64 v[4:5], v[4:5]
	s_cbranch_execnz .LBB159_24
.LBB159_52:                             ;   in Loop: Header=BB159_3 Depth=1
                                        ; implicit-def: $vgpr2_vgpr3_vgpr4_vgpr5
	s_wait_xcnt 0x0
	s_and_saveexec_b32 s54, s2
	s_delay_alu instid0(SALU_CYCLE_1)
	s_xor_b32 s54, exec_lo, s54
	s_cbranch_execz .LBB159_56
; %bb.53:                               ;   in Loop: Header=BB159_3 Depth=1
	s_wait_loadcnt_dscnt 0x101
	v_dual_mov_b32 v1, v0 :: v_dual_mov_b32 v2, v0
	v_mov_b32_e32 v3, v0
	s_wait_loadcnt_dscnt 0x0
	s_delay_alu instid0(VALU_DEP_1) | instskip(NEXT) | instid1(VALU_DEP_3)
	v_mov_b64_e32 v[4:5], v[2:3]
	v_mov_b64_e32 v[2:3], v[0:1]
	s_and_saveexec_b32 s55, s3
	s_cbranch_execz .LBB159_55
; %bb.54:                               ;   in Loop: Header=BB159_3 Depth=1
	v_lshl_add_u64 v[2:3], v[16:17], 3, v[10:11]
	v_dual_mov_b32 v4, v0 :: v_dual_mov_b32 v5, v0
	flat_load_b64 v[2:3], v[2:3]
.LBB159_55:                             ;   in Loop: Header=BB159_3 Depth=1
	s_wait_xcnt 0x0
	s_or_b32 exec_lo, exec_lo, s55
.LBB159_56:                             ;   in Loop: Header=BB159_3 Depth=1
	s_and_not1_saveexec_b32 s54, s54
	s_cbranch_execz .LBB159_58
; %bb.57:                               ;   in Loop: Header=BB159_3 Depth=1
	s_wait_loadcnt_dscnt 0x0
	v_lshl_add_u64 v[2:3], v[16:17], 3, v[10:11]
	s_delay_alu instid0(VALU_DEP_1)
	v_lshl_add_u64 v[4:5], s[24:25], 3, v[2:3]
	s_clause 0x1
	flat_load_b64 v[2:3], v[2:3]
	flat_load_b64 v[4:5], v[4:5]
.LBB159_58:                             ;   in Loop: Header=BB159_3 Depth=1
	s_wait_xcnt 0x0
	s_or_b32 exec_lo, exec_lo, s54
	s_cmp_lt_i32 s22, 1
	s_add_nc_u64 s[48:49], s[48:49], s[16:17]
	s_cbranch_scc0 .LBB159_25
.LBB159_59:                             ;   in Loop: Header=BB159_3 Depth=1
	v_mov_b64_e32 v[42:43], 0
	v_mov_b64_e32 v[40:41], 0
	s_branch .LBB159_75
.LBB159_60:                             ;   in Loop: Header=BB159_3 Depth=1
	s_wait_loadcnt_dscnt 0x101
	s_wait_xcnt 0x0
	v_mov_b64_e32 v[8:9], v[4:5]
	v_mov_b64_e32 v[44:45], s[54:55]
	;; [unrolled: 1-line block ×6, first 2 shown]
	s_wait_loadcnt_dscnt 0x0
	v_mov_b64_e32 v[62:63], v[52:53]
	s_branch .LBB159_62
.LBB159_61:                             ;   in Loop: Header=BB159_3 Depth=1
	s_delay_alu instid0(VALU_DEP_3)
	v_add_nc_u64_e32 v[12:13], s[52:53], v[38:39]
	v_add_nc_u64_e32 v[10:11], s[50:51], v[46:47]
.LBB159_62:                             ;   in Loop: Header=BB159_3 Depth=1
	s_delay_alu instid0(VALU_DEP_2)
	v_lshl_add_u64 v[2:3], v[22:23], 3, v[12:13]
	v_cmp_ne_u32_e32 vcc_lo, 1, v15
	s_mov_b32 s22, -1
                                        ; implicit-def: $vgpr4_vgpr5
                                        ; implicit-def: $vgpr12_vgpr13
	flat_load_b64 v[2:3], v[2:3]
	s_cbranch_vccnz .LBB159_64
; %bb.63:                               ;   in Loop: Header=BB159_3 Depth=1
	v_lshl_add_u64 v[38:39], v[16:17], 3, v[10:11]
	s_mov_b32 s22, 0
	s_delay_alu instid0(VALU_DEP_1)
	v_lshl_add_u64 v[46:47], s[24:25], 3, v[38:39]
	s_clause 0x1
	flat_load_b64 v[12:13], v[38:39] offset:128
	flat_load_b64 v[4:5], v[46:47] offset:128
.LBB159_64:                             ;   in Loop: Header=BB159_3 Depth=1
	s_and_not1_b32 vcc_lo, exec_lo, s22
	s_cbranch_vccnz .LBB159_72
; %bb.65:                               ;   in Loop: Header=BB159_3 Depth=1
	s_wait_xcnt 0x0
	s_and_saveexec_b32 s22, s2
	s_delay_alu instid0(SALU_CYCLE_1)
	s_xor_b32 s22, exec_lo, s22
	s_cbranch_execz .LBB159_69
; %bb.66:                               ;   in Loop: Header=BB159_3 Depth=1
	s_and_saveexec_b32 s50, s3
	s_cbranch_execz .LBB159_68
; %bb.67:                               ;   in Loop: Header=BB159_3 Depth=1
	s_wait_loadcnt_dscnt 0x0
	v_lshl_add_u64 v[4:5], v[16:17], 3, v[10:11]
	flat_load_b64 v[50:51], v[4:5] offset:128
.LBB159_68:                             ;   in Loop: Header=BB159_3 Depth=1
	s_wait_xcnt 0x0
	s_or_b32 exec_lo, exec_lo, s50
                                        ; implicit-def: $vgpr10_vgpr11
.LBB159_69:                             ;   in Loop: Header=BB159_3 Depth=1
	s_and_not1_saveexec_b32 s22, s22
	s_cbranch_execz .LBB159_71
; %bb.70:                               ;   in Loop: Header=BB159_3 Depth=1
	s_wait_loadcnt_dscnt 0x0
	v_lshl_add_u64 v[4:5], v[16:17], 3, v[10:11]
	s_delay_alu instid0(VALU_DEP_1)
	v_lshl_add_u64 v[10:11], s[24:25], 3, v[4:5]
	s_clause 0x1
	flat_load_b64 v[50:51], v[4:5] offset:128
	flat_load_b64 v[48:49], v[10:11] offset:128
.LBB159_71:                             ;   in Loop: Header=BB159_3 Depth=1
	s_wait_xcnt 0x0
	s_or_b32 exec_lo, exec_lo, s22
	s_wait_loadcnt_dscnt 0x0
	v_mov_b64_e32 v[12:13], v[50:51]
	v_mov_b64_e32 v[4:5], v[48:49]
.LBB159_72:                             ;   in Loop: Header=BB159_3 Depth=1
	s_wait_xcnt 0x0
	ds_load_b128 v[46:49], v72
	v_add_nc_u32_e32 v1, v14, v68
	s_wait_storecnt 0x0
	s_wait_loadcnt_dscnt 0x0
	s_barrier_signal -1
	s_barrier_wait -1
	v_fma_f64 v[10:11], v[6:7], v[46:47], 0
	v_fma_f64 v[38:39], v[12:13], v[46:47], 0
	s_delay_alu instid0(VALU_DEP_2) | instskip(NEXT) | instid1(VALU_DEP_2)
	v_fmac_f64_e32 v[10:11], v[8:9], v[48:49]
	v_fmac_f64_e32 v[38:39], v[4:5], v[48:49]
	ds_store_2addr_b64 v1, v[10:11], v[38:39] offset1:16
	s_wait_dscnt 0x0
	s_barrier_signal -1
	s_barrier_wait -1
	s_and_saveexec_b32 s22, s0
	s_cbranch_execz .LBB159_74
; %bb.73:                               ;   in Loop: Header=BB159_3 Depth=1
	ds_load_2addr_b64 v[46:49], v67 offset1:32
	v_add_nc_u32_e32 v1, 0x800, v67
	v_lshl_add_u64 v[38:39], v[24:25], 3, v[44:45]
	s_wait_dscnt 0x0
	v_add_f64_e32 v[10:11], 0, v[46:47]
	s_delay_alu instid0(VALU_DEP_1) | instskip(SKIP_3) | instid1(VALU_DEP_1)
	v_add_f64_e32 v[10:11], v[10:11], v[48:49]
	ds_load_2addr_b64 v[46:49], v67 offset0:64 offset1:96
	s_wait_dscnt 0x0
	v_add_f64_e32 v[10:11], v[10:11], v[46:47]
	v_add_f64_e32 v[10:11], v[10:11], v[48:49]
	ds_load_2addr_b64 v[46:49], v67 offset0:128 offset1:160
	s_wait_dscnt 0x0
	v_add_f64_e32 v[10:11], v[10:11], v[46:47]
	s_delay_alu instid0(VALU_DEP_1) | instskip(SKIP_3) | instid1(VALU_DEP_1)
	v_add_f64_e32 v[10:11], v[10:11], v[48:49]
	ds_load_2addr_b64 v[46:49], v67 offset0:192 offset1:224
	s_wait_dscnt 0x0
	v_add_f64_e32 v[10:11], v[10:11], v[46:47]
	v_add_f64_e32 v[10:11], v[10:11], v[48:49]
	ds_load_2addr_b64 v[46:49], v1 offset1:32
	s_wait_dscnt 0x0
	v_add_f64_e32 v[10:11], v[10:11], v[46:47]
	s_delay_alu instid0(VALU_DEP_1) | instskip(SKIP_3) | instid1(VALU_DEP_1)
	v_add_f64_e32 v[10:11], v[10:11], v[48:49]
	ds_load_2addr_b64 v[46:49], v1 offset0:64 offset1:96
	s_wait_dscnt 0x0
	v_add_f64_e32 v[10:11], v[10:11], v[46:47]
	v_add_f64_e32 v[10:11], v[10:11], v[48:49]
	ds_load_2addr_b64 v[46:49], v1 offset0:128 offset1:160
	s_wait_dscnt 0x0
	v_add_f64_e32 v[10:11], v[10:11], v[46:47]
	s_delay_alu instid0(VALU_DEP_1) | instskip(SKIP_3) | instid1(VALU_DEP_1)
	v_add_f64_e32 v[10:11], v[10:11], v[48:49]
	ds_load_2addr_b64 v[46:49], v1 offset0:192 offset1:224
	s_wait_dscnt 0x0
	v_add_f64_e32 v[10:11], v[10:11], v[46:47]
	v_add_f64_e32 v[10:11], v[10:11], v[48:49]
	s_delay_alu instid0(VALU_DEP_1)
	v_mul_f64_e32 v[10:11], v[36:37], v[10:11]
	flat_atomic_add_f64 v[38:39], v[10:11] scope:SCOPE_DEV
.LBB159_74:                             ;   in Loop: Header=BB159_3 Depth=1
	s_wait_xcnt 0x0
	s_or_b32 exec_lo, exec_lo, s22
	v_fmac_f64_e32 v[40:41], v[62:63], v[6:7]
	v_fmac_f64_e32 v[42:43], v[62:63], v[8:9]
	s_delay_alu instid0(VALU_DEP_2) | instskip(NEXT) | instid1(VALU_DEP_2)
	v_fmac_f64_e32 v[40:41], v[2:3], v[12:13]
	v_fmac_f64_e32 v[42:43], v[2:3], v[4:5]
.LBB159_75:                             ;   in Loop: Header=BB159_3 Depth=1
	s_cmp_lt_u32 s34, s20
	ds_store_2addr_b64 v71, v[40:41], v[42:43] offset1:16
	s_cselect_b32 s20, -1, 0
	s_wait_storecnt 0x0
	s_wait_loadcnt_dscnt 0x0
	s_or_b32 s20, s1, s20
	s_barrier_signal -1
	s_and_b32 s20, s0, s20
	s_barrier_wait -1
	s_wait_xcnt 0x0
	s_and_b32 exec_lo, exec_lo, s20
	s_cbranch_execz .LBB159_2
; %bb.76:                               ;   in Loop: Header=BB159_3 Depth=1
	ds_load_b64 v[2:3], v73
	ds_load_b64 v[4:5], v74
	;; [unrolled: 1-line block ×4, first 2 shown]
	s_add_nc_u64 s[48:49], s[48:49], s[46:47]
	s_wait_dscnt 0x3
	v_add_f64_e32 v[2:3], 0, v[2:3]
	s_wait_dscnt 0x2
	s_delay_alu instid0(VALU_DEP_1) | instskip(SKIP_1) | instid1(VALU_DEP_1)
	v_add_f64_e32 v[2:3], v[2:3], v[4:5]
	s_wait_dscnt 0x1
	v_add_f64_e32 v[2:3], v[2:3], v[6:7]
	s_wait_dscnt 0x0
	s_delay_alu instid0(VALU_DEP_1)
	v_add_f64_e32 v[2:3], v[2:3], v[8:9]
	ds_load_b64 v[4:5], v77
	ds_load_b64 v[6:7], v78
	ds_load_b64 v[8:9], v79
	ds_load_b64 v[10:11], v80
	s_wait_dscnt 0x3
	v_add_f64_e32 v[2:3], v[2:3], v[4:5]
	s_wait_dscnt 0x2
	s_delay_alu instid0(VALU_DEP_1) | instskip(SKIP_1) | instid1(VALU_DEP_1)
	v_add_f64_e32 v[2:3], v[2:3], v[6:7]
	s_wait_dscnt 0x1
	v_add_f64_e32 v[2:3], v[2:3], v[8:9]
	s_wait_dscnt 0x0
	s_delay_alu instid0(VALU_DEP_1)
	v_add_f64_e32 v[2:3], v[2:3], v[10:11]
	ds_load_b64 v[4:5], v81
	ds_load_b64 v[6:7], v82
	ds_load_b64 v[8:9], v83
	ds_load_b64 v[10:11], v84
	;; [unrolled: 14-line block ×3, first 2 shown]
	s_wait_dscnt 0x3
	v_add_f64_e32 v[2:3], v[2:3], v[4:5]
	v_lshl_add_u64 v[4:5], v[24:25], 3, s[48:49]
	s_wait_dscnt 0x2
	s_delay_alu instid0(VALU_DEP_2) | instskip(SKIP_1) | instid1(VALU_DEP_1)
	v_add_f64_e32 v[2:3], v[2:3], v[6:7]
	s_wait_dscnt 0x1
	v_add_f64_e32 v[2:3], v[2:3], v[8:9]
	s_wait_dscnt 0x0
	s_delay_alu instid0(VALU_DEP_1) | instskip(NEXT) | instid1(VALU_DEP_1)
	v_add_f64_e32 v[2:3], v[2:3], v[10:11]
	v_mul_f64_e32 v[2:3], v[36:37], v[2:3]
	flat_atomic_add_f64 v[4:5], v[2:3] scope:SCOPE_DEV
	s_branch .LBB159_2
.LBB159_77:
	s_sendmsg sendmsg(MSG_DEALLOC_VGPRS)
	s_endpgm
	.section	.rodata,"a",@progbits
	.p2align	6, 0x0
	.amdhsa_kernel _ZL62rocblas_symv_kernel_upper_double_buffered_non_diagonal_genericILi32ELi8ELi2ELi1E24rocblas_internal_val_ptrIdEPKPKdPKPdEvbiT3_lT4_lllSA_lllT5_lllii
		.amdhsa_group_segment_fixed_size 10496
		.amdhsa_private_segment_fixed_size 0
		.amdhsa_kernarg_size 384
		.amdhsa_user_sgpr_count 4
		.amdhsa_user_sgpr_dispatch_ptr 1
		.amdhsa_user_sgpr_queue_ptr 0
		.amdhsa_user_sgpr_kernarg_segment_ptr 1
		.amdhsa_user_sgpr_dispatch_id 0
		.amdhsa_user_sgpr_kernarg_preload_length 0
		.amdhsa_user_sgpr_kernarg_preload_offset 0
		.amdhsa_user_sgpr_private_segment_size 0
		.amdhsa_wavefront_size32 1
		.amdhsa_uses_dynamic_stack 0
		.amdhsa_enable_private_segment 0
		.amdhsa_system_sgpr_workgroup_id_x 1
		.amdhsa_system_sgpr_workgroup_id_y 1
		.amdhsa_system_sgpr_workgroup_id_z 1
		.amdhsa_system_sgpr_workgroup_info 0
		.amdhsa_system_vgpr_workitem_id 2
		.amdhsa_next_free_vgpr 92
		.amdhsa_next_free_sgpr 59
		.amdhsa_named_barrier_count 0
		.amdhsa_reserve_vcc 1
		.amdhsa_float_round_mode_32 0
		.amdhsa_float_round_mode_16_64 0
		.amdhsa_float_denorm_mode_32 3
		.amdhsa_float_denorm_mode_16_64 3
		.amdhsa_fp16_overflow 0
		.amdhsa_memory_ordered 1
		.amdhsa_forward_progress 1
		.amdhsa_inst_pref_size 30
		.amdhsa_round_robin_scheduling 0
		.amdhsa_exception_fp_ieee_invalid_op 0
		.amdhsa_exception_fp_denorm_src 0
		.amdhsa_exception_fp_ieee_div_zero 0
		.amdhsa_exception_fp_ieee_overflow 0
		.amdhsa_exception_fp_ieee_underflow 0
		.amdhsa_exception_fp_ieee_inexact 0
		.amdhsa_exception_int_div_zero 0
	.end_amdhsa_kernel
	.section	.text._ZL62rocblas_symv_kernel_upper_double_buffered_non_diagonal_genericILi32ELi8ELi2ELi1E24rocblas_internal_val_ptrIdEPKPKdPKPdEvbiT3_lT4_lllSA_lllT5_lllii,"axG",@progbits,_ZL62rocblas_symv_kernel_upper_double_buffered_non_diagonal_genericILi32ELi8ELi2ELi1E24rocblas_internal_val_ptrIdEPKPKdPKPdEvbiT3_lT4_lllSA_lllT5_lllii,comdat
.Lfunc_end159:
	.size	_ZL62rocblas_symv_kernel_upper_double_buffered_non_diagonal_genericILi32ELi8ELi2ELi1E24rocblas_internal_val_ptrIdEPKPKdPKPdEvbiT3_lT4_lllSA_lllT5_lllii, .Lfunc_end159-_ZL62rocblas_symv_kernel_upper_double_buffered_non_diagonal_genericILi32ELi8ELi2ELi1E24rocblas_internal_val_ptrIdEPKPKdPKPdEvbiT3_lT4_lllSA_lllT5_lllii
                                        ; -- End function
	.set _ZL62rocblas_symv_kernel_upper_double_buffered_non_diagonal_genericILi32ELi8ELi2ELi1E24rocblas_internal_val_ptrIdEPKPKdPKPdEvbiT3_lT4_lllSA_lllT5_lllii.num_vgpr, 92
	.set _ZL62rocblas_symv_kernel_upper_double_buffered_non_diagonal_genericILi32ELi8ELi2ELi1E24rocblas_internal_val_ptrIdEPKPKdPKPdEvbiT3_lT4_lllSA_lllT5_lllii.num_agpr, 0
	.set _ZL62rocblas_symv_kernel_upper_double_buffered_non_diagonal_genericILi32ELi8ELi2ELi1E24rocblas_internal_val_ptrIdEPKPKdPKPdEvbiT3_lT4_lllSA_lllT5_lllii.numbered_sgpr, 59
	.set _ZL62rocblas_symv_kernel_upper_double_buffered_non_diagonal_genericILi32ELi8ELi2ELi1E24rocblas_internal_val_ptrIdEPKPKdPKPdEvbiT3_lT4_lllSA_lllT5_lllii.num_named_barrier, 0
	.set _ZL62rocblas_symv_kernel_upper_double_buffered_non_diagonal_genericILi32ELi8ELi2ELi1E24rocblas_internal_val_ptrIdEPKPKdPKPdEvbiT3_lT4_lllSA_lllT5_lllii.private_seg_size, 0
	.set _ZL62rocblas_symv_kernel_upper_double_buffered_non_diagonal_genericILi32ELi8ELi2ELi1E24rocblas_internal_val_ptrIdEPKPKdPKPdEvbiT3_lT4_lllSA_lllT5_lllii.uses_vcc, 1
	.set _ZL62rocblas_symv_kernel_upper_double_buffered_non_diagonal_genericILi32ELi8ELi2ELi1E24rocblas_internal_val_ptrIdEPKPKdPKPdEvbiT3_lT4_lllSA_lllT5_lllii.uses_flat_scratch, 1
	.set _ZL62rocblas_symv_kernel_upper_double_buffered_non_diagonal_genericILi32ELi8ELi2ELi1E24rocblas_internal_val_ptrIdEPKPKdPKPdEvbiT3_lT4_lllSA_lllT5_lllii.has_dyn_sized_stack, 0
	.set _ZL62rocblas_symv_kernel_upper_double_buffered_non_diagonal_genericILi32ELi8ELi2ELi1E24rocblas_internal_val_ptrIdEPKPKdPKPdEvbiT3_lT4_lllSA_lllT5_lllii.has_recursion, 0
	.set _ZL62rocblas_symv_kernel_upper_double_buffered_non_diagonal_genericILi32ELi8ELi2ELi1E24rocblas_internal_val_ptrIdEPKPKdPKPdEvbiT3_lT4_lllSA_lllT5_lllii.has_indirect_call, 0
	.section	.AMDGPU.csdata,"",@progbits
; Kernel info:
; codeLenInByte = 3804
; TotalNumSgprs: 61
; NumVgprs: 92
; ScratchSize: 0
; MemoryBound: 1
; FloatMode: 240
; IeeeMode: 1
; LDSByteSize: 10496 bytes/workgroup (compile time only)
; SGPRBlocks: 0
; VGPRBlocks: 5
; NumSGPRsForWavesPerEU: 61
; NumVGPRsForWavesPerEU: 92
; NamedBarCnt: 0
; Occupancy: 10
; WaveLimiterHint : 1
; COMPUTE_PGM_RSRC2:SCRATCH_EN: 0
; COMPUTE_PGM_RSRC2:USER_SGPR: 4
; COMPUTE_PGM_RSRC2:TRAP_HANDLER: 0
; COMPUTE_PGM_RSRC2:TGID_X_EN: 1
; COMPUTE_PGM_RSRC2:TGID_Y_EN: 1
; COMPUTE_PGM_RSRC2:TGID_Z_EN: 1
; COMPUTE_PGM_RSRC2:TIDIG_COMP_CNT: 2
	.section	.text._ZL26rocblas_hemvn_kernel_upperILb0ELi64ELi4ELi33ELi32ELi16ElPKdPKS1_PdEviT6_lT7_lT5_lS6_lS7_lS5_lT8_i,"axG",@progbits,_ZL26rocblas_hemvn_kernel_upperILb0ELi64ELi4ELi33ELi32ELi16ElPKdPKS1_PdEviT6_lT7_lT5_lS6_lS7_lS5_lT8_i,comdat
	.globl	_ZL26rocblas_hemvn_kernel_upperILb0ELi64ELi4ELi33ELi32ELi16ElPKdPKS1_PdEviT6_lT7_lT5_lS6_lS7_lS5_lT8_i ; -- Begin function _ZL26rocblas_hemvn_kernel_upperILb0ELi64ELi4ELi33ELi32ELi16ElPKdPKS1_PdEviT6_lT7_lT5_lS6_lS7_lS5_lT8_i
	.p2align	8
	.type	_ZL26rocblas_hemvn_kernel_upperILb0ELi64ELi4ELi33ELi32ELi16ElPKdPKS1_PdEviT6_lT7_lT5_lS6_lS7_lS5_lT8_i,@function
_ZL26rocblas_hemvn_kernel_upperILb0ELi64ELi4ELi33ELi32ELi16ElPKdPKS1_PdEviT6_lT7_lT5_lS6_lS7_lS5_lT8_i: ; @_ZL26rocblas_hemvn_kernel_upperILb0ELi64ELi4ELi33ELi32ELi16ElPKdPKS1_PdEviT6_lT7_lT5_lS6_lS7_lS5_lT8_i
; %bb.0:
	s_clause 0x1
	s_load_b64 s[2:3], s[0:1], 0x84
	s_load_b32 s33, s[0:1], 0x70
	s_bfe_u32 s4, ttmp6, 0x40014
	s_lshr_b32 s5, ttmp7, 16
	s_add_co_i32 s4, s4, 1
	s_bfe_u32 s6, ttmp6, 0x40008
	s_mul_i32 s7, s5, s4
	s_getreg_b32 s4, hwreg(HW_REG_IB_STS2, 6, 4)
	s_add_co_i32 s6, s6, s7
	s_mov_b32 s35, 0
	s_wait_kmcnt 0x0
	s_lshr_b32 s7, s2, 16
	s_and_b32 s2, s2, 0xffff
	s_and_b32 s3, s3, 0xffff
	s_mul_i32 s2, s7, s2
	s_cmp_eq_u32 s4, 0
	s_mul_i32 s2, s2, s3
	s_cselect_b32 s34, s5, s6
	s_cmp_lg_u32 s2, 0x100
	s_cselect_b32 s2, -1, 0
	s_cmp_ge_u32 s34, s33
	s_cselect_b32 s3, -1, 0
	s_delay_alu instid0(SALU_CYCLE_1) | instskip(NEXT) | instid1(SALU_CYCLE_1)
	s_or_b32 s2, s2, s3
	s_and_b32 vcc_lo, exec_lo, s2
	s_cbranch_vccnz .LBB160_131
; %bb.1:
	s_load_b32 s2, s[0:1], 0x0
	v_and_b32_e32 v170, 0x3ff, v0
	v_bfe_u32 v1, v0, 10, 10
	s_add_nc_u64 s[6:7], s[0:1], 0x78
	s_clause 0x2
	s_load_b256 s[20:27], s[0:1], 0x8
	s_load_b64 s[18:19], s[0:1], 0x28
	s_load_b128 s[28:31], s[0:1], 0x38
	s_load_b32 s40, s[6:7], 0x0
	s_clause 0x2
	s_load_b64 s[8:9], s[0:1], 0x68
	s_load_b64 s[42:43], s[0:1], 0x48
	s_load_b128 s[36:39], s[0:1], 0x58
	v_dual_mov_b32 v59, 0 :: v_dual_bitop2_b32 v56, 31, v0 bitop3:0x40
	v_lshl_add_u32 v36, v1, 6, v170
	s_wait_xcnt 0x0
	s_bfe_u32 s1, ttmp6, 0x4000c
	s_and_b32 s0, ttmp6, 15
	s_add_co_i32 s1, s1, 1
	v_dual_mov_b32 v57, v59 :: v_dual_lshrrev_b32 v37, 5, v36
	s_mul_i32 s1, ttmp9, s1
	v_lshlrev_b32_e32 v38, 3, v56
	s_add_co_i32 s0, s0, s1
	v_and_b32_e32 v6, 0x7fe0, v36
	v_dual_add_nc_u32 v40, 24, v37 :: v_dual_lshlrev_b32 v2, 2, v37
	s_wait_kmcnt 0x0
	v_mad_nc_u64_u32 v[62:63], s18, v37, v[56:57]
	s_ashr_i32 s3, s2, 31
	s_cmp_eq_u32 s4, 0
	v_dual_lshlrev_b32 v58, 5, v1 :: v_dual_bitop2_b32 v3, 1, v2 bitop3:0x54
	s_cselect_b32 s44, ttmp9, s0
	s_lshr_b32 s0, s3, 26
	s_add_co_i32 s1, s40, -1
	s_add_co_i32 s0, s2, s0
	s_lshl_b32 s72, s44, 6
	s_and_not1_b32 s0, s0, 63
	v_cmp_gt_u32_e64 s6, v2, v56
	s_sub_co_i32 s76, s2, s0
	s_cmp_eq_u32 s44, s1
	v_cmp_ge_u32_e64 s7, v2, v56
	v_mul_u32_u24_e32 v42, 0x108, v3
	v_dual_lshlrev_b32 v176, 2, v1 :: v_dual_bitop2_b32 v7, 2, v2 bitop3:0x54
	v_or_b32_e32 v8, 3, v2
	v_add_nc_u64_e32 v[2:3], 0x110, v[58:59]
	s_cselect_b32 s46, s76, 0
	v_add_nc_u32_e32 v35, 16, v37
	s_cmp_lg_u32 s46, 0
	v_lshl_or_b32 v171, v56, 8, v38
	s_cselect_b32 s77, -1, 0
	s_cmp_eq_u32 s46, 0
	v_add_nc_u64_e32 v[4:5], 0x118, v[58:59]
	s_cselect_b32 s1, -1, 0
	s_ashr_i32 s45, s44, 31
	v_mul_u64_e32 v[2:3], s[18:19], v[2:3]
	v_dual_add_nc_u32 v60, s72, v170 :: v_dual_lshlrev_b32 v64, 3, v170
	v_dual_add_nc_u32 v172, v171, v6 :: v_dual_lshlrev_b32 v43, 3, v37
	v_mul_u32_u24_e32 v9, 33, v56
	s_mul_u64 s[4:5], s[2:3], s[44:45]
	s_mov_b32 s41, s35
	s_lshl_b64 s[4:5], s[4:5], 3
	s_sub_co_i32 s15, s46, 32
	v_mul_u64_e32 v[4:5], s[18:19], v[4:5]
	v_dual_ashrrev_i32 v61, 31, v60 :: v_dual_add_nc_u32 v34, 8, v37
	s_mul_u64 s[48:49], s[40:41], s[2:3]
	s_add_nc_u64 s[50:51], s[8:9], s[4:5]
	v_mad_u32 v63, s19, v37, v63
	v_cmp_gt_i32_e64 s2, s46, v37
	v_mul_u32_u24_e32 v39, 0x108, v37
	v_mul_u32_u24_e32 v41, 0x420, v37
	v_cmp_gt_u32_e64 s8, v7, v56
	v_add_nc_u32_e32 v173, 0x2380, v6
	v_lshl_add_u32 v174, v9, 3, v43
	v_add_nc_u64_e32 v[6:7], 0x108, v[58:59]
	v_add_nc_u64_e32 v[10:11], 0x190, v[58:59]
	;; [unrolled: 1-line block ×13, first 2 shown]
	v_cmp_gt_i32_e64 s12, s15, v37
	v_cmp_eq_u32_e64 s16, 1, v37
	v_mul_i32_i24_e32 v175, 0xffffffe8, v37
	v_lshrrev_b32_e32 v37, 4, v36
	v_cmp_gt_u32_e64 s9, v8, v56
	v_add_nc_u64_e32 v[8:9], 0x100, v[58:59]
	v_mul_u64_e32 v[6:7], s[18:19], v[6:7]
	v_mul_u64_e32 v[10:11], s[18:19], v[10:11]
	;; [unrolled: 1-line block ×15, first 2 shown]
	v_cmp_gt_i32_e64 s3, s46, v34
	v_cmp_gt_i32_e64 s4, s46, v35
	;; [unrolled: 1-line block ×4, first 2 shown]
	v_lshlrev_b64_e32 v[34:35], 3, v[62:63]
	v_dual_add_nc_u32 v182, v38, v39 :: v_dual_bitop2_b32 v44, 32, v56 bitop3:0x54
	v_cmp_gt_i32_e32 vcc_lo, s46, v170
	v_cmp_eq_u32_e64 s0, 0, v1
	s_add_co_i32 s17, s44, 1
	v_sub_nc_u64_e32 v[100:101], 0, v[56:57]
	v_sub_nc_u64_e32 v[66:67], v[2:3], v[34:35]
	v_and_b32_e32 v2, 48, v0
	v_sub_nc_u64_e32 v[68:69], v[4:5], v[34:35]
	v_dual_lshlrev_b32 v3, 5, v37 :: v_dual_bitop2_b32 v0, 15, v0 bitop3:0x40
	v_or_b32_e32 v4, 0x78, v64
	s_delay_alu instid0(VALU_DEP_4)
	v_lshlrev_b32_e32 v2, 3, v2
	v_sub_nc_u64_e32 v[70:71], v[6:7], v[34:35]
	v_sub_nc_u64_e32 v[74:75], v[10:11], v[34:35]
	v_mad_u32_u24 v177, 0x218, v0, v3
	v_mad_u32_u24 v179, 0x218, v0, v4
	;; [unrolled: 1-line block ×3, first 2 shown]
	v_mul_i32_i24_e32 v0, 0xffffffe8, v37
	v_sub_nc_u64_e32 v[72:73], v[8:9], v[34:35]
	v_sub_nc_u64_e32 v[76:77], v[12:13], v[34:35]
	;; [unrolled: 1-line block ×12, first 2 shown]
	s_or_b32 s78, s1, vcc_lo
	s_ashr_i32 s73, s72, 31
	s_ashr_i32 s47, s46, 31
	s_lshl_b64 s[54:55], s[18:19], 6
	s_lshl_b64 s[56:57], s[18:19], 7
	;; [unrolled: 1-line block ×3, first 2 shown]
	v_cmp_gt_i32_e64 s1, s46, v56
	v_cmp_gt_i32_e64 s5, s46, v40
	v_cmp_gt_u32_e64 s10, 32, v36
	v_cmp_gt_i32_e64 s11, s46, v44
	v_cmp_gt_i32_e64 s15, s15, v40
	s_cmp_lt_u32 s17, s40
	v_cmp_gt_u32_e64 s17, 64, v36
	v_mad_u32_u24 v180, 0x860, v1, v64
	v_mad_u32_u24 v181, 0x218, v1, v64
	v_dual_add_nc_u32 v183, v38, v41 :: v_dual_add_nc_u32 v184, v38, v42
	v_dual_add_nc_u32 v185, v171, v43 :: v_dual_add_nc_u32 v187, v177, v0
	v_dual_mov_b32 v65, v59 :: v_dual_add_nc_u32 v186, 0x2380, v43
	v_add_nc_u32_e32 v188, 0x2380, v64
	v_add_nc_u32_e32 v189, 0x2180, v64
	v_add_nc_u32_e32 v190, 0x2180, v58
	v_dual_add_nc_u32 v194, 16, v176 :: v_dual_bitop2_b32 v191, 1, v176 bitop3:0x54
	v_dual_add_nc_u32 v195, 17, v176 :: v_dual_bitop2_b32 v192, 2, v176 bitop3:0x54
	;; [unrolled: 1-line block ×3, first 2 shown]
	v_dual_add_nc_u32 v197, 19, v176 :: v_dual_add_nc_u32 v198, 32, v176
	v_dual_add_nc_u32 v199, 33, v176 :: v_dual_add_nc_u32 v200, 34, v176
	;; [unrolled: 1-line block ×4, first 2 shown]
	v_add_nc_u32_e32 v204, 51, v176
	s_mul_u64 s[62:63], s[42:43], s[72:73]
	s_mul_u64 s[52:53], s[18:19], s[72:73]
	;; [unrolled: 1-line block ×3, first 2 shown]
	s_sub_nc_u64 s[62:63], 0, s[62:63]
	s_cselect_b32 s41, -1, 0
	s_add_co_i32 s45, s40, -2
	s_and_b32 s79, s0, s78
	s_sub_nc_u64 s[64:65], 0, s[46:47]
	s_add_co_i32 s80, s72, 64
	s_lshl_b64 s[66:67], s[18:19], 9
	s_mov_b64 s[68:69], 0xffffffffffffff00
	s_mov_b64 s[70:71], 0xfffffffffffffef8
	s_lshl_b64 s[30:31], s[30:31], 3
	s_lshl_b64 s[26:27], s[26:27], 3
	;; [unrolled: 1-line block ×3, first 2 shown]
	s_branch .LBB160_4
.LBB160_2:                              ;   in Loop: Header=BB160_4 Depth=1
	s_wait_xcnt 0x0
	s_or_b32 exec_lo, exec_lo, s74
.LBB160_3:                              ;   in Loop: Header=BB160_4 Depth=1
	s_add_co_i32 s34, s34, 0x10000
	s_delay_alu instid0(SALU_CYCLE_1)
	s_cmp_lt_u32 s34, s33
	s_cbranch_scc0 .LBB160_131
.LBB160_4:                              ; =>This Loop Header: Depth=1
                                        ;     Child Loop BB160_71 Depth 2
	s_mul_u64 s[18:19], s[22:23], s[34:35]
	s_wait_xcnt 0x0
	s_mul_u64 s[74:75], s[38:39], s[34:35]
	s_lshl_b64 s[18:19], s[18:19], 3
	s_lshl_b64 s[74:75], s[74:75], 3
	s_add_nc_u64 s[18:19], s[20:21], s[18:19]
	s_add_nc_u64 s[74:75], s[36:37], s[74:75]
	s_clause 0x1
	global_load_b64 v[0:1], v59, s[18:19]
	global_load_b64 v[2:3], v59, s[74:75]
	s_wait_loadcnt 0x1
	s_wait_xcnt 0x1
	v_cmp_eq_f64_e64 s18, 0, v[0:1]
	s_wait_loadcnt 0x0
	v_cmp_eq_f64_e32 vcc_lo, 1.0, v[2:3]
	s_and_b32 s19, s18, vcc_lo
	s_delay_alu instid0(SALU_CYCLE_1)
	s_and_b32 vcc_lo, exec_lo, s19
	s_cbranch_vccnz .LBB160_3
; %bb.5:                                ;   in Loop: Header=BB160_4 Depth=1
	s_and_b32 vcc_lo, exec_lo, s18
	s_cbranch_vccz .LBB160_7
; %bb.6:                                ;   in Loop: Header=BB160_4 Depth=1
	s_cbranch_execnz .LBB160_3
	s_branch .LBB160_8
.LBB160_7:                              ;   in Loop: Header=BB160_4 Depth=1
.LBB160_8:                              ;   in Loop: Header=BB160_4 Depth=1
	s_lshl_b64 s[18:19], s[34:35], 3
	s_wait_xcnt 0x0
	s_add_nc_u64 s[74:75], s[28:29], s[18:19]
	s_add_nc_u64 s[18:19], s[24:25], s[18:19]
	s_clause 0x1
	global_load_b64 v[2:3], v59, s[74:75]
	global_load_b64 v[0:1], v59, s[18:19]
	s_wait_loadcnt 0x1
	v_add_nc_u64_e32 v[2:3], s[30:31], v[2:3]
	s_delay_alu instid0(VALU_DEP_1)
	v_lshl_add_u64 v[12:13], v[98:99], 3, v[2:3]
	s_wait_xcnt 0x0
	s_and_saveexec_b32 s18, s0
	s_cbranch_execz .LBB160_12
; %bb.9:                                ;   in Loop: Header=BB160_4 Depth=1
	v_mov_b64_e32 v[2:3], 0
	s_and_saveexec_b32 s19, s78
	s_cbranch_execz .LBB160_11
; %bb.10:                               ;   in Loop: Header=BB160_4 Depth=1
	flat_load_b64 v[2:3], v[12:13]
.LBB160_11:                             ;   in Loop: Header=BB160_4 Depth=1
	s_wait_xcnt 0x0
	s_or_b32 exec_lo, exec_lo, s19
	s_wait_loadcnt_dscnt 0x0
	ds_store_b64 v188, v[2:3]
.LBB160_12:                             ;   in Loop: Header=BB160_4 Depth=1
	s_or_b32 exec_lo, exec_lo, s18
	s_wait_loadcnt 0x0
	v_add_nc_u64_e32 v[0:1], s[26:27], v[0:1]
	s_and_b32 vcc_lo, exec_lo, s77
	s_mov_b32 s18, -1
	s_delay_alu instid0(VALU_DEP_1) | instskip(NEXT) | instid1(VALU_DEP_1)
	v_add_nc_u64_e32 v[0:1], s[72:73], v[0:1]
	v_lshl_add_u64 v[0:1], v[62:63], 3, v[0:1]
	s_delay_alu instid0(VALU_DEP_1)
	v_lshl_add_u64 v[2:3], s[52:53], 3, v[0:1]
                                        ; implicit-def: $vgpr0_vgpr1
	s_cbranch_vccz .LBB160_22
; %bb.13:                               ;   in Loop: Header=BB160_4 Depth=1
	s_delay_alu instid0(VALU_DEP_1) | instskip(SKIP_2) | instid1(VALU_DEP_3)
	v_lshl_add_u64 v[0:1], v[100:101], 3, v[2:3]
	v_mov_b64_e32 v[6:7], 0
	v_mov_b64_e32 v[4:5], 0
	v_lshl_add_u64 v[0:1], s[46:47], 3, v[0:1]
	s_delay_alu instid0(VALU_DEP_1) | instskip(NEXT) | instid1(VALU_DEP_1)
	v_add_nc_u64_e32 v[0:1], -8, v[0:1]
	v_dual_cndmask_b32 v1, v1, v3, s1 :: v_dual_cndmask_b32 v0, v0, v2, s1
	s_and_saveexec_b32 s18, s2
	s_cbranch_execz .LBB160_15
; %bb.14:                               ;   in Loop: Header=BB160_4 Depth=1
	flat_load_b64 v[4:5], v[0:1]
.LBB160_15:                             ;   in Loop: Header=BB160_4 Depth=1
	s_wait_xcnt 0x0
	s_or_b32 exec_lo, exec_lo, s18
	s_wait_loadcnt_dscnt 0x0
	ds_store_b64 v182, v[4:5]
	s_and_saveexec_b32 s18, s3
	s_cbranch_execz .LBB160_17
; %bb.16:                               ;   in Loop: Header=BB160_4 Depth=1
	v_add_nc_u64_e32 v[4:5], s[54:55], v[0:1]
	flat_load_b64 v[6:7], v[4:5]
.LBB160_17:                             ;   in Loop: Header=BB160_4 Depth=1
	s_wait_xcnt 0x0
	s_or_b32 exec_lo, exec_lo, s18
	v_mov_b64_e32 v[4:5], 0
	v_mov_b64_e32 v[8:9], 0
	s_wait_loadcnt_dscnt 0x0
	ds_store_b64 v182, v[6:7] offset:2112
	s_and_saveexec_b32 s18, s4
	s_cbranch_execz .LBB160_19
; %bb.18:                               ;   in Loop: Header=BB160_4 Depth=1
	v_add_nc_u64_e32 v[6:7], s[56:57], v[0:1]
	flat_load_b64 v[8:9], v[6:7]
.LBB160_19:                             ;   in Loop: Header=BB160_4 Depth=1
	s_wait_xcnt 0x0
	s_or_b32 exec_lo, exec_lo, s18
	s_wait_loadcnt_dscnt 0x0
	ds_store_b64 v182, v[8:9] offset:4224
	s_and_saveexec_b32 s18, s5
	s_cbranch_execz .LBB160_21
; %bb.20:                               ;   in Loop: Header=BB160_4 Depth=1
	v_add_nc_u64_e32 v[4:5], s[58:59], v[0:1]
	flat_load_b64 v[4:5], v[4:5]
.LBB160_21:                             ;   in Loop: Header=BB160_4 Depth=1
	s_wait_xcnt 0x0
	s_or_b32 exec_lo, exec_lo, s18
	v_lshlrev_b32_e32 v58, 3, v56
	s_mov_b32 s18, 0
	s_wait_loadcnt_dscnt 0x0
	ds_store_b64 v182, v[4:5] offset:6336
	v_add_nc_u64_e32 v[0:1], v[0:1], v[58:59]
	s_delay_alu instid0(VALU_DEP_1) | instskip(NEXT) | instid1(VALU_DEP_1)
	v_lshl_add_u64 v[0:1], s[64:65], 3, v[0:1]
	v_add_nc_u64_e32 v[0:1], 8, v[0:1]
	s_delay_alu instid0(VALU_DEP_1)
	v_dual_cndmask_b32 v1, v1, v3, s1 :: v_dual_cndmask_b32 v0, v0, v2, s1
.LBB160_22:                             ;   in Loop: Header=BB160_4 Depth=1
	s_and_b32 vcc_lo, exec_lo, s18
	s_cbranch_vccz .LBB160_24
; %bb.23:                               ;   in Loop: Header=BB160_4 Depth=1
	s_delay_alu instid0(VALU_DEP_1) | instskip(NEXT) | instid1(VALU_DEP_1)
	v_add_nc_u64_e32 v[0:1], s[54:55], v[2:3]
	v_add_nc_u64_e32 v[4:5], s[54:55], v[0:1]
	s_delay_alu instid0(VALU_DEP_1)
	v_add_nc_u64_e32 v[6:7], s[54:55], v[4:5]
	s_clause 0x3
	flat_load_b64 v[8:9], v[2:3]
	flat_load_b64 v[10:11], v[0:1]
	;; [unrolled: 1-line block ×4, first 2 shown]
	s_wait_xcnt 0x2
	v_mov_b64_e32 v[0:1], v[2:3]
	s_wait_loadcnt_dscnt 0x303
	ds_store_b64 v182, v[8:9]
	s_wait_loadcnt_dscnt 0x203
	ds_store_b64 v182, v[10:11] offset:2112
	s_wait_loadcnt_dscnt 0x103
	ds_store_b64 v182, v[4:5] offset:4224
	;; [unrolled: 2-line block ×3, first 2 shown]
.LBB160_24:                             ;   in Loop: Header=BB160_4 Depth=1
	s_wait_dscnt 0x0
	s_barrier_signal -1
	s_barrier_wait -1
	s_wait_xcnt 0x0
	s_and_saveexec_b32 s18, s6
	s_cbranch_execnz .LBB160_125
; %bb.25:                               ;   in Loop: Header=BB160_4 Depth=1
	s_or_b32 exec_lo, exec_lo, s18
	s_and_saveexec_b32 s18, s7
	s_cbranch_execnz .LBB160_126
.LBB160_26:                             ;   in Loop: Header=BB160_4 Depth=1
	s_or_b32 exec_lo, exec_lo, s18
	s_and_saveexec_b32 s18, s8
	s_cbranch_execnz .LBB160_127
.LBB160_27:                             ;   in Loop: Header=BB160_4 Depth=1
	s_or_b32 exec_lo, exec_lo, s18
	s_and_saveexec_b32 s18, s9
	s_cbranch_execz .LBB160_29
.LBB160_28:                             ;   in Loop: Header=BB160_4 Depth=1
	ds_load_b64 v[2:3], v184 offset:528
	s_wait_dscnt 0x0
	ds_store_b64 v172, v[2:3] offset:24
.LBB160_29:                             ;   in Loop: Header=BB160_4 Depth=1
	s_or_b32 exec_lo, exec_lo, s18
	s_wait_dscnt 0x0
	s_barrier_signal -1
	s_barrier_wait -1
	ds_load_b64 v[10:11], v183
	ds_load_b128 v[2:5], v173
	ds_load_b128 v[6:9], v173 offset:16
	ds_load_b64 v[18:19], v184 offset:528
	ds_load_2addr_b64 v[14:17], v184 offset1:33
	v_mov_b64_e32 v[102:103], 0
	s_wait_dscnt 0x0
	s_barrier_signal -1
	s_barrier_wait -1
	v_fma_f64 v[2:3], v[10:11], v[2:3], 0
	s_delay_alu instid0(VALU_DEP_1) | instskip(NEXT) | instid1(VALU_DEP_1)
	v_fmac_f64_e32 v[2:3], v[14:15], v[4:5]
	v_fmac_f64_e32 v[2:3], v[16:17], v[6:7]
	s_delay_alu instid0(VALU_DEP_1)
	v_fmac_f64_e32 v[2:3], v[18:19], v[8:9]
	ds_store_b64 v174, v[2:3]
	s_wait_dscnt 0x0
	s_barrier_signal -1
	s_barrier_wait -1
	s_and_saveexec_b32 s18, s10
	s_cbranch_execz .LBB160_31
; %bb.30:                               ;   in Loop: Header=BB160_4 Depth=1
	ds_load_2addr_b64 v[2:5], v171 offset1:1
	ds_load_2addr_b64 v[6:9], v171 offset0:2 offset1:3
	s_wait_dscnt 0x1
	v_add_f64_e32 v[2:3], v[2:3], v[4:5]
	s_wait_dscnt 0x0
	s_delay_alu instid0(VALU_DEP_1) | instskip(NEXT) | instid1(VALU_DEP_1)
	v_add_f64_e32 v[2:3], v[2:3], v[6:7]
	v_add_f64_e32 v[10:11], v[2:3], v[8:9]
	ds_load_2addr_b64 v[2:5], v171 offset0:4 offset1:5
	ds_load_2addr_b64 v[6:9], v171 offset0:6 offset1:7
	s_wait_dscnt 0x1
	v_add_f64_e32 v[2:3], v[10:11], v[2:3]
	s_delay_alu instid0(VALU_DEP_1) | instskip(SKIP_1) | instid1(VALU_DEP_1)
	v_add_f64_e32 v[2:3], v[2:3], v[4:5]
	s_wait_dscnt 0x0
	v_add_f64_e32 v[2:3], v[2:3], v[6:7]
	s_delay_alu instid0(VALU_DEP_1)
	v_add_f64_e32 v[102:103], v[2:3], v[8:9]
.LBB160_31:                             ;   in Loop: Header=BB160_4 Depth=1
	s_or_b32 exec_lo, exec_lo, s18
	v_lshl_add_u64 v[4:5], s[60:61], 3, v[0:1]
	s_and_b32 vcc_lo, exec_lo, s77
	s_mov_b32 s18, -1
	s_barrier_signal -1
	s_delay_alu instid0(VALU_DEP_1)
	v_add_nc_u64_e32 v[2:3], 0x100, v[4:5]
	s_barrier_wait -1
                                        ; implicit-def: $vgpr0_vgpr1
	s_cbranch_vccz .LBB160_41
; %bb.32:                               ;   in Loop: Header=BB160_4 Depth=1
	v_lshl_add_u64 v[0:1], v[100:101], 3, v[4:5]
	v_mov_b64_e32 v[8:9], 0
	v_mov_b64_e32 v[6:7], 0
	s_delay_alu instid0(VALU_DEP_3) | instskip(NEXT) | instid1(VALU_DEP_1)
	v_lshl_add_u64 v[0:1], s[46:47], 3, v[0:1]
	v_add_nc_u64_e32 v[0:1], -8, v[0:1]
	s_delay_alu instid0(VALU_DEP_1)
	v_dual_cndmask_b32 v1, v1, v3, s11 :: v_dual_cndmask_b32 v0, v0, v2, s11
	s_and_saveexec_b32 s18, s12
	s_cbranch_execz .LBB160_34
; %bb.33:                               ;   in Loop: Header=BB160_4 Depth=1
	flat_load_b64 v[6:7], v[0:1]
.LBB160_34:                             ;   in Loop: Header=BB160_4 Depth=1
	s_wait_xcnt 0x0
	s_or_b32 exec_lo, exec_lo, s18
	s_wait_loadcnt_dscnt 0x0
	ds_store_b64 v182, v[6:7]
	s_and_saveexec_b32 s18, s13
	s_cbranch_execz .LBB160_36
; %bb.35:                               ;   in Loop: Header=BB160_4 Depth=1
	v_add_nc_u64_e32 v[6:7], s[54:55], v[0:1]
	flat_load_b64 v[8:9], v[6:7]
.LBB160_36:                             ;   in Loop: Header=BB160_4 Depth=1
	s_wait_xcnt 0x0
	s_or_b32 exec_lo, exec_lo, s18
	v_mov_b64_e32 v[6:7], 0
	v_mov_b64_e32 v[10:11], 0
	s_wait_loadcnt_dscnt 0x0
	ds_store_b64 v182, v[8:9] offset:2112
	s_and_saveexec_b32 s18, s14
	s_cbranch_execz .LBB160_38
; %bb.37:                               ;   in Loop: Header=BB160_4 Depth=1
	v_add_nc_u64_e32 v[8:9], s[56:57], v[0:1]
	flat_load_b64 v[10:11], v[8:9]
.LBB160_38:                             ;   in Loop: Header=BB160_4 Depth=1
	s_wait_xcnt 0x0
	s_or_b32 exec_lo, exec_lo, s18
	s_wait_loadcnt_dscnt 0x0
	ds_store_b64 v182, v[10:11] offset:4224
	s_and_saveexec_b32 s18, s15
	s_cbranch_execz .LBB160_40
; %bb.39:                               ;   in Loop: Header=BB160_4 Depth=1
	v_add_nc_u64_e32 v[6:7], s[58:59], v[0:1]
	flat_load_b64 v[6:7], v[6:7]
.LBB160_40:                             ;   in Loop: Header=BB160_4 Depth=1
	s_wait_xcnt 0x0
	s_or_b32 exec_lo, exec_lo, s18
	v_lshlrev_b32_e32 v58, 3, v56
	s_mov_b32 s18, 0
	s_wait_loadcnt_dscnt 0x0
	ds_store_b64 v182, v[6:7] offset:6336
	v_add_nc_u64_e32 v[0:1], v[0:1], v[58:59]
	s_delay_alu instid0(VALU_DEP_1) | instskip(NEXT) | instid1(VALU_DEP_1)
	v_lshl_add_u64 v[0:1], s[64:65], 3, v[0:1]
	v_add_nc_u64_e32 v[0:1], 0x108, v[0:1]
	s_delay_alu instid0(VALU_DEP_1)
	v_dual_cndmask_b32 v1, v1, v3, s11 :: v_dual_cndmask_b32 v0, v0, v2, s11
.LBB160_41:                             ;   in Loop: Header=BB160_4 Depth=1
	s_and_b32 vcc_lo, exec_lo, s18
	s_cbranch_vccz .LBB160_43
; %bb.42:                               ;   in Loop: Header=BB160_4 Depth=1
	v_add_nc_u64_e32 v[0:1], s[54:55], v[4:5]
	s_delay_alu instid0(VALU_DEP_1) | instskip(NEXT) | instid1(VALU_DEP_1)
	v_add_nc_u64_e32 v[6:7], s[54:55], v[0:1]
	v_add_nc_u64_e32 v[8:9], s[54:55], v[6:7]
	s_clause 0x3
	flat_load_b64 v[4:5], v[4:5] offset:256
	flat_load_b64 v[10:11], v[0:1] offset:256
	;; [unrolled: 1-line block ×4, first 2 shown]
	s_wait_xcnt 0x2
	v_mov_b64_e32 v[0:1], v[2:3]
	s_wait_loadcnt_dscnt 0x303
	ds_store_b64 v182, v[4:5]
	s_wait_loadcnt_dscnt 0x203
	ds_store_b64 v182, v[10:11] offset:2112
	s_wait_loadcnt_dscnt 0x103
	ds_store_b64 v182, v[6:7] offset:4224
	;; [unrolled: 2-line block ×3, first 2 shown]
.LBB160_43:                             ;   in Loop: Header=BB160_4 Depth=1
	s_wait_dscnt 0x0
	s_barrier_signal -1
	s_barrier_wait -1
	s_wait_xcnt 0x0
	s_and_saveexec_b32 s18, s6
	s_cbranch_execnz .LBB160_128
; %bb.44:                               ;   in Loop: Header=BB160_4 Depth=1
	s_or_b32 exec_lo, exec_lo, s18
	s_and_saveexec_b32 s18, s7
	s_cbranch_execnz .LBB160_129
.LBB160_45:                             ;   in Loop: Header=BB160_4 Depth=1
	s_or_b32 exec_lo, exec_lo, s18
	s_and_saveexec_b32 s18, s8
	s_cbranch_execnz .LBB160_130
.LBB160_46:                             ;   in Loop: Header=BB160_4 Depth=1
	s_or_b32 exec_lo, exec_lo, s18
	s_and_saveexec_b32 s18, s9
	s_cbranch_execz .LBB160_48
.LBB160_47:                             ;   in Loop: Header=BB160_4 Depth=1
	ds_load_b64 v[2:3], v184 offset:528
	s_wait_dscnt 0x0
	ds_store_b64 v172, v[2:3] offset:24
.LBB160_48:                             ;   in Loop: Header=BB160_4 Depth=1
	s_or_b32 exec_lo, exec_lo, s18
	s_wait_dscnt 0x0
	s_barrier_signal -1
	s_barrier_wait -1
	ds_load_b64 v[10:11], v183
	ds_load_b128 v[2:5], v173 offset:256
	ds_load_b128 v[6:9], v173 offset:272
	ds_load_b64 v[18:19], v184 offset:528
	ds_load_2addr_b64 v[14:17], v184 offset1:33
	s_wait_dscnt 0x0
	s_barrier_signal -1
	s_barrier_wait -1
	v_fma_f64 v[2:3], v[10:11], v[2:3], 0
	s_delay_alu instid0(VALU_DEP_1) | instskip(NEXT) | instid1(VALU_DEP_1)
	v_fmac_f64_e32 v[2:3], v[14:15], v[4:5]
	v_fmac_f64_e32 v[2:3], v[16:17], v[6:7]
	s_delay_alu instid0(VALU_DEP_1)
	v_fmac_f64_e32 v[2:3], v[18:19], v[8:9]
	ds_store_b64 v174, v[2:3]
	s_wait_dscnt 0x0
	s_barrier_signal -1
	s_barrier_wait -1
	s_and_saveexec_b32 s18, s16
	s_cbranch_execz .LBB160_50
; %bb.49:                               ;   in Loop: Header=BB160_4 Depth=1
	ds_load_2addr_b64 v[2:5], v171 offset1:1
	ds_load_2addr_b64 v[6:9], v171 offset0:2 offset1:3
	s_wait_dscnt 0x1
	v_add_f64_e32 v[2:3], v[2:3], v[4:5]
	s_wait_dscnt 0x0
	s_delay_alu instid0(VALU_DEP_1) | instskip(NEXT) | instid1(VALU_DEP_1)
	v_add_f64_e32 v[2:3], v[2:3], v[6:7]
	v_add_f64_e32 v[10:11], v[2:3], v[8:9]
	ds_load_2addr_b64 v[2:5], v171 offset0:4 offset1:5
	ds_load_2addr_b64 v[6:9], v171 offset0:6 offset1:7
	s_wait_dscnt 0x1
	v_add_f64_e32 v[2:3], v[10:11], v[2:3]
	s_delay_alu instid0(VALU_DEP_1) | instskip(SKIP_1) | instid1(VALU_DEP_1)
	v_add_f64_e32 v[2:3], v[2:3], v[4:5]
	s_wait_dscnt 0x0
	v_add_f64_e32 v[2:3], v[2:3], v[6:7]
	s_delay_alu instid0(VALU_DEP_1)
	v_add_f64_e32 v[102:103], v[2:3], v[8:9]
.LBB160_50:                             ;   in Loop: Header=BB160_4 Depth=1
	s_or_b32 exec_lo, exec_lo, s18
	v_add_nc_u64_e32 v[2:3], s[68:69], v[0:1]
	s_and_b32 vcc_lo, exec_lo, s77
	s_mov_b32 s18, -1
	s_barrier_signal -1
	s_barrier_wait -1
                                        ; implicit-def: $vgpr14_vgpr15
	s_cbranch_vccz .LBB160_60
; %bb.51:                               ;   in Loop: Header=BB160_4 Depth=1
	v_lshl_add_u64 v[4:5], v[100:101], 3, v[0:1]
	v_mov_b64_e32 v[8:9], 0
	v_mov_b64_e32 v[6:7], 0
	s_delay_alu instid0(VALU_DEP_3) | instskip(NEXT) | instid1(VALU_DEP_1)
	v_lshl_add_u64 v[4:5], s[46:47], 3, v[4:5]
	v_add_nc_u64_e32 v[4:5], s[70:71], v[4:5]
	s_delay_alu instid0(VALU_DEP_1)
	v_dual_cndmask_b32 v5, v5, v3, s1 :: v_dual_cndmask_b32 v4, v4, v2, s1
	s_and_saveexec_b32 s18, s12
	s_cbranch_execz .LBB160_53
; %bb.52:                               ;   in Loop: Header=BB160_4 Depth=1
	flat_load_b64 v[6:7], v[4:5]
.LBB160_53:                             ;   in Loop: Header=BB160_4 Depth=1
	s_wait_xcnt 0x0
	s_or_b32 exec_lo, exec_lo, s18
	s_wait_loadcnt_dscnt 0x0
	ds_store_b64 v182, v[6:7]
	s_and_saveexec_b32 s18, s13
	s_cbranch_execz .LBB160_55
; %bb.54:                               ;   in Loop: Header=BB160_4 Depth=1
	v_add_nc_u64_e32 v[6:7], s[54:55], v[4:5]
	flat_load_b64 v[8:9], v[6:7]
.LBB160_55:                             ;   in Loop: Header=BB160_4 Depth=1
	s_wait_xcnt 0x0
	s_or_b32 exec_lo, exec_lo, s18
	v_mov_b64_e32 v[6:7], 0
	v_mov_b64_e32 v[10:11], 0
	s_wait_loadcnt_dscnt 0x0
	ds_store_b64 v182, v[8:9] offset:2112
	s_and_saveexec_b32 s18, s14
	s_cbranch_execz .LBB160_57
; %bb.56:                               ;   in Loop: Header=BB160_4 Depth=1
	v_add_nc_u64_e32 v[8:9], s[56:57], v[4:5]
	flat_load_b64 v[10:11], v[8:9]
.LBB160_57:                             ;   in Loop: Header=BB160_4 Depth=1
	s_wait_xcnt 0x0
	s_or_b32 exec_lo, exec_lo, s18
	s_wait_loadcnt_dscnt 0x0
	ds_store_b64 v182, v[10:11] offset:4224
	s_and_saveexec_b32 s18, s15
	s_cbranch_execz .LBB160_59
; %bb.58:                               ;   in Loop: Header=BB160_4 Depth=1
	v_add_nc_u64_e32 v[6:7], s[58:59], v[4:5]
	flat_load_b64 v[6:7], v[6:7]
.LBB160_59:                             ;   in Loop: Header=BB160_4 Depth=1
	s_wait_xcnt 0x0
	s_or_b32 exec_lo, exec_lo, s18
	v_lshlrev_b32_e32 v58, 3, v56
	s_mov_b32 s18, 0
	s_wait_loadcnt_dscnt 0x0
	ds_store_b64 v182, v[6:7] offset:6336
	v_add_nc_u64_e32 v[4:5], v[4:5], v[58:59]
	s_delay_alu instid0(VALU_DEP_1) | instskip(NEXT) | instid1(VALU_DEP_1)
	v_lshl_add_u64 v[4:5], s[64:65], 3, v[4:5]
	v_add_nc_u64_e32 v[4:5], 8, v[4:5]
	s_delay_alu instid0(VALU_DEP_1)
	v_dual_cndmask_b32 v15, v5, v3, s1 :: v_dual_cndmask_b32 v14, v4, v2, s1
.LBB160_60:                             ;   in Loop: Header=BB160_4 Depth=1
	s_and_b32 vcc_lo, exec_lo, s18
	s_cbranch_vccz .LBB160_62
; %bb.61:                               ;   in Loop: Header=BB160_4 Depth=1
	v_add_nc_u64_e32 v[4:5], s[54:55], v[0:1]
	v_mov_b64_e32 v[14:15], v[2:3]
	s_delay_alu instid0(VALU_DEP_2) | instskip(NEXT) | instid1(VALU_DEP_1)
	v_add_nc_u64_e32 v[6:7], s[54:55], v[4:5]
	v_add_nc_u64_e32 v[8:9], s[54:55], v[6:7]
	s_clause 0x3
	flat_load_b64 v[0:1], v[0:1] offset:-256
	flat_load_b64 v[4:5], v[4:5] offset:-256
	;; [unrolled: 1-line block ×4, first 2 shown]
	s_wait_loadcnt_dscnt 0x303
	ds_store_b64 v182, v[0:1]
	s_wait_loadcnt_dscnt 0x203
	ds_store_b64 v182, v[4:5] offset:2112
	s_wait_loadcnt_dscnt 0x103
	ds_store_b64 v182, v[6:7] offset:4224
	;; [unrolled: 2-line block ×3, first 2 shown]
.LBB160_62:                             ;   in Loop: Header=BB160_4 Depth=1
	s_wait_xcnt 0x3
	v_dual_add_nc_u32 v0, v172, v175 :: v_dual_add_nc_u32 v2, v173, v175
	s_wait_dscnt 0x0
	s_barrier_signal -1
	s_barrier_wait -1
	ds_load_b64 v[0:1], v0
	ds_load_b64 v[2:3], v2
	s_wait_xcnt 0x0
	ds_load_b64 v[8:9], v186 offset:192
	s_wait_dscnt 0x1
	v_fma_f64 v[20:21], v[0:1], v[2:3], 0
	ds_load_2addr_b64 v[0:3], v185 offset0:8 offset1:16
	ds_load_2addr_b64 v[4:7], v186 offset0:8 offset1:16
	s_wait_dscnt 0x0
	v_fmac_f64_e32 v[20:21], v[0:1], v[4:5]
	ds_load_b64 v[0:1], v185 offset:192
	v_fmac_f64_e32 v[20:21], v[2:3], v[6:7]
	s_wait_dscnt 0x0
	s_delay_alu instid0(VALU_DEP_1)
	v_fmac_f64_e32 v[20:21], v[0:1], v[8:9]
	ds_load_b128 v[8:11], v173 offset:256
	ds_load_b128 v[0:3], v173 offset:272
	ds_load_2addr_b64 v[4:7], v184 offset1:33
	ds_load_b64 v[18:19], v183
	ds_load_b64 v[16:17], v184 offset:528
	s_wait_dscnt 0x0
	s_barrier_signal -1
	s_barrier_wait -1
	ds_store_b64 v174, v[20:21]
	s_wait_dscnt 0x0
	s_barrier_signal -1
	s_barrier_wait -1
	s_and_saveexec_b32 s18, s16
	s_cbranch_execz .LBB160_64
; %bb.63:                               ;   in Loop: Header=BB160_4 Depth=1
	ds_load_2addr_b64 v[20:23], v171 offset1:1
	ds_load_2addr_b64 v[24:27], v171 offset0:2 offset1:3
	s_wait_dscnt 0x1
	v_add_f64_e32 v[20:21], v[102:103], v[20:21]
	s_delay_alu instid0(VALU_DEP_1) | instskip(SKIP_1) | instid1(VALU_DEP_1)
	v_add_f64_e32 v[20:21], v[20:21], v[22:23]
	s_wait_dscnt 0x0
	v_add_f64_e32 v[20:21], v[20:21], v[24:25]
	s_delay_alu instid0(VALU_DEP_1) | instskip(SKIP_4) | instid1(VALU_DEP_1)
	v_add_f64_e32 v[28:29], v[20:21], v[26:27]
	ds_load_2addr_b64 v[20:23], v171 offset0:4 offset1:5
	ds_load_2addr_b64 v[24:27], v171 offset0:6 offset1:7
	s_wait_dscnt 0x1
	v_add_f64_e32 v[20:21], v[28:29], v[20:21]
	v_add_f64_e32 v[20:21], v[20:21], v[22:23]
	s_wait_dscnt 0x0
	s_delay_alu instid0(VALU_DEP_1) | instskip(NEXT) | instid1(VALU_DEP_1)
	v_add_f64_e32 v[20:21], v[20:21], v[24:25]
	v_add_f64_e32 v[102:103], v[20:21], v[26:27]
.LBB160_64:                             ;   in Loop: Header=BB160_4 Depth=1
	s_or_b32 exec_lo, exec_lo, s18
	v_fma_f64 v[8:9], v[18:19], v[8:9], 0
	s_barrier_signal -1
	s_barrier_wait -1
	s_delay_alu instid0(VALU_DEP_1) | instskip(NEXT) | instid1(VALU_DEP_1)
	v_fmac_f64_e32 v[8:9], v[4:5], v[10:11]
	v_fmac_f64_e32 v[8:9], v[6:7], v[0:1]
	s_delay_alu instid0(VALU_DEP_1)
	v_fmac_f64_e32 v[8:9], v[16:17], v[2:3]
	ds_store_b64 v174, v[8:9]
	s_wait_dscnt 0x0
	s_barrier_signal -1
	s_barrier_wait -1
	s_and_saveexec_b32 s18, s10
	s_cbranch_execz .LBB160_66
; %bb.65:                               ;   in Loop: Header=BB160_4 Depth=1
	ds_load_2addr_b64 v[0:3], v171 offset1:1
	ds_load_2addr_b64 v[4:7], v171 offset0:2 offset1:3
	s_wait_dscnt 0x1
	v_add_f64_e32 v[0:1], v[102:103], v[0:1]
	s_delay_alu instid0(VALU_DEP_1) | instskip(SKIP_1) | instid1(VALU_DEP_1)
	v_add_f64_e32 v[0:1], v[0:1], v[2:3]
	s_wait_dscnt 0x0
	v_add_f64_e32 v[0:1], v[0:1], v[4:5]
	s_delay_alu instid0(VALU_DEP_1) | instskip(SKIP_4) | instid1(VALU_DEP_1)
	v_add_f64_e32 v[8:9], v[0:1], v[6:7]
	ds_load_2addr_b64 v[0:3], v171 offset0:4 offset1:5
	ds_load_2addr_b64 v[4:7], v171 offset0:6 offset1:7
	s_wait_dscnt 0x1
	v_add_f64_e32 v[0:1], v[8:9], v[0:1]
	v_add_f64_e32 v[0:1], v[0:1], v[2:3]
	s_wait_dscnt 0x0
	s_delay_alu instid0(VALU_DEP_1) | instskip(NEXT) | instid1(VALU_DEP_1)
	v_add_f64_e32 v[0:1], v[0:1], v[4:5]
	v_add_f64_e32 v[102:103], v[0:1], v[6:7]
.LBB160_66:                             ;   in Loop: Header=BB160_4 Depth=1
	s_or_b32 exec_lo, exec_lo, s18
	s_mul_u64 s[18:19], s[48:49], s[34:35]
	s_and_not1_b32 vcc_lo, exec_lo, s41
	s_lshl_b64 s[18:19], s[18:19], 3
	s_delay_alu instid0(SALU_CYCLE_1)
	s_add_nc_u64 s[18:19], s[50:51], s[18:19]
	s_barrier_signal -1
	s_barrier_wait -1
	s_cbranch_vccnz .LBB160_123
; %bb.67:                               ;   in Loop: Header=BB160_4 Depth=1
	v_add_nc_u64_e32 v[104:105], v[14:15], v[66:67]
	v_add_nc_u64_e32 v[106:107], v[14:15], v[68:69]
	;; [unrolled: 1-line block ×16, first 2 shown]
	v_lshl_add_u64 v[136:137], s[62:63], 3, v[12:13]
	s_mov_b32 s74, s80
	s_mov_b32 s81, s44
	s_delay_alu instid0(SALU_CYCLE_1)
	s_cmp_eq_u32 s45, s81
	s_cselect_b32 s82, s76, 0
	s_and_saveexec_b32 s83, s0
	s_cbranch_execz .LBB160_71
.LBB160_68:                             ;   in Loop: Header=BB160_4 Depth=1
	v_cmp_gt_i32_e32 vcc_lo, s82, v170
	v_mov_b64_e32 v[0:1], 0
	s_cmp_eq_u32 s82, 0
	s_cselect_b32 s75, -1, 0
	s_delay_alu instid0(SALU_CYCLE_1) | instskip(NEXT) | instid1(SALU_CYCLE_1)
	s_or_b32 s75, s75, vcc_lo
	s_and_saveexec_b32 s84, s75
	s_cbranch_execz .LBB160_70
; %bb.69:                               ;   in Loop: Header=BB160_4 Depth=1
	s_ashr_i32 s75, s74, 31
	s_delay_alu instid0(SALU_CYCLE_1) | instskip(NEXT) | instid1(SALU_CYCLE_1)
	s_mul_u64 s[86:87], s[42:43], s[74:75]
	v_lshl_add_u64 v[0:1], s[86:87], 3, v[136:137]
	flat_load_b64 v[0:1], v[0:1]
.LBB160_70:                             ;   in Loop: Header=BB160_4 Depth=1
	s_wait_xcnt 0x0
	s_or_b32 exec_lo, exec_lo, s84
	s_wait_loadcnt_dscnt 0x0
	ds_store_b64 v189, v[0:1]
.LBB160_71:                             ;   Parent Loop BB160_4 Depth=1
                                        ; =>  This Inner Loop Header: Depth=2
	s_or_b32 exec_lo, exec_lo, s83
	s_cmp_eq_u32 s82, 0
	v_add_nc_u64_e32 v[0:1], v[110:111], v[64:65]
	s_cselect_b32 s75, -1, 0
	s_cmp_lg_u32 s82, 0
	s_mov_b32 s84, -1
	s_cselect_b32 s83, -1, 0
	s_wait_dscnt 0x0
	s_and_b32 vcc_lo, exec_lo, s83
	s_barrier_signal -1
	s_barrier_wait -1
                                        ; implicit-def: $vgpr142_vgpr143
                                        ; implicit-def: $vgpr144_vgpr145
                                        ; implicit-def: $vgpr138_vgpr139
                                        ; implicit-def: $vgpr140_vgpr141
	s_cbranch_vccz .LBB160_81
; %bb.72:                               ;   in Loop: Header=BB160_71 Depth=2
	v_mov_b64_e32 v[138:139], 0
	v_mov_b64_e32 v[140:141], 0
	s_mov_b32 s84, exec_lo
	v_cmpx_gt_i32_e64 s82, v176
	s_cbranch_execz .LBB160_74
; %bb.73:                               ;   in Loop: Header=BB160_71 Depth=2
	flat_load_b64 v[140:141], v[0:1]
.LBB160_74:                             ;   in Loop: Header=BB160_71 Depth=2
	s_wait_xcnt 0x0
	s_or_b32 exec_lo, exec_lo, s84
	s_delay_alu instid0(SALU_CYCLE_1)
	s_mov_b32 s84, exec_lo
	v_cmpx_gt_i32_e64 s82, v191
	s_cbranch_execz .LBB160_76
; %bb.75:                               ;   in Loop: Header=BB160_71 Depth=2
	v_add_nc_u64_e32 v[2:3], v[108:109], v[64:65]
	flat_load_b64 v[138:139], v[2:3]
.LBB160_76:                             ;   in Loop: Header=BB160_71 Depth=2
	s_wait_xcnt 0x0
	s_or_b32 exec_lo, exec_lo, s84
	v_mov_b64_e32 v[142:143], 0
	v_mov_b64_e32 v[144:145], 0
	s_mov_b32 s84, exec_lo
	v_cmpx_gt_i32_e64 s82, v192
	s_cbranch_execz .LBB160_78
; %bb.77:                               ;   in Loop: Header=BB160_71 Depth=2
	v_add_nc_u64_e32 v[2:3], v[104:105], v[64:65]
	flat_load_b64 v[144:145], v[2:3]
.LBB160_78:                             ;   in Loop: Header=BB160_71 Depth=2
	s_wait_xcnt 0x0
	s_or_b32 exec_lo, exec_lo, s84
	s_delay_alu instid0(SALU_CYCLE_1)
	s_mov_b32 s84, exec_lo
	v_cmpx_gt_i32_e64 s82, v193
	s_cbranch_execz .LBB160_80
; %bb.79:                               ;   in Loop: Header=BB160_71 Depth=2
	v_add_nc_u64_e32 v[2:3], v[106:107], v[64:65]
	flat_load_b64 v[142:143], v[2:3]
.LBB160_80:                             ;   in Loop: Header=BB160_71 Depth=2
	s_wait_xcnt 0x0
	s_or_b32 exec_lo, exec_lo, s84
	s_mov_b32 s84, 0
.LBB160_81:                             ;   in Loop: Header=BB160_71 Depth=2
	s_delay_alu instid0(SALU_CYCLE_1)
	s_and_b32 vcc_lo, exec_lo, s84
	s_cbranch_vccz .LBB160_83
; %bb.82:                               ;   in Loop: Header=BB160_71 Depth=2
	v_add_nc_u64_e32 v[2:3], v[108:109], v[64:65]
	v_add_nc_u64_e32 v[4:5], v[104:105], v[64:65]
	;; [unrolled: 1-line block ×3, first 2 shown]
	s_wait_loadcnt_dscnt 0x0
	flat_load_b64 v[140:141], v[0:1]
	flat_load_b64 v[138:139], v[2:3]
	;; [unrolled: 1-line block ×4, first 2 shown]
.LBB160_83:                             ;   in Loop: Header=BB160_71 Depth=2
	s_wait_xcnt 0x1
	ds_load_b64 v[4:5], v188
	ds_load_b128 v[0:3], v190
	v_cndmask_b32_e64 v44, 0, 1, s83
	s_and_not1_b32 vcc_lo, exec_lo, s83
	s_mov_b32 s83, -1
                                        ; implicit-def: $vgpr150_vgpr151
                                        ; implicit-def: $vgpr152_vgpr153
                                        ; implicit-def: $vgpr146_vgpr147
                                        ; implicit-def: $vgpr148_vgpr149
	s_wait_loadcnt_dscnt 0x1
	v_mul_f64_e32 v[8:9], v[140:141], v[4:5]
	v_mul_f64_e32 v[10:11], v[138:139], v[4:5]
	;; [unrolled: 1-line block ×4, first 2 shown]
	s_wait_xcnt 0x0
	ds_load_b128 v[4:7], v190 offset:16
	ds_store_2addr_b64 v180, v[8:9], v[10:11] offset1:67
	ds_store_2addr_b64 v180, v[12:13], v[14:15] offset0:134 offset1:201
	s_wait_dscnt 0x0
	s_barrier_signal -1
	s_barrier_wait -1
	ds_load_2addr_b64 v[20:23], v177 offset1:1
	ds_load_2addr_b64 v[8:11], v177 offset0:2 offset1:3
	v_add_nc_u64_e32 v[12:13], v[118:119], v[64:65]
	s_wait_dscnt 0x0
	s_barrier_signal -1
	s_barrier_wait -1
	s_cbranch_vccnz .LBB160_93
; %bb.84:                               ;   in Loop: Header=BB160_71 Depth=2
	v_mov_b64_e32 v[146:147], 0
	v_mov_b64_e32 v[148:149], 0
	s_mov_b32 s83, exec_lo
	v_cmpx_gt_i32_e64 s82, v194
	s_cbranch_execz .LBB160_86
; %bb.85:                               ;   in Loop: Header=BB160_71 Depth=2
	flat_load_b64 v[148:149], v[12:13]
.LBB160_86:                             ;   in Loop: Header=BB160_71 Depth=2
	s_wait_xcnt 0x0
	s_or_b32 exec_lo, exec_lo, s83
	s_delay_alu instid0(SALU_CYCLE_1)
	s_mov_b32 s83, exec_lo
	v_cmpx_gt_i32_e64 s82, v195
	s_cbranch_execz .LBB160_88
; %bb.87:                               ;   in Loop: Header=BB160_71 Depth=2
	v_add_nc_u64_e32 v[14:15], v[116:117], v[64:65]
	flat_load_b64 v[146:147], v[14:15]
.LBB160_88:                             ;   in Loop: Header=BB160_71 Depth=2
	s_wait_xcnt 0x0
	s_or_b32 exec_lo, exec_lo, s83
	v_mov_b64_e32 v[150:151], 0
	v_mov_b64_e32 v[152:153], 0
	s_mov_b32 s83, exec_lo
	v_cmpx_gt_i32_e64 s82, v196
	s_cbranch_execz .LBB160_90
; %bb.89:                               ;   in Loop: Header=BB160_71 Depth=2
	v_add_nc_u64_e32 v[14:15], v[112:113], v[64:65]
	flat_load_b64 v[152:153], v[14:15]
.LBB160_90:                             ;   in Loop: Header=BB160_71 Depth=2
	s_wait_xcnt 0x0
	s_or_b32 exec_lo, exec_lo, s83
	s_delay_alu instid0(SALU_CYCLE_1)
	s_mov_b32 s83, exec_lo
	v_cmpx_gt_i32_e64 s82, v197
	s_cbranch_execz .LBB160_92
; %bb.91:                               ;   in Loop: Header=BB160_71 Depth=2
	v_add_nc_u64_e32 v[14:15], v[114:115], v[64:65]
	flat_load_b64 v[150:151], v[14:15]
.LBB160_92:                             ;   in Loop: Header=BB160_71 Depth=2
	s_wait_xcnt 0x0
	s_or_b32 exec_lo, exec_lo, s83
	s_mov_b32 s83, 0
.LBB160_93:                             ;   in Loop: Header=BB160_71 Depth=2
	s_delay_alu instid0(SALU_CYCLE_1)
	s_and_b32 vcc_lo, exec_lo, s83
	s_cbranch_vccz .LBB160_95
; %bb.94:                               ;   in Loop: Header=BB160_71 Depth=2
	v_add_nc_u64_e32 v[14:15], v[116:117], v[64:65]
	v_add_nc_u64_e32 v[16:17], v[112:113], v[64:65]
	v_add_nc_u64_e32 v[18:19], v[114:115], v[64:65]
	s_wait_loadcnt_dscnt 0x0
	flat_load_b64 v[148:149], v[12:13]
	flat_load_b64 v[146:147], v[14:15]
	;; [unrolled: 1-line block ×4, first 2 shown]
.LBB160_95:                             ;   in Loop: Header=BB160_71 Depth=2
	s_wait_xcnt 0x1
	ds_load_b64 v[16:17], v188
	ds_load_b128 v[12:15], v190 offset:128
	v_cmp_ne_u32_e32 vcc_lo, 1, v44
	s_mov_b32 s83, -1
                                        ; implicit-def: $vgpr158_vgpr159
                                        ; implicit-def: $vgpr160_vgpr161
                                        ; implicit-def: $vgpr154_vgpr155
                                        ; implicit-def: $vgpr156_vgpr157
	s_and_b32 vcc_lo, exec_lo, vcc_lo
	s_wait_loadcnt_dscnt 0x1
	v_mul_f64_e32 v[24:25], v[148:149], v[16:17]
	v_mul_f64_e32 v[26:27], v[146:147], v[16:17]
	;; [unrolled: 1-line block ×4, first 2 shown]
	s_wait_xcnt 0x0
	ds_load_b128 v[16:19], v190 offset:144
	ds_store_2addr_b64 v180, v[24:25], v[26:27] offset1:67
	ds_store_2addr_b64 v180, v[28:29], v[30:31] offset0:134 offset1:201
	s_wait_dscnt 0x0
	s_barrier_signal -1
	s_barrier_wait -1
	ds_load_2addr_b64 v[36:39], v177 offset1:1
	ds_load_2addr_b64 v[32:35], v177 offset0:2 offset1:3
	v_add_nc_u64_e32 v[24:25], v[126:127], v[64:65]
	s_wait_dscnt 0x0
	s_barrier_signal -1
	s_barrier_wait -1
	s_cbranch_vccnz .LBB160_105
; %bb.96:                               ;   in Loop: Header=BB160_71 Depth=2
	v_mov_b64_e32 v[154:155], 0
	v_mov_b64_e32 v[156:157], 0
	s_mov_b32 s83, exec_lo
	v_cmpx_gt_i32_e64 s82, v198
	s_cbranch_execz .LBB160_98
; %bb.97:                               ;   in Loop: Header=BB160_71 Depth=2
	flat_load_b64 v[156:157], v[24:25]
.LBB160_98:                             ;   in Loop: Header=BB160_71 Depth=2
	s_wait_xcnt 0x0
	s_or_b32 exec_lo, exec_lo, s83
	s_delay_alu instid0(SALU_CYCLE_1)
	s_mov_b32 s83, exec_lo
	v_cmpx_gt_i32_e64 s82, v199
	s_cbranch_execz .LBB160_100
; %bb.99:                               ;   in Loop: Header=BB160_71 Depth=2
	v_add_nc_u64_e32 v[26:27], v[124:125], v[64:65]
	flat_load_b64 v[154:155], v[26:27]
.LBB160_100:                            ;   in Loop: Header=BB160_71 Depth=2
	s_wait_xcnt 0x0
	s_or_b32 exec_lo, exec_lo, s83
	v_mov_b64_e32 v[158:159], 0
	v_mov_b64_e32 v[160:161], 0
	s_mov_b32 s83, exec_lo
	v_cmpx_gt_i32_e64 s82, v200
	s_cbranch_execz .LBB160_102
; %bb.101:                              ;   in Loop: Header=BB160_71 Depth=2
	v_add_nc_u64_e32 v[26:27], v[120:121], v[64:65]
	flat_load_b64 v[160:161], v[26:27]
.LBB160_102:                            ;   in Loop: Header=BB160_71 Depth=2
	s_wait_xcnt 0x0
	s_or_b32 exec_lo, exec_lo, s83
	s_delay_alu instid0(SALU_CYCLE_1)
	s_mov_b32 s83, exec_lo
	v_cmpx_gt_i32_e64 s82, v201
	s_cbranch_execz .LBB160_104
; %bb.103:                              ;   in Loop: Header=BB160_71 Depth=2
	v_add_nc_u64_e32 v[26:27], v[122:123], v[64:65]
	flat_load_b64 v[158:159], v[26:27]
.LBB160_104:                            ;   in Loop: Header=BB160_71 Depth=2
	s_wait_xcnt 0x0
	s_or_b32 exec_lo, exec_lo, s83
	s_mov_b32 s83, 0
.LBB160_105:                            ;   in Loop: Header=BB160_71 Depth=2
	s_delay_alu instid0(SALU_CYCLE_1)
	s_and_b32 vcc_lo, exec_lo, s83
	s_cbranch_vccz .LBB160_107
; %bb.106:                              ;   in Loop: Header=BB160_71 Depth=2
	v_add_nc_u64_e32 v[26:27], v[124:125], v[64:65]
	v_add_nc_u64_e32 v[28:29], v[120:121], v[64:65]
	;; [unrolled: 1-line block ×3, first 2 shown]
	s_wait_loadcnt_dscnt 0x0
	flat_load_b64 v[156:157], v[24:25]
	flat_load_b64 v[154:155], v[26:27]
	flat_load_b64 v[160:161], v[28:29]
	flat_load_b64 v[158:159], v[30:31]
.LBB160_107:                            ;   in Loop: Header=BB160_71 Depth=2
	s_wait_xcnt 0x3
	ds_load_b64 v[24:25], v188
	v_cmp_ne_u32_e32 vcc_lo, 1, v44
	v_add_nc_u64_e32 v[44:45], v[134:135], v[64:65]
	s_mov_b32 s83, -1
                                        ; implicit-def: $vgpr166_vgpr167
                                        ; implicit-def: $vgpr168_vgpr169
                                        ; implicit-def: $vgpr162_vgpr163
                                        ; implicit-def: $vgpr164_vgpr165
	s_and_b32 vcc_lo, exec_lo, vcc_lo
	s_wait_loadcnt_dscnt 0x0
	v_mul_f64_e32 v[40:41], v[156:157], v[24:25]
	v_mul_f64_e32 v[42:43], v[154:155], v[24:25]
	;; [unrolled: 1-line block ×4, first 2 shown]
	s_wait_xcnt 0x0
	ds_load_b128 v[28:31], v190 offset:256
	ds_load_b128 v[24:27], v190 offset:272
	ds_store_2addr_b64 v180, v[40:41], v[42:43] offset1:67
	ds_store_2addr_b64 v180, v[46:47], v[48:49] offset0:134 offset1:201
	s_wait_dscnt 0x0
	s_barrier_signal -1
	s_barrier_wait -1
	ds_load_2addr_b64 v[48:51], v177 offset1:1
	ds_load_2addr_b64 v[40:43], v177 offset0:2 offset1:3
	s_wait_dscnt 0x0
	s_barrier_signal -1
	s_barrier_wait -1
	s_cbranch_vccnz .LBB160_117
; %bb.108:                              ;   in Loop: Header=BB160_71 Depth=2
	v_mov_b64_e32 v[162:163], 0
	v_mov_b64_e32 v[164:165], 0
	s_mov_b32 s83, exec_lo
	v_cmpx_gt_i32_e64 s82, v202
	s_cbranch_execz .LBB160_110
; %bb.109:                              ;   in Loop: Header=BB160_71 Depth=2
	flat_load_b64 v[164:165], v[44:45]
.LBB160_110:                            ;   in Loop: Header=BB160_71 Depth=2
	s_wait_xcnt 0x0
	s_or_b32 exec_lo, exec_lo, s83
	s_delay_alu instid0(SALU_CYCLE_1)
	s_mov_b32 s83, exec_lo
	v_cmpx_gt_i32_e64 s82, v203
	s_cbranch_execz .LBB160_112
; %bb.111:                              ;   in Loop: Header=BB160_71 Depth=2
	v_add_nc_u64_e32 v[46:47], v[132:133], v[64:65]
	flat_load_b64 v[162:163], v[46:47]
.LBB160_112:                            ;   in Loop: Header=BB160_71 Depth=2
	s_wait_xcnt 0x0
	s_or_b32 exec_lo, exec_lo, s83
	v_mov_b64_e32 v[166:167], 0
	v_mov_b64_e32 v[168:169], 0
	s_mov_b32 s83, exec_lo
	v_cmpx_gt_i32_e64 s82, v57
	s_cbranch_execz .LBB160_114
; %bb.113:                              ;   in Loop: Header=BB160_71 Depth=2
	v_add_nc_u64_e32 v[46:47], v[128:129], v[64:65]
	flat_load_b64 v[168:169], v[46:47]
.LBB160_114:                            ;   in Loop: Header=BB160_71 Depth=2
	s_wait_xcnt 0x0
	s_or_b32 exec_lo, exec_lo, s83
	s_delay_alu instid0(SALU_CYCLE_1)
	s_mov_b32 s83, exec_lo
	v_cmpx_gt_i32_e64 s82, v204
	s_cbranch_execz .LBB160_116
; %bb.115:                              ;   in Loop: Header=BB160_71 Depth=2
	v_add_nc_u64_e32 v[46:47], v[130:131], v[64:65]
	flat_load_b64 v[166:167], v[46:47]
.LBB160_116:                            ;   in Loop: Header=BB160_71 Depth=2
	s_wait_xcnt 0x0
	s_or_b32 exec_lo, exec_lo, s83
	s_mov_b32 s83, 0
.LBB160_117:                            ;   in Loop: Header=BB160_71 Depth=2
	s_delay_alu instid0(SALU_CYCLE_1)
	s_and_b32 vcc_lo, exec_lo, s83
	s_cbranch_vccz .LBB160_119
; %bb.118:                              ;   in Loop: Header=BB160_71 Depth=2
	v_add_nc_u64_e32 v[46:47], v[132:133], v[64:65]
	v_add_nc_u64_e32 v[52:53], v[128:129], v[64:65]
	;; [unrolled: 1-line block ×3, first 2 shown]
	s_wait_loadcnt_dscnt 0x0
	flat_load_b64 v[164:165], v[44:45]
	flat_load_b64 v[162:163], v[46:47]
	;; [unrolled: 1-line block ×4, first 2 shown]
.LBB160_119:                            ;   in Loop: Header=BB160_71 Depth=2
	s_wait_xcnt 0x1
	ds_load_b64 v[52:53], v188
	ds_load_b128 v[44:47], v190 offset:384
	v_add_f64_e32 v[36:37], 0, v[36:37]
	v_add_f64_e32 v[20:21], 0, v[20:21]
	;; [unrolled: 1-line block ×3, first 2 shown]
	v_cmp_gt_i32_e32 vcc_lo, s82, v170
	s_or_b32 s75, s75, vcc_lo
	s_delay_alu instid0(SALU_CYCLE_1)
	s_and_b32 s82, s17, s75
	s_wait_loadcnt_dscnt 0x1
	v_mul_f64_e32 v[206:207], v[164:165], v[52:53]
	v_mul_f64_e32 v[208:209], v[162:163], v[52:53]
	;; [unrolled: 1-line block ×4, first 2 shown]
	s_wait_xcnt 0x0
	ds_load_b128 v[52:55], v190 offset:400
	ds_store_2addr_b64 v180, v[206:207], v[208:209] offset1:67
	ds_store_2addr_b64 v180, v[210:211], v[212:213] offset0:134 offset1:201
	s_wait_dscnt 0x0
	s_barrier_signal -1
	s_barrier_wait -1
	ds_load_2addr_b64 v[206:209], v177 offset1:1
	ds_load_2addr_b64 v[210:213], v177 offset0:2 offset1:3
	v_add_f64_e32 v[36:37], v[36:37], v[38:39]
	v_add_f64_e32 v[20:21], v[20:21], v[22:23]
	;; [unrolled: 1-line block ×3, first 2 shown]
	s_wait_dscnt 0x0
	s_barrier_signal -1
	s_barrier_wait -1
	v_add_f64_e32 v[206:207], 0, v[206:207]
	s_delay_alu instid0(VALU_DEP_4) | instskip(NEXT) | instid1(VALU_DEP_4)
	v_add_f64_e32 v[32:33], v[36:37], v[32:33]
	v_add_f64_e32 v[8:9], v[20:21], v[8:9]
	s_delay_alu instid0(VALU_DEP_4) | instskip(NEXT) | instid1(VALU_DEP_4)
	v_add_f64_e32 v[38:39], v[48:49], v[40:41]
	;; [unrolled: 3-line block ×3, first 2 shown]
	v_add_f64_e32 v[8:9], v[8:9], v[10:11]
	s_delay_alu instid0(VALU_DEP_3) | instskip(SKIP_1) | instid1(VALU_DEP_2)
	v_add_f64_e32 v[20:21], v[22:23], v[210:211]
	v_add_f64_e32 v[22:23], v[38:39], v[42:43]
	;; [unrolled: 1-line block ×3, first 2 shown]
	ds_store_2addr_b64 v187, v[8:9], v[32:33] offset1:16
	ds_store_2addr_b64 v187, v[22:23], v[10:11] offset0:32 offset1:48
	s_wait_dscnt 0x0
	s_barrier_signal -1
	s_barrier_wait -1
	s_and_saveexec_b32 s75, s82
	s_cbranch_execz .LBB160_121
; %bb.120:                              ;   in Loop: Header=BB160_71 Depth=2
	ds_load_2addr_b64 v[8:11], v178 offset1:1
	ds_load_2addr_b64 v[20:23], v178 offset0:2 offset1:3
	s_wait_dscnt 0x1
	v_add_f64_e32 v[8:9], v[8:9], v[10:11]
	s_wait_dscnt 0x0
	s_delay_alu instid0(VALU_DEP_1) | instskip(NEXT) | instid1(VALU_DEP_1)
	v_add_f64_e32 v[8:9], v[8:9], v[20:21]
	v_add_f64_e32 v[32:33], v[8:9], v[22:23]
	ds_load_2addr_b64 v[8:11], v178 offset0:4 offset1:5
	ds_load_2addr_b64 v[20:23], v178 offset0:6 offset1:7
	s_wait_dscnt 0x1
	v_add_f64_e32 v[8:9], v[32:33], v[8:9]
	s_delay_alu instid0(VALU_DEP_1) | instskip(SKIP_1) | instid1(VALU_DEP_1)
	v_add_f64_e32 v[8:9], v[8:9], v[10:11]
	s_wait_dscnt 0x0
	v_add_f64_e32 v[8:9], v[8:9], v[20:21]
	s_delay_alu instid0(VALU_DEP_1) | instskip(SKIP_4) | instid1(VALU_DEP_1)
	v_add_f64_e32 v[32:33], v[8:9], v[22:23]
	ds_load_2addr_b64 v[8:11], v178 offset0:8 offset1:9
	ds_load_2addr_b64 v[20:23], v178 offset0:10 offset1:11
	s_wait_dscnt 0x1
	v_add_f64_e32 v[8:9], v[32:33], v[8:9]
	v_add_f64_e32 v[8:9], v[8:9], v[10:11]
	s_wait_dscnt 0x0
	s_delay_alu instid0(VALU_DEP_1) | instskip(NEXT) | instid1(VALU_DEP_1)
	v_add_f64_e32 v[8:9], v[8:9], v[20:21]
	v_add_f64_e32 v[20:21], v[8:9], v[22:23]
	ds_load_2addr_b64 v[8:11], v178 offset0:12 offset1:13
	ds_load_b64 v[22:23], v178 offset:112
	s_wait_dscnt 0x1
	v_add_f64_e32 v[8:9], v[20:21], v[8:9]
	s_delay_alu instid0(VALU_DEP_1) | instskip(SKIP_4) | instid1(VALU_DEP_1)
	v_add_f64_e32 v[8:9], v[8:9], v[10:11]
	ds_load_b64 v[10:11], v179
	s_wait_dscnt 0x1
	v_add_f64_e32 v[8:9], v[8:9], v[22:23]
	s_wait_dscnt 0x0
	v_add_f64_e32 v[8:9], v[8:9], v[10:11]
	v_add_nc_u32_e32 v10, s74, v170
	global_store_b64 v10, v[8:9], s[18:19] scale_offset
.LBB160_121:                            ;   in Loop: Header=BB160_71 Depth=2
	s_wait_xcnt 0x0
	s_or_b32 exec_lo, exec_lo, s75
	v_fmac_f64_e32 v[102:103], v[140:141], v[0:1]
	v_add_nc_u64_e32 v[104:105], s[66:67], v[104:105]
	v_add_nc_u64_e32 v[106:107], s[66:67], v[106:107]
	;; [unrolled: 1-line block ×16, first 2 shown]
	s_add_co_i32 s75, s81, 1
	s_add_co_i32 s81, s81, 2
	;; [unrolled: 1-line block ×3, first 2 shown]
	s_cmp_ge_u32 s81, s40
	s_wait_storecnt 0x0
	s_barrier_signal -1
	s_barrier_wait -1
	v_fmac_f64_e32 v[102:103], v[138:139], v[2:3]
	s_delay_alu instid0(VALU_DEP_1) | instskip(NEXT) | instid1(VALU_DEP_1)
	v_fmac_f64_e32 v[102:103], v[144:145], v[4:5]
	v_fmac_f64_e32 v[102:103], v[142:143], v[6:7]
	s_delay_alu instid0(VALU_DEP_1) | instskip(NEXT) | instid1(VALU_DEP_1)
	v_fmac_f64_e32 v[102:103], v[148:149], v[12:13]
	;; [unrolled: 3-line block ×7, first 2 shown]
	v_fmac_f64_e32 v[102:103], v[166:167], v[54:55]
	s_cbranch_scc1 .LBB160_123
; %bb.122:                              ;   in Loop: Header=BB160_71 Depth=2
	s_mov_b32 s81, s75
	s_delay_alu instid0(SALU_CYCLE_1)
	s_cmp_eq_u32 s45, s81
	s_cselect_b32 s82, s76, 0
	s_and_saveexec_b32 s83, s0
	s_cbranch_execnz .LBB160_68
	s_branch .LBB160_71
.LBB160_123:                            ;   in Loop: Header=BB160_4 Depth=1
	ds_store_b64 v181, v[102:103]
	s_wait_dscnt 0x0
	s_barrier_signal -1
	s_barrier_wait -1
	s_and_saveexec_b32 s74, s79
	s_cbranch_execz .LBB160_2
; %bb.124:                              ;   in Loop: Header=BB160_4 Depth=1
	ds_load_2addr_b64 v[0:3], v64 offset1:67
	s_wait_dscnt 0x0
	v_add_f64_e32 v[4:5], v[0:1], v[2:3]
	ds_load_2addr_b64 v[0:3], v64 offset0:134 offset1:201
	s_wait_dscnt 0x0
	v_add_f64_e32 v[0:1], v[4:5], v[0:1]
	s_delay_alu instid0(VALU_DEP_1)
	v_add_f64_e32 v[0:1], v[0:1], v[2:3]
	v_lshl_add_u64 v[2:3], v[60:61], 3, s[18:19]
	global_store_b64 v[2:3], v[0:1], off
	s_branch .LBB160_2
.LBB160_125:                            ;   in Loop: Header=BB160_4 Depth=1
	ds_load_b64 v[2:3], v183
	s_wait_dscnt 0x0
	ds_store_b64 v172, v[2:3]
	s_or_b32 exec_lo, exec_lo, s18
	s_and_saveexec_b32 s18, s7
	s_cbranch_execz .LBB160_26
.LBB160_126:                            ;   in Loop: Header=BB160_4 Depth=1
	ds_load_b64 v[2:3], v184
	s_wait_dscnt 0x0
	ds_store_b64 v172, v[2:3] offset:8
	s_or_b32 exec_lo, exec_lo, s18
	s_and_saveexec_b32 s18, s8
	s_cbranch_execz .LBB160_27
.LBB160_127:                            ;   in Loop: Header=BB160_4 Depth=1
	ds_load_b64 v[2:3], v184 offset:264
	s_wait_dscnt 0x0
	ds_store_b64 v172, v[2:3] offset:16
	s_or_b32 exec_lo, exec_lo, s18
	s_and_saveexec_b32 s18, s9
	s_cbranch_execnz .LBB160_28
	s_branch .LBB160_29
.LBB160_128:                            ;   in Loop: Header=BB160_4 Depth=1
	ds_load_b64 v[2:3], v183
	s_wait_dscnt 0x0
	ds_store_b64 v172, v[2:3]
	s_or_b32 exec_lo, exec_lo, s18
	s_and_saveexec_b32 s18, s7
	s_cbranch_execz .LBB160_45
.LBB160_129:                            ;   in Loop: Header=BB160_4 Depth=1
	ds_load_b64 v[2:3], v184
	s_wait_dscnt 0x0
	ds_store_b64 v172, v[2:3] offset:8
	s_or_b32 exec_lo, exec_lo, s18
	s_and_saveexec_b32 s18, s8
	s_cbranch_execz .LBB160_46
.LBB160_130:                            ;   in Loop: Header=BB160_4 Depth=1
	ds_load_b64 v[2:3], v184 offset:264
	s_wait_dscnt 0x0
	ds_store_b64 v172, v[2:3] offset:16
	s_or_b32 exec_lo, exec_lo, s18
	s_and_saveexec_b32 s18, s9
	s_cbranch_execnz .LBB160_47
	s_branch .LBB160_48
.LBB160_131:
	s_sendmsg sendmsg(MSG_DEALLOC_VGPRS)
	s_endpgm
	.section	.rodata,"a",@progbits
	.p2align	6, 0x0
	.amdhsa_kernel _ZL26rocblas_hemvn_kernel_upperILb0ELi64ELi4ELi33ELi32ELi16ElPKdPKS1_PdEviT6_lT7_lT5_lS6_lS7_lS5_lT8_i
		.amdhsa_group_segment_fixed_size 9600
		.amdhsa_private_segment_fixed_size 0
		.amdhsa_kernarg_size 376
		.amdhsa_user_sgpr_count 2
		.amdhsa_user_sgpr_dispatch_ptr 0
		.amdhsa_user_sgpr_queue_ptr 0
		.amdhsa_user_sgpr_kernarg_segment_ptr 1
		.amdhsa_user_sgpr_dispatch_id 0
		.amdhsa_user_sgpr_kernarg_preload_length 0
		.amdhsa_user_sgpr_kernarg_preload_offset 0
		.amdhsa_user_sgpr_private_segment_size 0
		.amdhsa_wavefront_size32 1
		.amdhsa_uses_dynamic_stack 0
		.amdhsa_enable_private_segment 0
		.amdhsa_system_sgpr_workgroup_id_x 1
		.amdhsa_system_sgpr_workgroup_id_y 0
		.amdhsa_system_sgpr_workgroup_id_z 1
		.amdhsa_system_sgpr_workgroup_info 0
		.amdhsa_system_vgpr_workitem_id 1
		.amdhsa_next_free_vgpr 214
		.amdhsa_next_free_sgpr 88
		.amdhsa_named_barrier_count 0
		.amdhsa_reserve_vcc 1
		.amdhsa_float_round_mode_32 0
		.amdhsa_float_round_mode_16_64 0
		.amdhsa_float_denorm_mode_32 3
		.amdhsa_float_denorm_mode_16_64 3
		.amdhsa_fp16_overflow 0
		.amdhsa_memory_ordered 1
		.amdhsa_forward_progress 1
		.amdhsa_inst_pref_size 52
		.amdhsa_round_robin_scheduling 0
		.amdhsa_exception_fp_ieee_invalid_op 0
		.amdhsa_exception_fp_denorm_src 0
		.amdhsa_exception_fp_ieee_div_zero 0
		.amdhsa_exception_fp_ieee_overflow 0
		.amdhsa_exception_fp_ieee_underflow 0
		.amdhsa_exception_fp_ieee_inexact 0
		.amdhsa_exception_int_div_zero 0
	.end_amdhsa_kernel
	.section	.text._ZL26rocblas_hemvn_kernel_upperILb0ELi64ELi4ELi33ELi32ELi16ElPKdPKS1_PdEviT6_lT7_lT5_lS6_lS7_lS5_lT8_i,"axG",@progbits,_ZL26rocblas_hemvn_kernel_upperILb0ELi64ELi4ELi33ELi32ELi16ElPKdPKS1_PdEviT6_lT7_lT5_lS6_lS7_lS5_lT8_i,comdat
.Lfunc_end160:
	.size	_ZL26rocblas_hemvn_kernel_upperILb0ELi64ELi4ELi33ELi32ELi16ElPKdPKS1_PdEviT6_lT7_lT5_lS6_lS7_lS5_lT8_i, .Lfunc_end160-_ZL26rocblas_hemvn_kernel_upperILb0ELi64ELi4ELi33ELi32ELi16ElPKdPKS1_PdEviT6_lT7_lT5_lS6_lS7_lS5_lT8_i
                                        ; -- End function
	.set _ZL26rocblas_hemvn_kernel_upperILb0ELi64ELi4ELi33ELi32ELi16ElPKdPKS1_PdEviT6_lT7_lT5_lS6_lS7_lS5_lT8_i.num_vgpr, 214
	.set _ZL26rocblas_hemvn_kernel_upperILb0ELi64ELi4ELi33ELi32ELi16ElPKdPKS1_PdEviT6_lT7_lT5_lS6_lS7_lS5_lT8_i.num_agpr, 0
	.set _ZL26rocblas_hemvn_kernel_upperILb0ELi64ELi4ELi33ELi32ELi16ElPKdPKS1_PdEviT6_lT7_lT5_lS6_lS7_lS5_lT8_i.numbered_sgpr, 88
	.set _ZL26rocblas_hemvn_kernel_upperILb0ELi64ELi4ELi33ELi32ELi16ElPKdPKS1_PdEviT6_lT7_lT5_lS6_lS7_lS5_lT8_i.num_named_barrier, 0
	.set _ZL26rocblas_hemvn_kernel_upperILb0ELi64ELi4ELi33ELi32ELi16ElPKdPKS1_PdEviT6_lT7_lT5_lS6_lS7_lS5_lT8_i.private_seg_size, 0
	.set _ZL26rocblas_hemvn_kernel_upperILb0ELi64ELi4ELi33ELi32ELi16ElPKdPKS1_PdEviT6_lT7_lT5_lS6_lS7_lS5_lT8_i.uses_vcc, 1
	.set _ZL26rocblas_hemvn_kernel_upperILb0ELi64ELi4ELi33ELi32ELi16ElPKdPKS1_PdEviT6_lT7_lT5_lS6_lS7_lS5_lT8_i.uses_flat_scratch, 1
	.set _ZL26rocblas_hemvn_kernel_upperILb0ELi64ELi4ELi33ELi32ELi16ElPKdPKS1_PdEviT6_lT7_lT5_lS6_lS7_lS5_lT8_i.has_dyn_sized_stack, 0
	.set _ZL26rocblas_hemvn_kernel_upperILb0ELi64ELi4ELi33ELi32ELi16ElPKdPKS1_PdEviT6_lT7_lT5_lS6_lS7_lS5_lT8_i.has_recursion, 0
	.set _ZL26rocblas_hemvn_kernel_upperILb0ELi64ELi4ELi33ELi32ELi16ElPKdPKS1_PdEviT6_lT7_lT5_lS6_lS7_lS5_lT8_i.has_indirect_call, 0
	.section	.AMDGPU.csdata,"",@progbits
; Kernel info:
; codeLenInByte = 6640
; TotalNumSgprs: 90
; NumVgprs: 214
; ScratchSize: 0
; MemoryBound: 0
; FloatMode: 240
; IeeeMode: 1
; LDSByteSize: 9600 bytes/workgroup (compile time only)
; SGPRBlocks: 0
; VGPRBlocks: 13
; NumSGPRsForWavesPerEU: 90
; NumVGPRsForWavesPerEU: 214
; NamedBarCnt: 0
; Occupancy: 4
; WaveLimiterHint : 1
; COMPUTE_PGM_RSRC2:SCRATCH_EN: 0
; COMPUTE_PGM_RSRC2:USER_SGPR: 2
; COMPUTE_PGM_RSRC2:TRAP_HANDLER: 0
; COMPUTE_PGM_RSRC2:TGID_X_EN: 1
; COMPUTE_PGM_RSRC2:TGID_Y_EN: 0
; COMPUTE_PGM_RSRC2:TGID_Z_EN: 1
; COMPUTE_PGM_RSRC2:TIDIG_COMP_CNT: 1
	.section	.text._ZL36rocblas_hemvn_kernel_upper_block_sumILi64ElPKdPKPddEviT1_lS5_lT2_lT0_lPT3_i,"axG",@progbits,_ZL36rocblas_hemvn_kernel_upper_block_sumILi64ElPKdPKPddEviT1_lS5_lT2_lT0_lPT3_i,comdat
	.globl	_ZL36rocblas_hemvn_kernel_upper_block_sumILi64ElPKdPKPddEviT1_lS5_lT2_lT0_lPT3_i ; -- Begin function _ZL36rocblas_hemvn_kernel_upper_block_sumILi64ElPKdPKPddEviT1_lS5_lT2_lT0_lPT3_i
	.p2align	8
	.type	_ZL36rocblas_hemvn_kernel_upper_block_sumILi64ElPKdPKPddEviT1_lS5_lT2_lT0_lPT3_i,@function
_ZL36rocblas_hemvn_kernel_upper_block_sumILi64ElPKdPKPddEviT1_lS5_lT2_lT0_lPT3_i: ; @_ZL36rocblas_hemvn_kernel_upper_block_sumILi64ElPKdPKPddEviT1_lS5_lT2_lT0_lPT3_i
; %bb.0:
	s_load_b32 s3, s[0:1], 0x50
	s_bfe_u32 s2, ttmp6, 0x40014
	s_lshr_b32 s4, ttmp7, 16
	s_add_co_i32 s2, s2, 1
	s_bfe_u32 s6, ttmp6, 0x40008
	s_mul_i32 s5, s4, s2
	s_getreg_b32 s2, hwreg(HW_REG_IB_STS2, 6, 4)
	s_add_co_i32 s6, s6, s5
	s_cmp_eq_u32 s2, 0
	s_mov_b32 s13, 0
	s_cselect_b32 s12, s4, s6
	s_wait_kmcnt 0x0
	s_cmp_ge_u32 s12, s3
	s_cbranch_scc1 .LBB161_24
; %bb.1:
	s_bfe_u32 s4, ttmp6, 0x4000c
	s_clause 0x1
	s_load_b128 s[20:23], s[0:1], 0x30
	s_load_b32 s18, s[0:1], 0x0
	s_add_co_i32 s4, s4, 1
	s_and_b32 s5, ttmp6, 15
	s_mul_i32 s4, ttmp9, s4
	s_add_nc_u64 s[16:17], s[0:1], 0x58
	s_add_co_i32 s5, s5, s4
	s_cmp_eq_u32 s2, 0
	v_mov_b32_e32 v12, 0
	s_cselect_b32 s24, ttmp9, s5
	s_delay_alu instid0(SALU_CYCLE_1) | instskip(NEXT) | instid1(VALU_DEP_1)
	v_lshl_or_b32 v2, s24, 6, v0
	v_ashrrev_i32_e32 v3, 31, v2
	s_wait_kmcnt 0x0
	v_cmp_gt_i32_e64 s2, s18, v2
	s_delay_alu instid0(VALU_DEP_2)
	v_mul_u64_e32 v[0:1], s[22:23], v[2:3]
	s_clause 0x2
	s_load_b64 s[22:23], s[0:1], 0x48
	s_load_b64 s[14:15], s[0:1], 0x28
	s_load_b256 s[4:11], s[0:1], 0x8
	s_ashr_i32 s19, s18, 31
	s_cmp_gt_i32 s24, -1
	s_wait_kmcnt 0x0
	v_lshl_add_u64 v[2:3], v[2:3], 3, s[22:23]
	s_cselect_b32 s22, -1, 0
	s_add_co_i32 s23, s24, 1
	s_lshl_b64 s[18:19], s[18:19], 3
	s_lshl_b64 s[20:21], s[20:21], 3
	s_branch .LBB161_4
.LBB161_2:                              ;   in Loop: Header=BB161_4 Depth=1
	s_wait_xcnt 0x0
	s_or_b32 exec_lo, exec_lo, s25
.LBB161_3:                              ;   in Loop: Header=BB161_4 Depth=1
	s_add_co_i32 s12, s12, 0x10000
	s_delay_alu instid0(SALU_CYCLE_1)
	s_cmp_lt_u32 s12, s3
	s_cbranch_scc0 .LBB161_24
.LBB161_4:                              ; =>This Loop Header: Depth=1
                                        ;     Child Loop BB161_15 Depth 2
	s_mul_u64 s[0:1], s[6:7], s[12:13]
	s_wait_xcnt 0x0
	s_mul_u64 s[24:25], s[10:11], s[12:13]
	s_lshl_b64 s[0:1], s[0:1], 3
	s_lshl_b64 s[24:25], s[24:25], 3
	s_add_nc_u64 s[0:1], s[4:5], s[0:1]
	s_add_nc_u64 s[24:25], s[8:9], s[24:25]
	s_clause 0x1
	global_load_b64 v[4:5], v12, s[0:1]
	global_load_b64 v[6:7], v12, s[24:25]
	s_wait_loadcnt 0x1
	v_cmp_eq_f64_e32 vcc_lo, 0, v[4:5]
	s_wait_loadcnt 0x0
	s_wait_xcnt 0x1
	v_cmp_eq_f64_e64 s0, 1.0, v[6:7]
	s_and_b32 s0, vcc_lo, s0
	s_delay_alu instid0(SALU_CYCLE_1)
	s_and_b32 vcc_lo, exec_lo, s0
	s_cbranch_vccnz .LBB161_3
; %bb.5:                                ;   in Loop: Header=BB161_4 Depth=1
	v_cmp_neq_f64_e32 vcc_lo, 0, v[4:5]
	s_lshl_b64 s[0:1], s[12:13], 3
	s_delay_alu instid0(SALU_CYCLE_1)
	s_add_nc_u64 s[0:1], s[14:15], s[0:1]
	s_load_b64 s[0:1], s[0:1], 0x0
	s_wait_kmcnt 0x0
	s_wait_xcnt 0x0
	s_add_nc_u64 s[0:1], s[0:1], s[20:21]
	s_cbranch_vccnz .LBB161_10
; %bb.6:                                ;   in Loop: Header=BB161_4 Depth=1
	s_mov_b32 s25, 0
	s_mov_b32 s24, 0
                                        ; implicit-def: $vgpr8_vgpr9
	s_and_saveexec_b32 s26, s2
	s_cbranch_execz .LBB161_11
; %bb.7:                                ;   in Loop: Header=BB161_4 Depth=1
	v_cmp_eq_f64_e32 vcc_lo, 0, v[6:7]
	v_mov_b64_e32 v[8:9], 0
	s_cbranch_vccnz .LBB161_9
; %bb.8:                                ;   in Loop: Header=BB161_4 Depth=1
	v_lshl_add_u64 v[8:9], v[0:1], 3, s[0:1]
	flat_load_b64 v[8:9], v[8:9]
	s_wait_loadcnt_dscnt 0x0
	s_wait_xcnt 0x0
	v_mul_f64_e32 v[8:9], v[6:7], v[8:9]
.LBB161_9:                              ;   in Loop: Header=BB161_4 Depth=1
	s_mov_b32 s24, exec_lo
	s_or_b32 exec_lo, exec_lo, s26
	s_delay_alu instid0(SALU_CYCLE_1)
	s_and_b32 vcc_lo, exec_lo, s25
	s_cbranch_vccnz .LBB161_12
	s_branch .LBB161_21
.LBB161_10:                             ;   in Loop: Header=BB161_4 Depth=1
	s_mov_b32 s24, 0
                                        ; implicit-def: $vgpr8_vgpr9
	s_cbranch_execnz .LBB161_12
	s_branch .LBB161_21
.LBB161_11:                             ;   in Loop: Header=BB161_4 Depth=1
	s_or_b32 exec_lo, exec_lo, s26
	s_delay_alu instid0(SALU_CYCLE_1)
	s_and_b32 vcc_lo, exec_lo, s25
	s_cbranch_vccz .LBB161_21
.LBB161_12:                             ;   in Loop: Header=BB161_4 Depth=1
                                        ; implicit-def: $vgpr8_vgpr9
	s_and_saveexec_b32 s25, s2
	s_cbranch_execz .LBB161_20
; %bb.13:                               ;   in Loop: Header=BB161_4 Depth=1
	v_mov_b64_e32 v[10:11], 0
	s_and_not1_b32 vcc_lo, exec_lo, s22
	s_cbranch_vccnz .LBB161_16
; %bb.14:                               ;   in Loop: Header=BB161_4 Depth=1
	s_load_b32 s26, s[16:17], 0x0
	s_mov_b32 s27, s13
	v_mov_b64_e32 v[10:11], 0
	s_wait_kmcnt 0x0
	s_mul_u64 s[26:27], s[18:19], s[26:27]
	s_delay_alu instid0(SALU_CYCLE_1) | instskip(SKIP_1) | instid1(VALU_DEP_1)
	v_mad_nc_u64_u32 v[8:9], s26, s12, v[2:3]
	s_mov_b32 s26, s23
	v_mad_u32 v9, s27, s12, v9
.LBB161_15:                             ;   Parent Loop BB161_4 Depth=1
                                        ; =>  This Inner Loop Header: Depth=2
	global_load_b64 v[14:15], v[8:9], off
	s_wait_xcnt 0x0
	v_add_nc_u64_e32 v[8:9], s[18:19], v[8:9]
	s_add_co_i32 s26, s26, -1
	s_delay_alu instid0(SALU_CYCLE_1)
	s_cmp_eq_u32 s26, 0
	s_wait_loadcnt 0x0
	v_add_f64_e32 v[10:11], v[10:11], v[14:15]
	s_cbranch_scc0 .LBB161_15
.LBB161_16:                             ;   in Loop: Header=BB161_4 Depth=1
	v_cmp_eq_f64_e32 vcc_lo, 0, v[6:7]
	s_cbranch_vccz .LBB161_23
; %bb.17:                               ;   in Loop: Header=BB161_4 Depth=1
	s_delay_alu instid0(VALU_DEP_2)
	v_mul_f64_e32 v[8:9], v[4:5], v[10:11]
	s_cbranch_execnz .LBB161_19
.LBB161_18:                             ;   in Loop: Header=BB161_4 Depth=1
	v_lshl_add_u64 v[8:9], v[0:1], 3, s[0:1]
	flat_load_b64 v[8:9], v[8:9]
	s_wait_loadcnt_dscnt 0x0
	s_wait_xcnt 0x0
	v_mul_f64_e32 v[8:9], v[6:7], v[8:9]
	s_delay_alu instid0(VALU_DEP_1)
	v_fmac_f64_e32 v[8:9], v[4:5], v[10:11]
.LBB161_19:                             ;   in Loop: Header=BB161_4 Depth=1
	s_or_b32 s24, s24, exec_lo
.LBB161_20:                             ;   in Loop: Header=BB161_4 Depth=1
	s_or_b32 exec_lo, exec_lo, s25
.LBB161_21:                             ;   in Loop: Header=BB161_4 Depth=1
	s_and_saveexec_b32 s25, s24
	s_cbranch_execz .LBB161_2
; %bb.22:                               ;   in Loop: Header=BB161_4 Depth=1
	v_lshl_add_u64 v[4:5], v[0:1], 3, s[0:1]
	flat_store_b64 v[4:5], v[8:9]
	s_branch .LBB161_2
.LBB161_23:                             ;   in Loop: Header=BB161_4 Depth=1
                                        ; implicit-def: $vgpr8_vgpr9
	s_branch .LBB161_18
.LBB161_24:
	s_endpgm
	.section	.rodata,"a",@progbits
	.p2align	6, 0x0
	.amdhsa_kernel _ZL36rocblas_hemvn_kernel_upper_block_sumILi64ElPKdPKPddEviT1_lS5_lT2_lT0_lPT3_i
		.amdhsa_group_segment_fixed_size 0
		.amdhsa_private_segment_fixed_size 0
		.amdhsa_kernarg_size 344
		.amdhsa_user_sgpr_count 2
		.amdhsa_user_sgpr_dispatch_ptr 0
		.amdhsa_user_sgpr_queue_ptr 0
		.amdhsa_user_sgpr_kernarg_segment_ptr 1
		.amdhsa_user_sgpr_dispatch_id 0
		.amdhsa_user_sgpr_kernarg_preload_length 0
		.amdhsa_user_sgpr_kernarg_preload_offset 0
		.amdhsa_user_sgpr_private_segment_size 0
		.amdhsa_wavefront_size32 1
		.amdhsa_uses_dynamic_stack 0
		.amdhsa_enable_private_segment 0
		.amdhsa_system_sgpr_workgroup_id_x 1
		.amdhsa_system_sgpr_workgroup_id_y 0
		.amdhsa_system_sgpr_workgroup_id_z 1
		.amdhsa_system_sgpr_workgroup_info 0
		.amdhsa_system_vgpr_workitem_id 0
		.amdhsa_next_free_vgpr 16
		.amdhsa_next_free_sgpr 28
		.amdhsa_named_barrier_count 0
		.amdhsa_reserve_vcc 1
		.amdhsa_float_round_mode_32 0
		.amdhsa_float_round_mode_16_64 0
		.amdhsa_float_denorm_mode_32 3
		.amdhsa_float_denorm_mode_16_64 3
		.amdhsa_fp16_overflow 0
		.amdhsa_memory_ordered 1
		.amdhsa_forward_progress 1
		.amdhsa_inst_pref_size 6
		.amdhsa_round_robin_scheduling 0
		.amdhsa_exception_fp_ieee_invalid_op 0
		.amdhsa_exception_fp_denorm_src 0
		.amdhsa_exception_fp_ieee_div_zero 0
		.amdhsa_exception_fp_ieee_overflow 0
		.amdhsa_exception_fp_ieee_underflow 0
		.amdhsa_exception_fp_ieee_inexact 0
		.amdhsa_exception_int_div_zero 0
	.end_amdhsa_kernel
	.section	.text._ZL36rocblas_hemvn_kernel_upper_block_sumILi64ElPKdPKPddEviT1_lS5_lT2_lT0_lPT3_i,"axG",@progbits,_ZL36rocblas_hemvn_kernel_upper_block_sumILi64ElPKdPKPddEviT1_lS5_lT2_lT0_lPT3_i,comdat
.Lfunc_end161:
	.size	_ZL36rocblas_hemvn_kernel_upper_block_sumILi64ElPKdPKPddEviT1_lS5_lT2_lT0_lPT3_i, .Lfunc_end161-_ZL36rocblas_hemvn_kernel_upper_block_sumILi64ElPKdPKPddEviT1_lS5_lT2_lT0_lPT3_i
                                        ; -- End function
	.set _ZL36rocblas_hemvn_kernel_upper_block_sumILi64ElPKdPKPddEviT1_lS5_lT2_lT0_lPT3_i.num_vgpr, 16
	.set _ZL36rocblas_hemvn_kernel_upper_block_sumILi64ElPKdPKPddEviT1_lS5_lT2_lT0_lPT3_i.num_agpr, 0
	.set _ZL36rocblas_hemvn_kernel_upper_block_sumILi64ElPKdPKPddEviT1_lS5_lT2_lT0_lPT3_i.numbered_sgpr, 28
	.set _ZL36rocblas_hemvn_kernel_upper_block_sumILi64ElPKdPKPddEviT1_lS5_lT2_lT0_lPT3_i.num_named_barrier, 0
	.set _ZL36rocblas_hemvn_kernel_upper_block_sumILi64ElPKdPKPddEviT1_lS5_lT2_lT0_lPT3_i.private_seg_size, 0
	.set _ZL36rocblas_hemvn_kernel_upper_block_sumILi64ElPKdPKPddEviT1_lS5_lT2_lT0_lPT3_i.uses_vcc, 1
	.set _ZL36rocblas_hemvn_kernel_upper_block_sumILi64ElPKdPKPddEviT1_lS5_lT2_lT0_lPT3_i.uses_flat_scratch, 0
	.set _ZL36rocblas_hemvn_kernel_upper_block_sumILi64ElPKdPKPddEviT1_lS5_lT2_lT0_lPT3_i.has_dyn_sized_stack, 0
	.set _ZL36rocblas_hemvn_kernel_upper_block_sumILi64ElPKdPKPddEviT1_lS5_lT2_lT0_lPT3_i.has_recursion, 0
	.set _ZL36rocblas_hemvn_kernel_upper_block_sumILi64ElPKdPKPddEviT1_lS5_lT2_lT0_lPT3_i.has_indirect_call, 0
	.section	.AMDGPU.csdata,"",@progbits
; Kernel info:
; codeLenInByte = 732
; TotalNumSgprs: 30
; NumVgprs: 16
; ScratchSize: 0
; MemoryBound: 0
; FloatMode: 240
; IeeeMode: 1
; LDSByteSize: 0 bytes/workgroup (compile time only)
; SGPRBlocks: 0
; VGPRBlocks: 0
; NumSGPRsForWavesPerEU: 30
; NumVGPRsForWavesPerEU: 16
; NamedBarCnt: 0
; Occupancy: 16
; WaveLimiterHint : 1
; COMPUTE_PGM_RSRC2:SCRATCH_EN: 0
; COMPUTE_PGM_RSRC2:USER_SGPR: 2
; COMPUTE_PGM_RSRC2:TRAP_HANDLER: 0
; COMPUTE_PGM_RSRC2:TGID_X_EN: 1
; COMPUTE_PGM_RSRC2:TGID_Y_EN: 0
; COMPUTE_PGM_RSRC2:TGID_Z_EN: 1
; COMPUTE_PGM_RSRC2:TIDIG_COMP_CNT: 0
	.section	.text._ZL26rocblas_hemvn_kernel_upperILb0ELi64ELi4ELi33ELi32ELi16EiPKdPKS1_PdEviT6_lT7_lT5_lS6_lS7_lS5_lT8_i,"axG",@progbits,_ZL26rocblas_hemvn_kernel_upperILb0ELi64ELi4ELi33ELi32ELi16EiPKdPKS1_PdEviT6_lT7_lT5_lS6_lS7_lS5_lT8_i,comdat
	.globl	_ZL26rocblas_hemvn_kernel_upperILb0ELi64ELi4ELi33ELi32ELi16EiPKdPKS1_PdEviT6_lT7_lT5_lS6_lS7_lS5_lT8_i ; -- Begin function _ZL26rocblas_hemvn_kernel_upperILb0ELi64ELi4ELi33ELi32ELi16EiPKdPKS1_PdEviT6_lT7_lT5_lS6_lS7_lS5_lT8_i
	.p2align	8
	.type	_ZL26rocblas_hemvn_kernel_upperILb0ELi64ELi4ELi33ELi32ELi16EiPKdPKS1_PdEviT6_lT7_lT5_lS6_lS7_lS5_lT8_i,@function
_ZL26rocblas_hemvn_kernel_upperILb0ELi64ELi4ELi33ELi32ELi16EiPKdPKS1_PdEviT6_lT7_lT5_lS6_lS7_lS5_lT8_i: ; @_ZL26rocblas_hemvn_kernel_upperILb0ELi64ELi4ELi33ELi32ELi16EiPKdPKS1_PdEviT6_lT7_lT5_lS6_lS7_lS5_lT8_i
; %bb.0:
	s_clause 0x1
	s_load_b64 s[4:5], s[0:1], 0x84
	s_load_b32 s33, s[0:1], 0x70
	s_bfe_u32 s2, ttmp6, 0x40014
	s_lshr_b32 s6, ttmp7, 16
	s_add_co_i32 s2, s2, 1
	s_bfe_u32 s7, ttmp6, 0x40008
	s_mul_i32 s2, s6, s2
	s_getreg_b32 s3, hwreg(HW_REG_IB_STS2, 6, 4)
	s_add_co_i32 s7, s7, s2
	s_mov_b32 s35, 0
	s_wait_kmcnt 0x0
	s_lshr_b32 s2, s4, 16
	s_and_b32 s4, s4, 0xffff
	s_and_b32 s5, s5, 0xffff
	s_mul_i32 s2, s2, s4
	s_cmp_eq_u32 s3, 0
	s_mul_i32 s2, s2, s5
	s_cselect_b32 s34, s6, s7
	s_cmp_lg_u32 s2, 0x100
	s_cselect_b32 s2, -1, 0
	s_cmp_ge_u32 s34, s33
	s_cselect_b32 s4, -1, 0
	s_delay_alu instid0(SALU_CYCLE_1) | instskip(NEXT) | instid1(SALU_CYCLE_1)
	s_or_b32 s2, s2, s4
	s_and_b32 vcc_lo, exec_lo, s2
	s_cbranch_vccnz .LBB162_131
; %bb.1:
	s_clause 0x1
	s_load_b32 s8, s[0:1], 0x0
	s_load_b32 s20, s[0:1], 0x28
	s_add_nc_u64 s[6:7], s[0:1], 0x78
	s_clause 0x2
	s_load_b128 s[28:31], s[0:1], 0x38
	s_load_b32 s24, s[0:1], 0x48
	s_load_b64 s[4:5], s[0:1], 0x68
	s_load_b32 s40, s[6:7], 0x0
	s_bfe_u32 s2, ttmp6, 0x4000c
	v_and_b32_e32 v172, 0x3ff, v0
	s_add_co_i32 s2, s2, 1
	v_bfe_u32 v1, v0, 10, 10
	s_wait_xcnt 0x0
	s_and_b32 s6, ttmp6, 15
	s_mul_i32 s7, ttmp9, s2
	v_dual_mov_b32 v57, 0 :: v_dual_bitop2_b32 v56, 31, v0 bitop3:0x40
	s_add_co_i32 s6, s6, s7
	v_lshl_add_u32 v4, v1, 6, v172
                                        ; implicit-def: $vgpr211 : SGPR spill to VGPR lane
	s_mov_b32 s41, s35
	v_cmp_eq_u32_e64 s2, 0, v1
	v_lshl_add_u32 v182, v1, 5, 0x2180
	s_load_b128 s[36:39], s[0:1], 0x58
	v_lshrrev_b32_e32 v3, 5, v4
	s_wait_kmcnt 0x0
	s_ashr_i32 s9, s8, 31
	s_ashr_i32 s21, s20, 31
	s_cmp_eq_u32 s3, 0
	v_and_b32_e32 v10, 0x7fe0, v4
	s_cselect_b32 s42, ttmp9, s6
	s_lshr_b32 s3, s9, 26
	s_lshl_b32 s22, s42, 6
	s_add_co_i32 s3, s8, s3
	v_dual_lshlrev_b32 v173, 3, v172 :: v_dual_add_nc_u32 v58, s22, v172
	s_and_not1_b32 s3, s3, 63
	s_add_co_i32 s6, s40, -1
	s_sub_co_i32 s100, s8, s3
	s_cmp_eq_u32 s42, s6
	v_mul_lo_u32 v60, s24, v58
	s_cselect_b32 s44, s100, 0
	v_mad_u32 v62, s20, v3, v56
	s_cmp_lg_u32 s44, 0
	v_lshlrev_b32_e32 v179, 2, v1
	s_cselect_b32 s101, -1, 0
	s_cmp_eq_u32 s44, 0
	s_mul_u64 s[46:47], s[40:41], s[8:9]
	s_cselect_b32 s3, -1, 0
	s_ashr_i32 s43, s42, 31
	s_lshl_b32 s58, s20, 5
	s_mul_u64 s[6:7], s[8:9], s[42:43]
	s_ashr_i32 s59, s58, 31
	s_lshl_b64 s[6:7], s[6:7], 3
	v_dual_ashrrev_i32 v63, 31, v62 :: v_dual_ashrrev_i32 v61, 31, v60
	v_add_nc_u32_e32 v2, 8, v3
	s_add_nc_u64 s[48:49], s[4:5], s[6:7]
	v_cmp_gt_i32_e64 s4, s44, v3
	v_dual_lshlrev_b32 v8, 3, v56 :: v_dual_add_nc_u32 v5, 16, v3
	v_dual_add_nc_u32 v6, 24, v3 :: v_dual_lshlrev_b32 v7, 2, v3
	s_delay_alu instid0(VALU_DEP_3) | instskip(SKIP_1) | instid1(VALU_DEP_4)
	v_writelane_b32 v211, s4, 0
	v_cmp_gt_i32_e64 s4, s44, v2
	v_lshl_or_b32 v175, v56, 8, v8
	v_lshlrev_b32_e32 v15, 3, v3
	v_or_b32_e32 v13, 2, v7
	v_cmp_gt_u32_e64 s8, v7, v56
	v_writelane_b32 v211, s4, 1
	v_cmp_gt_i32_e64 s4, s44, v5
	v_dual_add_nc_u32 v176, v175, v10 :: v_dual_bitop2_b32 v11, 1, v7 bitop3:0x54
	v_cmp_ge_u32_e64 s9, v7, v56
	v_or_b32_e32 v7, 3, v7
	s_delay_alu instid0(VALU_DEP_4)
	v_writelane_b32 v211, s4, 2
	v_cmp_gt_i32_e64 s4, s44, v6
	v_mul_u32_u24_e32 v9, 0x108, v3
	v_mul_u32_u24_e32 v12, 0x420, v3
	v_cmp_eq_u32_e64 s18, 1, v3
	v_mul_i32_i24_e32 v180, 0xffffffe8, v3
	v_writelane_b32 v211, s4, 3
	s_sub_co_i32 s4, s44, 32
	v_mad_u32_u24 v183, 0x860, v1, v173
	v_cmp_gt_i32_e64 s15, s4, v2
	v_mad_u32 v2, s20, v179, v172
	v_cmp_gt_i32_e64 s16, s4, v5
	v_cmp_gt_i32_e64 s17, s4, v6
	v_lshrrev_b32_e32 v5, 4, v4
	v_cmp_gt_u32_e64 s11, v7, v56
	v_or_b32_e32 v7, 32, v56
	v_and_b32_e32 v6, 15, v0
	v_and_b32_e32 v0, 48, v0
	v_cmp_gt_i32_e64 s14, s4, v3
	v_or_b32_e32 v187, 1, v179
	v_cmp_gt_i32_e64 s13, s44, v7
	v_dual_ashrrev_i32 v3, 31, v2 :: v_dual_lshlrev_b32 v7, 5, v5
	v_lshlrev_b32_e32 v0, 3, v0
	v_mad_u32_u24 v199, 0x218, v1, v173
	v_cmp_gt_i32_e32 vcc_lo, s44, v172
	s_mul_i32 s50, s20, s22
	s_lshl_b32 s52, s20, 3
	v_mad_u32_u24 v185, 0x218, v6, v0
	v_add_nc_u64_e32 v[0:1], s[58:59], v[2:3]
	s_lshl_b32 s54, s20, 4
	s_mul_i32 s56, s20, 24
	s_mul_i32 s4, s24, s22
	s_add_co_i32 s25, s42, 1
	s_or_b32 s102, s3, vcc_lo
	s_ashr_i32 s23, s22, 31
	v_lshlrev_b64_e32 v[0:1], 3, v[0:1]
	s_ashr_i32 s51, s50, 31
	s_ashr_i32 s45, s44, 31
	;; [unrolled: 1-line block ×6, first 2 shown]
	s_cmp_lt_u32 s25, s40
	s_mul_i32 s26, s24, s25
	v_add_nc_u32_e32 v177, 0x2380, v10
	v_or_b32_e32 v10, 0x78, v173
	s_sub_nc_u64 s[60:61], 0, s[4:5]
	s_cselect_b32 s41, -1, 0
	s_lshl_b32 s103, s24, 6
	s_lshl_b32 s4, s20, 1
	s_mul_i32 s6, s20, 3
	s_lshl_b64 s[64:65], s[20:21], 6
	s_lshl_b64 s[24:25], s[20:21], 3
	s_lshl_b32 vcc_hi, s26, 6
	s_lshl_b64 s[26:27], s[20:21], 4
	s_mul_u64 s[76:77], s[20:21], 24
	s_add_nc_u64 s[20:21], s[20:21], s[54:55]
	s_add_nc_u64 s[70:71], s[58:59], s[54:55]
	v_mad_nc_u64_u32 v[72:73], s20, 24, v[0:1]
	v_mad_nc_i64_i32 v[78:79], s54, 24, v[0:1]
	v_mad_u32_u24 v184, 0x218, v6, v7
	v_mad_u32_u24 v186, 0x218, v6, v10
	v_lshlrev_b64_e32 v[6:7], 3, v[2:3]
	v_add_nc_u64_e32 v[2:3], s[70:71], v[2:3]
	s_lshl_b64 s[88:89], s[54:55], 4
	s_ashr_i32 s5, s4, 31
	s_ashr_i32 s7, s6, 31
	s_lshl_b64 s[86:87], s[58:59], 3
	s_add_nc_u64 s[78:79], s[76:77], s[88:89]
	s_add_nc_u64 s[66:67], s[26:27], s[86:87]
	s_lshl_b64 s[4:5], s[4:5], 3
	s_add_nc_u64 s[70:71], s[24:25], s[86:87]
	s_lshl_b64 s[6:7], s[6:7], 3
	s_lshl_b64 s[80:81], s[54:55], 3
	v_add_nc_u64_e32 v[76:77], s[78:79], v[0:1]
	s_mul_u64 s[78:79], s[54:55], 24
	v_add_nc_u64_e32 v[70:71], s[76:77], v[0:1]
	s_add_nc_u64 s[72:73], s[86:87], s[4:5]
	s_add_nc_u64 s[74:75], s[86:87], s[6:7]
	v_lshl_add_u64 v[74:75], v[2:3], 3, s[76:77]
	s_add_nc_u64 s[76:77], s[66:67], s[80:81]
	s_add_nc_u64 s[26:27], s[78:79], s[26:27]
	;; [unrolled: 1-line block ×5, first 2 shown]
	v_add_nc_u64_e32 v[80:81], s[26:27], v[0:1]
	v_mad_u32 v73, s21, 24, v73
	v_add_nc_u64_e32 v[82:83], s[24:25], v[78:79]
	s_add_nc_u64 s[90:91], s[86:87], s[24:25]
	s_lshl_b64 s[94:95], s[22:23], 3
	s_load_b256 s[20:27], s[0:1], 0x8
	v_cmp_gt_u32_e64 s10, v13, v56
	v_cmp_gt_u32_e64 s12, 32, v4
	v_mul_i32_i24_e32 v13, 0xffffffe8, v5
	v_cmp_gt_u32_e64 s19, 64, v4
	v_lshlrev_b64_e32 v[4:5], 3, v[62:63]
	v_mul_u32_u24_e32 v11, 0x108, v11
	v_mul_u32_u24_e32 v14, 33, v56
	v_sub_nc_u64_e32 v[64:65], 0, v[56:57]
	v_add_nc_u64_e32 v[84:85], s[4:5], v[78:79]
	v_add_nc_u64_e32 v[86:87], s[6:7], v[78:79]
	v_add_nc_u32_e32 v174, 0x2380, v173
	v_sub_nc_u64_e32 v[66:67], 0, v[4:5]
	v_sub_nc_u64_e32 v[68:69], v[6:7], v[4:5]
	v_cmp_gt_i32_e64 s3, s44, v56
	v_lshl_add_u32 v178, v14, 3, v15
	v_add_nc_u32_e32 v181, 0x2180, v173
	v_dual_add_nc_u32 v190, 16, v179 :: v_dual_bitop2_b32 v188, 2, v179 bitop3:0x54
	v_dual_add_nc_u32 v191, 17, v179 :: v_dual_bitop2_b32 v189, 3, v179 bitop3:0x54
	v_dual_add_nc_u32 v192, 18, v179 :: v_dual_add_nc_u32 v193, 19, v179
	v_dual_add_nc_u32 v194, 32, v179 :: v_dual_add_nc_u32 v195, 33, v179
	;; [unrolled: 1-line block ×3, first 2 shown]
	v_dual_add_nc_u32 v198, 48, v179 :: v_dual_ashrrev_i32 v59, 31, v58
	v_dual_add_nc_u32 v200, v175, v15 :: v_dual_add_nc_u32 v202, v8, v9
	v_add_nc_u32_e32 v201, 0x2380, v15
	v_dual_add_nc_u32 v203, v8, v12 :: v_dual_add_nc_u32 v204, v8, v11
	v_dual_add_nc_u32 v205, v184, v13 :: v_dual_lshlrev_b32 v56, 3, v56
	v_dual_add_nc_u32 v206, 49, v179 :: v_dual_add_nc_u32 v207, 50, v179
	v_dual_add_nc_u32 v208, 51, v179 :: v_dual_add_nc_u32 v209, 64, v58
	s_add_co_i32 s43, s40, -2
	s_and_b32 s104, s2, s102
	s_sub_nc_u64 s[62:63], 0, s[44:45]
	s_lshl_b64 s[68:69], s[54:55], 5
	s_add_nc_u64 s[82:83], s[80:81], s[4:5]
	s_add_nc_u64 s[84:85], s[80:81], s[6:7]
	;; [unrolled: 1-line block ×5, first 2 shown]
	s_lshl_b64 s[30:31], s[30:31], 3
	s_wait_kmcnt 0x0
	s_lshl_b64 s[26:27], s[26:27], 3
	s_branch .LBB162_4
.LBB162_2:                              ;   in Loop: Header=BB162_4 Depth=1
	s_wait_xcnt 0x0
	s_or_b32 exec_lo, exec_lo, s4
.LBB162_3:                              ;   in Loop: Header=BB162_4 Depth=1
	s_add_co_i32 s34, s34, 0x10000
	s_delay_alu instid0(SALU_CYCLE_1)
	s_cmp_lt_u32 s34, s33
	s_cbranch_scc0 .LBB162_131
.LBB162_4:                              ; =>This Loop Header: Depth=1
                                        ;     Child Loop BB162_71 Depth 2
	s_mul_u64 s[0:1], s[22:23], s[34:35]
	s_wait_xcnt 0x0
	s_mul_u64 s[4:5], s[38:39], s[34:35]
	s_lshl_b64 s[0:1], s[0:1], 3
	s_lshl_b64 s[4:5], s[4:5], 3
	s_add_nc_u64 s[0:1], s[20:21], s[0:1]
	s_add_nc_u64 s[4:5], s[36:37], s[4:5]
	s_clause 0x1
	global_load_b64 v[0:1], v57, s[0:1]
	global_load_b64 v[2:3], v57, s[4:5]
	s_wait_loadcnt 0x1
	s_wait_xcnt 0x1
	v_cmp_eq_f64_e64 s0, 0, v[0:1]
	s_wait_loadcnt 0x0
	v_cmp_eq_f64_e32 vcc_lo, 1.0, v[2:3]
	s_and_b32 s1, s0, vcc_lo
	s_delay_alu instid0(SALU_CYCLE_1)
	s_and_b32 vcc_lo, exec_lo, s1
	s_cbranch_vccnz .LBB162_3
; %bb.5:                                ;   in Loop: Header=BB162_4 Depth=1
	s_and_b32 vcc_lo, exec_lo, s0
	s_cbranch_vccz .LBB162_7
; %bb.6:                                ;   in Loop: Header=BB162_4 Depth=1
	s_cbranch_execnz .LBB162_3
	s_branch .LBB162_8
.LBB162_7:                              ;   in Loop: Header=BB162_4 Depth=1
.LBB162_8:                              ;   in Loop: Header=BB162_4 Depth=1
	s_lshl_b64 s[0:1], s[34:35], 3
	s_wait_xcnt 0x0
	s_add_nc_u64 s[4:5], s[28:29], s[0:1]
	s_add_nc_u64 s[0:1], s[24:25], s[0:1]
	s_clause 0x1
	global_load_b64 v[2:3], v57, s[4:5]
	global_load_b64 v[0:1], v57, s[0:1]
	s_wait_loadcnt 0x1
	v_add_nc_u64_e32 v[2:3], s[30:31], v[2:3]
	s_delay_alu instid0(VALU_DEP_1)
	v_lshl_add_u64 v[12:13], v[60:61], 3, v[2:3]
	s_wait_xcnt 0x0
	s_and_saveexec_b32 s0, s2
	s_cbranch_execz .LBB162_12
; %bb.9:                                ;   in Loop: Header=BB162_4 Depth=1
	v_mov_b64_e32 v[2:3], 0
	s_and_saveexec_b32 s1, s102
	s_cbranch_execz .LBB162_11
; %bb.10:                               ;   in Loop: Header=BB162_4 Depth=1
	flat_load_b64 v[2:3], v[12:13]
.LBB162_11:                             ;   in Loop: Header=BB162_4 Depth=1
	s_wait_xcnt 0x0
	s_or_b32 exec_lo, exec_lo, s1
	s_wait_loadcnt_dscnt 0x0
	ds_store_b64 v174, v[2:3]
.LBB162_12:                             ;   in Loop: Header=BB162_4 Depth=1
	s_or_b32 exec_lo, exec_lo, s0
	s_wait_loadcnt 0x0
	v_add_nc_u64_e32 v[0:1], s[26:27], v[0:1]
	s_and_b32 vcc_lo, exec_lo, s101
	s_mov_b32 s0, -1
	s_delay_alu instid0(VALU_DEP_1) | instskip(NEXT) | instid1(VALU_DEP_1)
	v_add_nc_u64_e32 v[0:1], s[94:95], v[0:1]
	v_lshl_add_u64 v[0:1], v[62:63], 3, v[0:1]
	s_delay_alu instid0(VALU_DEP_1)
	v_lshl_add_u64 v[2:3], s[50:51], 3, v[0:1]
                                        ; implicit-def: $vgpr0_vgpr1
	s_cbranch_vccz .LBB162_22
; %bb.13:                               ;   in Loop: Header=BB162_4 Depth=1
	s_delay_alu instid0(VALU_DEP_1) | instskip(SKIP_2) | instid1(VALU_DEP_3)
	v_lshl_add_u64 v[0:1], v[64:65], 3, v[2:3]
	v_mov_b64_e32 v[6:7], 0
	v_mov_b64_e32 v[4:5], 0
	v_lshl_add_u64 v[0:1], s[44:45], 3, v[0:1]
	s_delay_alu instid0(VALU_DEP_1) | instskip(NEXT) | instid1(VALU_DEP_1)
	v_add_nc_u64_e32 v[0:1], -8, v[0:1]
	v_dual_cndmask_b32 v1, v1, v3, s3 :: v_dual_cndmask_b32 v0, v0, v2, s3
	s_mov_b32 s0, exec_lo
	v_readlane_b32 s1, v211, 0
	s_and_b32 s1, s0, s1
	s_delay_alu instid0(SALU_CYCLE_1)
	s_mov_b32 exec_lo, s1
	s_cbranch_execz .LBB162_15
; %bb.14:                               ;   in Loop: Header=BB162_4 Depth=1
	flat_load_b64 v[4:5], v[0:1]
.LBB162_15:                             ;   in Loop: Header=BB162_4 Depth=1
	s_wait_xcnt 0x0
	s_or_b32 exec_lo, exec_lo, s0
	s_wait_loadcnt_dscnt 0x0
	ds_store_b64 v202, v[4:5]
	s_mov_b32 s0, exec_lo
	v_readlane_b32 s1, v211, 1
	s_and_b32 s1, s0, s1
	s_delay_alu instid0(SALU_CYCLE_1)
	s_mov_b32 exec_lo, s1
	s_cbranch_execz .LBB162_17
; %bb.16:                               ;   in Loop: Header=BB162_4 Depth=1
	v_lshl_add_u64 v[4:5], s[52:53], 3, v[0:1]
	flat_load_b64 v[6:7], v[4:5]
.LBB162_17:                             ;   in Loop: Header=BB162_4 Depth=1
	s_wait_xcnt 0x0
	s_or_b32 exec_lo, exec_lo, s0
	v_mov_b64_e32 v[4:5], 0
	v_mov_b64_e32 v[8:9], 0
	s_wait_loadcnt_dscnt 0x0
	ds_store_b64 v202, v[6:7] offset:2112
	s_mov_b32 s0, exec_lo
	v_readlane_b32 s1, v211, 2
	s_and_b32 s1, s0, s1
	s_delay_alu instid0(SALU_CYCLE_1)
	s_mov_b32 exec_lo, s1
	s_cbranch_execz .LBB162_19
; %bb.18:                               ;   in Loop: Header=BB162_4 Depth=1
	v_lshl_add_u64 v[6:7], s[54:55], 3, v[0:1]
	flat_load_b64 v[8:9], v[6:7]
.LBB162_19:                             ;   in Loop: Header=BB162_4 Depth=1
	s_wait_xcnt 0x0
	s_or_b32 exec_lo, exec_lo, s0
	s_wait_loadcnt_dscnt 0x0
	ds_store_b64 v202, v[8:9] offset:4224
	s_mov_b32 s0, exec_lo
	v_readlane_b32 s1, v211, 3
	s_and_b32 s1, s0, s1
	s_delay_alu instid0(SALU_CYCLE_1)
	s_mov_b32 exec_lo, s1
	s_cbranch_execz .LBB162_21
; %bb.20:                               ;   in Loop: Header=BB162_4 Depth=1
	v_lshl_add_u64 v[4:5], s[56:57], 3, v[0:1]
	flat_load_b64 v[4:5], v[4:5]
.LBB162_21:                             ;   in Loop: Header=BB162_4 Depth=1
	s_wait_xcnt 0x0
	s_or_b32 exec_lo, exec_lo, s0
	v_add_nc_u64_e32 v[0:1], v[0:1], v[56:57]
	s_mov_b32 s0, 0
	s_wait_loadcnt_dscnt 0x0
	ds_store_b64 v202, v[4:5] offset:6336
	v_lshl_add_u64 v[0:1], s[62:63], 3, v[0:1]
	s_delay_alu instid0(VALU_DEP_1) | instskip(NEXT) | instid1(VALU_DEP_1)
	v_add_nc_u64_e32 v[0:1], 8, v[0:1]
	v_dual_cndmask_b32 v1, v1, v3, s3 :: v_dual_cndmask_b32 v0, v0, v2, s3
.LBB162_22:                             ;   in Loop: Header=BB162_4 Depth=1
	s_and_b32 vcc_lo, exec_lo, s0
	s_cbranch_vccz .LBB162_24
; %bb.23:                               ;   in Loop: Header=BB162_4 Depth=1
	s_delay_alu instid0(VALU_DEP_1) | instskip(NEXT) | instid1(VALU_DEP_1)
	v_lshl_add_u64 v[0:1], s[52:53], 3, v[2:3]
	v_add_nc_u64_e32 v[4:5], s[64:65], v[0:1]
	s_delay_alu instid0(VALU_DEP_1)
	v_add_nc_u64_e32 v[6:7], s[64:65], v[4:5]
	s_clause 0x3
	flat_load_b64 v[8:9], v[2:3]
	flat_load_b64 v[10:11], v[0:1]
	;; [unrolled: 1-line block ×4, first 2 shown]
	s_wait_xcnt 0x2
	v_mov_b64_e32 v[0:1], v[2:3]
	s_wait_loadcnt_dscnt 0x303
	ds_store_b64 v202, v[8:9]
	s_wait_loadcnt_dscnt 0x203
	ds_store_b64 v202, v[10:11] offset:2112
	s_wait_loadcnt_dscnt 0x103
	ds_store_b64 v202, v[4:5] offset:4224
	;; [unrolled: 2-line block ×3, first 2 shown]
.LBB162_24:                             ;   in Loop: Header=BB162_4 Depth=1
	s_wait_dscnt 0x0
	s_barrier_signal -1
	s_barrier_wait -1
	s_wait_xcnt 0x0
	s_and_saveexec_b32 s0, s8
	s_cbranch_execnz .LBB162_125
; %bb.25:                               ;   in Loop: Header=BB162_4 Depth=1
	s_or_b32 exec_lo, exec_lo, s0
	s_and_saveexec_b32 s0, s9
	s_cbranch_execnz .LBB162_126
.LBB162_26:                             ;   in Loop: Header=BB162_4 Depth=1
	s_or_b32 exec_lo, exec_lo, s0
	s_and_saveexec_b32 s0, s10
	s_cbranch_execnz .LBB162_127
.LBB162_27:                             ;   in Loop: Header=BB162_4 Depth=1
	s_or_b32 exec_lo, exec_lo, s0
	s_and_saveexec_b32 s0, s11
	s_cbranch_execz .LBB162_29
.LBB162_28:                             ;   in Loop: Header=BB162_4 Depth=1
	ds_load_b64 v[2:3], v204 offset:528
	s_wait_dscnt 0x0
	ds_store_b64 v176, v[2:3] offset:24
.LBB162_29:                             ;   in Loop: Header=BB162_4 Depth=1
	s_or_b32 exec_lo, exec_lo, s0
	s_wait_dscnt 0x0
	s_barrier_signal -1
	s_barrier_wait -1
	ds_load_b64 v[10:11], v203
	ds_load_b128 v[2:5], v177
	ds_load_b128 v[6:9], v177 offset:16
	ds_load_b64 v[18:19], v204 offset:528
	ds_load_2addr_b64 v[14:17], v204 offset1:33
	v_mov_b64_e32 v[88:89], 0
	s_wait_dscnt 0x0
	s_barrier_signal -1
	s_barrier_wait -1
	v_fma_f64 v[2:3], v[10:11], v[2:3], 0
	s_delay_alu instid0(VALU_DEP_1) | instskip(NEXT) | instid1(VALU_DEP_1)
	v_fmac_f64_e32 v[2:3], v[14:15], v[4:5]
	v_fmac_f64_e32 v[2:3], v[16:17], v[6:7]
	s_delay_alu instid0(VALU_DEP_1)
	v_fmac_f64_e32 v[2:3], v[18:19], v[8:9]
	ds_store_b64 v178, v[2:3]
	s_wait_dscnt 0x0
	s_barrier_signal -1
	s_barrier_wait -1
	s_and_saveexec_b32 s0, s12
	s_cbranch_execz .LBB162_31
; %bb.30:                               ;   in Loop: Header=BB162_4 Depth=1
	ds_load_2addr_b64 v[2:5], v175 offset1:1
	ds_load_2addr_b64 v[6:9], v175 offset0:2 offset1:3
	s_wait_dscnt 0x1
	v_add_f64_e32 v[2:3], v[2:3], v[4:5]
	s_wait_dscnt 0x0
	s_delay_alu instid0(VALU_DEP_1) | instskip(NEXT) | instid1(VALU_DEP_1)
	v_add_f64_e32 v[2:3], v[2:3], v[6:7]
	v_add_f64_e32 v[10:11], v[2:3], v[8:9]
	ds_load_2addr_b64 v[2:5], v175 offset0:4 offset1:5
	ds_load_2addr_b64 v[6:9], v175 offset0:6 offset1:7
	s_wait_dscnt 0x1
	v_add_f64_e32 v[2:3], v[10:11], v[2:3]
	s_delay_alu instid0(VALU_DEP_1) | instskip(SKIP_1) | instid1(VALU_DEP_1)
	v_add_f64_e32 v[2:3], v[2:3], v[4:5]
	s_wait_dscnt 0x0
	v_add_f64_e32 v[2:3], v[2:3], v[6:7]
	s_delay_alu instid0(VALU_DEP_1)
	v_add_f64_e32 v[88:89], v[2:3], v[8:9]
.LBB162_31:                             ;   in Loop: Header=BB162_4 Depth=1
	s_or_b32 exec_lo, exec_lo, s0
	v_lshl_add_u64 v[4:5], s[58:59], 3, v[0:1]
	s_and_b32 vcc_lo, exec_lo, s101
	s_mov_b32 s0, -1
	s_barrier_signal -1
	s_delay_alu instid0(VALU_DEP_1)
	v_add_nc_u64_e32 v[2:3], 0x100, v[4:5]
	s_barrier_wait -1
                                        ; implicit-def: $vgpr0_vgpr1
	s_cbranch_vccz .LBB162_41
; %bb.32:                               ;   in Loop: Header=BB162_4 Depth=1
	v_lshl_add_u64 v[0:1], v[64:65], 3, v[4:5]
	v_mov_b64_e32 v[8:9], 0
	v_mov_b64_e32 v[6:7], 0
	s_delay_alu instid0(VALU_DEP_3) | instskip(NEXT) | instid1(VALU_DEP_1)
	v_lshl_add_u64 v[0:1], s[44:45], 3, v[0:1]
	v_add_nc_u64_e32 v[0:1], -8, v[0:1]
	s_delay_alu instid0(VALU_DEP_1)
	v_dual_cndmask_b32 v1, v1, v3, s13 :: v_dual_cndmask_b32 v0, v0, v2, s13
	s_and_saveexec_b32 s0, s14
	s_cbranch_execz .LBB162_34
; %bb.33:                               ;   in Loop: Header=BB162_4 Depth=1
	flat_load_b64 v[6:7], v[0:1]
.LBB162_34:                             ;   in Loop: Header=BB162_4 Depth=1
	s_wait_xcnt 0x0
	s_or_b32 exec_lo, exec_lo, s0
	s_wait_loadcnt_dscnt 0x0
	ds_store_b64 v202, v[6:7]
	s_and_saveexec_b32 s0, s15
	s_cbranch_execz .LBB162_36
; %bb.35:                               ;   in Loop: Header=BB162_4 Depth=1
	v_lshl_add_u64 v[6:7], s[52:53], 3, v[0:1]
	flat_load_b64 v[8:9], v[6:7]
.LBB162_36:                             ;   in Loop: Header=BB162_4 Depth=1
	s_wait_xcnt 0x0
	s_or_b32 exec_lo, exec_lo, s0
	v_mov_b64_e32 v[6:7], 0
	v_mov_b64_e32 v[10:11], 0
	s_wait_loadcnt_dscnt 0x0
	ds_store_b64 v202, v[8:9] offset:2112
	s_and_saveexec_b32 s0, s16
	s_cbranch_execz .LBB162_38
; %bb.37:                               ;   in Loop: Header=BB162_4 Depth=1
	v_lshl_add_u64 v[8:9], s[54:55], 3, v[0:1]
	flat_load_b64 v[10:11], v[8:9]
.LBB162_38:                             ;   in Loop: Header=BB162_4 Depth=1
	s_wait_xcnt 0x0
	s_or_b32 exec_lo, exec_lo, s0
	s_wait_loadcnt_dscnt 0x0
	ds_store_b64 v202, v[10:11] offset:4224
	s_and_saveexec_b32 s0, s17
	s_cbranch_execz .LBB162_40
; %bb.39:                               ;   in Loop: Header=BB162_4 Depth=1
	v_lshl_add_u64 v[6:7], s[56:57], 3, v[0:1]
	flat_load_b64 v[6:7], v[6:7]
.LBB162_40:                             ;   in Loop: Header=BB162_4 Depth=1
	s_wait_xcnt 0x0
	s_or_b32 exec_lo, exec_lo, s0
	v_add_nc_u64_e32 v[0:1], v[0:1], v[56:57]
	s_mov_b32 s0, 0
	s_wait_loadcnt_dscnt 0x0
	ds_store_b64 v202, v[6:7] offset:6336
	v_lshl_add_u64 v[0:1], s[62:63], 3, v[0:1]
	s_delay_alu instid0(VALU_DEP_1) | instskip(NEXT) | instid1(VALU_DEP_1)
	v_add_nc_u64_e32 v[0:1], 0x108, v[0:1]
	v_dual_cndmask_b32 v1, v1, v3, s13 :: v_dual_cndmask_b32 v0, v0, v2, s13
.LBB162_41:                             ;   in Loop: Header=BB162_4 Depth=1
	s_and_b32 vcc_lo, exec_lo, s0
	s_cbranch_vccz .LBB162_43
; %bb.42:                               ;   in Loop: Header=BB162_4 Depth=1
	v_lshl_add_u64 v[0:1], s[52:53], 3, v[4:5]
	s_delay_alu instid0(VALU_DEP_1) | instskip(NEXT) | instid1(VALU_DEP_1)
	v_add_nc_u64_e32 v[6:7], s[64:65], v[0:1]
	v_add_nc_u64_e32 v[8:9], s[64:65], v[6:7]
	s_clause 0x3
	flat_load_b64 v[4:5], v[4:5] offset:256
	flat_load_b64 v[10:11], v[0:1] offset:256
	;; [unrolled: 1-line block ×4, first 2 shown]
	s_wait_xcnt 0x2
	v_mov_b64_e32 v[0:1], v[2:3]
	s_wait_loadcnt_dscnt 0x303
	ds_store_b64 v202, v[4:5]
	s_wait_loadcnt_dscnt 0x203
	ds_store_b64 v202, v[10:11] offset:2112
	s_wait_loadcnt_dscnt 0x103
	ds_store_b64 v202, v[6:7] offset:4224
	;; [unrolled: 2-line block ×3, first 2 shown]
.LBB162_43:                             ;   in Loop: Header=BB162_4 Depth=1
	s_wait_dscnt 0x0
	s_barrier_signal -1
	s_barrier_wait -1
	s_wait_xcnt 0x0
	s_and_saveexec_b32 s0, s8
	s_cbranch_execnz .LBB162_128
; %bb.44:                               ;   in Loop: Header=BB162_4 Depth=1
	s_or_b32 exec_lo, exec_lo, s0
	s_and_saveexec_b32 s0, s9
	s_cbranch_execnz .LBB162_129
.LBB162_45:                             ;   in Loop: Header=BB162_4 Depth=1
	s_or_b32 exec_lo, exec_lo, s0
	s_and_saveexec_b32 s0, s10
	s_cbranch_execnz .LBB162_130
.LBB162_46:                             ;   in Loop: Header=BB162_4 Depth=1
	s_or_b32 exec_lo, exec_lo, s0
	s_and_saveexec_b32 s0, s11
	s_cbranch_execz .LBB162_48
.LBB162_47:                             ;   in Loop: Header=BB162_4 Depth=1
	ds_load_b64 v[2:3], v204 offset:528
	s_wait_dscnt 0x0
	ds_store_b64 v176, v[2:3] offset:24
.LBB162_48:                             ;   in Loop: Header=BB162_4 Depth=1
	s_or_b32 exec_lo, exec_lo, s0
	s_wait_dscnt 0x0
	s_barrier_signal -1
	s_barrier_wait -1
	ds_load_b64 v[10:11], v203
	ds_load_b128 v[2:5], v177 offset:256
	ds_load_b128 v[6:9], v177 offset:272
	ds_load_b64 v[18:19], v204 offset:528
	ds_load_2addr_b64 v[14:17], v204 offset1:33
	s_wait_dscnt 0x0
	s_barrier_signal -1
	s_barrier_wait -1
	v_fma_f64 v[2:3], v[10:11], v[2:3], 0
	s_delay_alu instid0(VALU_DEP_1) | instskip(NEXT) | instid1(VALU_DEP_1)
	v_fmac_f64_e32 v[2:3], v[14:15], v[4:5]
	v_fmac_f64_e32 v[2:3], v[16:17], v[6:7]
	s_delay_alu instid0(VALU_DEP_1)
	v_fmac_f64_e32 v[2:3], v[18:19], v[8:9]
	ds_store_b64 v178, v[2:3]
	s_wait_dscnt 0x0
	s_barrier_signal -1
	s_barrier_wait -1
	s_and_saveexec_b32 s0, s18
	s_cbranch_execz .LBB162_50
; %bb.49:                               ;   in Loop: Header=BB162_4 Depth=1
	ds_load_2addr_b64 v[2:5], v175 offset1:1
	ds_load_2addr_b64 v[6:9], v175 offset0:2 offset1:3
	s_wait_dscnt 0x1
	v_add_f64_e32 v[2:3], v[2:3], v[4:5]
	s_wait_dscnt 0x0
	s_delay_alu instid0(VALU_DEP_1) | instskip(NEXT) | instid1(VALU_DEP_1)
	v_add_f64_e32 v[2:3], v[2:3], v[6:7]
	v_add_f64_e32 v[10:11], v[2:3], v[8:9]
	ds_load_2addr_b64 v[2:5], v175 offset0:4 offset1:5
	ds_load_2addr_b64 v[6:9], v175 offset0:6 offset1:7
	s_wait_dscnt 0x1
	v_add_f64_e32 v[2:3], v[10:11], v[2:3]
	s_delay_alu instid0(VALU_DEP_1) | instskip(SKIP_1) | instid1(VALU_DEP_1)
	v_add_f64_e32 v[2:3], v[2:3], v[4:5]
	s_wait_dscnt 0x0
	v_add_f64_e32 v[2:3], v[2:3], v[6:7]
	s_delay_alu instid0(VALU_DEP_1)
	v_add_f64_e32 v[88:89], v[2:3], v[8:9]
.LBB162_50:                             ;   in Loop: Header=BB162_4 Depth=1
	s_or_b32 exec_lo, exec_lo, s0
	s_mov_b64 s[0:1], 0xffffffffffffff00
	s_and_b32 vcc_lo, exec_lo, s101
	v_add_nc_u64_e32 v[2:3], s[0:1], v[0:1]
	s_mov_b32 s0, -1
	s_barrier_signal -1
	s_barrier_wait -1
                                        ; implicit-def: $vgpr14_vgpr15
	s_cbranch_vccz .LBB162_60
; %bb.51:                               ;   in Loop: Header=BB162_4 Depth=1
	v_lshl_add_u64 v[4:5], v[64:65], 3, v[0:1]
	s_mov_b64 s[0:1], 0xfffffffffffffef8
	v_mov_b64_e32 v[8:9], 0
	v_mov_b64_e32 v[6:7], 0
	s_delay_alu instid0(VALU_DEP_3) | instskip(NEXT) | instid1(VALU_DEP_1)
	v_lshl_add_u64 v[4:5], s[44:45], 3, v[4:5]
	v_add_nc_u64_e32 v[4:5], s[0:1], v[4:5]
	s_delay_alu instid0(VALU_DEP_1)
	v_dual_cndmask_b32 v5, v5, v3, s3 :: v_dual_cndmask_b32 v4, v4, v2, s3
	s_and_saveexec_b32 s0, s14
	s_cbranch_execz .LBB162_53
; %bb.52:                               ;   in Loop: Header=BB162_4 Depth=1
	flat_load_b64 v[6:7], v[4:5]
.LBB162_53:                             ;   in Loop: Header=BB162_4 Depth=1
	s_wait_xcnt 0x0
	s_or_b32 exec_lo, exec_lo, s0
	s_wait_loadcnt_dscnt 0x0
	ds_store_b64 v202, v[6:7]
	s_and_saveexec_b32 s0, s15
	s_cbranch_execz .LBB162_55
; %bb.54:                               ;   in Loop: Header=BB162_4 Depth=1
	v_lshl_add_u64 v[6:7], s[52:53], 3, v[4:5]
	flat_load_b64 v[8:9], v[6:7]
.LBB162_55:                             ;   in Loop: Header=BB162_4 Depth=1
	s_wait_xcnt 0x0
	s_or_b32 exec_lo, exec_lo, s0
	v_mov_b64_e32 v[6:7], 0
	v_mov_b64_e32 v[10:11], 0
	s_wait_loadcnt_dscnt 0x0
	ds_store_b64 v202, v[8:9] offset:2112
	s_and_saveexec_b32 s0, s16
	s_cbranch_execz .LBB162_57
; %bb.56:                               ;   in Loop: Header=BB162_4 Depth=1
	v_lshl_add_u64 v[8:9], s[54:55], 3, v[4:5]
	flat_load_b64 v[10:11], v[8:9]
.LBB162_57:                             ;   in Loop: Header=BB162_4 Depth=1
	s_wait_xcnt 0x0
	s_or_b32 exec_lo, exec_lo, s0
	s_wait_loadcnt_dscnt 0x0
	ds_store_b64 v202, v[10:11] offset:4224
	s_and_saveexec_b32 s0, s17
	s_cbranch_execz .LBB162_59
; %bb.58:                               ;   in Loop: Header=BB162_4 Depth=1
	v_lshl_add_u64 v[6:7], s[56:57], 3, v[4:5]
	flat_load_b64 v[6:7], v[6:7]
.LBB162_59:                             ;   in Loop: Header=BB162_4 Depth=1
	s_wait_xcnt 0x0
	s_or_b32 exec_lo, exec_lo, s0
	v_add_nc_u64_e32 v[4:5], v[4:5], v[56:57]
	s_mov_b32 s0, 0
	s_wait_loadcnt_dscnt 0x0
	ds_store_b64 v202, v[6:7] offset:6336
	v_lshl_add_u64 v[4:5], s[62:63], 3, v[4:5]
	s_delay_alu instid0(VALU_DEP_1) | instskip(NEXT) | instid1(VALU_DEP_1)
	v_add_nc_u64_e32 v[4:5], 8, v[4:5]
	v_dual_cndmask_b32 v15, v5, v3, s3 :: v_dual_cndmask_b32 v14, v4, v2, s3
.LBB162_60:                             ;   in Loop: Header=BB162_4 Depth=1
	s_and_b32 vcc_lo, exec_lo, s0
	s_cbranch_vccz .LBB162_62
; %bb.61:                               ;   in Loop: Header=BB162_4 Depth=1
	v_lshl_add_u64 v[4:5], s[52:53], 3, v[0:1]
	v_mov_b64_e32 v[14:15], v[2:3]
	s_delay_alu instid0(VALU_DEP_2) | instskip(NEXT) | instid1(VALU_DEP_1)
	v_add_nc_u64_e32 v[6:7], s[64:65], v[4:5]
	v_add_nc_u64_e32 v[8:9], s[64:65], v[6:7]
	s_clause 0x3
	flat_load_b64 v[0:1], v[0:1] offset:-256
	flat_load_b64 v[4:5], v[4:5] offset:-256
	;; [unrolled: 1-line block ×4, first 2 shown]
	s_wait_loadcnt_dscnt 0x303
	ds_store_b64 v202, v[0:1]
	s_wait_loadcnt_dscnt 0x203
	ds_store_b64 v202, v[4:5] offset:2112
	s_wait_loadcnt_dscnt 0x103
	ds_store_b64 v202, v[6:7] offset:4224
	;; [unrolled: 2-line block ×3, first 2 shown]
.LBB162_62:                             ;   in Loop: Header=BB162_4 Depth=1
	s_wait_xcnt 0x3
	v_dual_add_nc_u32 v0, v176, v180 :: v_dual_add_nc_u32 v2, v177, v180
	s_wait_dscnt 0x0
	s_barrier_signal -1
	s_barrier_wait -1
	ds_load_b64 v[0:1], v0
	ds_load_b64 v[2:3], v2
	s_wait_xcnt 0x0
	ds_load_b64 v[8:9], v201 offset:192
	s_wait_dscnt 0x1
	v_fma_f64 v[20:21], v[0:1], v[2:3], 0
	ds_load_2addr_b64 v[0:3], v200 offset0:8 offset1:16
	ds_load_2addr_b64 v[4:7], v201 offset0:8 offset1:16
	s_wait_dscnt 0x0
	v_fmac_f64_e32 v[20:21], v[0:1], v[4:5]
	ds_load_b64 v[0:1], v200 offset:192
	v_fmac_f64_e32 v[20:21], v[2:3], v[6:7]
	s_wait_dscnt 0x0
	s_delay_alu instid0(VALU_DEP_1)
	v_fmac_f64_e32 v[20:21], v[0:1], v[8:9]
	ds_load_b128 v[8:11], v177 offset:256
	ds_load_b128 v[0:3], v177 offset:272
	ds_load_2addr_b64 v[4:7], v204 offset1:33
	ds_load_b64 v[18:19], v203
	ds_load_b64 v[16:17], v204 offset:528
	s_wait_dscnt 0x0
	s_barrier_signal -1
	s_barrier_wait -1
	ds_store_b64 v178, v[20:21]
	s_wait_dscnt 0x0
	s_barrier_signal -1
	s_barrier_wait -1
	s_and_saveexec_b32 s0, s18
	s_cbranch_execz .LBB162_64
; %bb.63:                               ;   in Loop: Header=BB162_4 Depth=1
	ds_load_2addr_b64 v[20:23], v175 offset1:1
	ds_load_2addr_b64 v[24:27], v175 offset0:2 offset1:3
	s_wait_dscnt 0x1
	v_add_f64_e32 v[20:21], v[88:89], v[20:21]
	s_delay_alu instid0(VALU_DEP_1) | instskip(SKIP_1) | instid1(VALU_DEP_1)
	v_add_f64_e32 v[20:21], v[20:21], v[22:23]
	s_wait_dscnt 0x0
	v_add_f64_e32 v[20:21], v[20:21], v[24:25]
	s_delay_alu instid0(VALU_DEP_1) | instskip(SKIP_4) | instid1(VALU_DEP_1)
	v_add_f64_e32 v[28:29], v[20:21], v[26:27]
	ds_load_2addr_b64 v[20:23], v175 offset0:4 offset1:5
	ds_load_2addr_b64 v[24:27], v175 offset0:6 offset1:7
	s_wait_dscnt 0x1
	v_add_f64_e32 v[20:21], v[28:29], v[20:21]
	v_add_f64_e32 v[20:21], v[20:21], v[22:23]
	s_wait_dscnt 0x0
	s_delay_alu instid0(VALU_DEP_1) | instskip(NEXT) | instid1(VALU_DEP_1)
	v_add_f64_e32 v[20:21], v[20:21], v[24:25]
	v_add_f64_e32 v[88:89], v[20:21], v[26:27]
.LBB162_64:                             ;   in Loop: Header=BB162_4 Depth=1
	s_or_b32 exec_lo, exec_lo, s0
	v_fma_f64 v[8:9], v[18:19], v[8:9], 0
	s_barrier_signal -1
	s_barrier_wait -1
	s_delay_alu instid0(VALU_DEP_1) | instskip(NEXT) | instid1(VALU_DEP_1)
	v_fmac_f64_e32 v[8:9], v[4:5], v[10:11]
	v_fmac_f64_e32 v[8:9], v[6:7], v[0:1]
	s_delay_alu instid0(VALU_DEP_1)
	v_fmac_f64_e32 v[8:9], v[16:17], v[2:3]
	ds_store_b64 v178, v[8:9]
	s_wait_dscnt 0x0
	s_barrier_signal -1
	s_barrier_wait -1
	s_and_saveexec_b32 s0, s12
	s_cbranch_execz .LBB162_66
; %bb.65:                               ;   in Loop: Header=BB162_4 Depth=1
	ds_load_2addr_b64 v[0:3], v175 offset1:1
	ds_load_2addr_b64 v[4:7], v175 offset0:2 offset1:3
	s_wait_dscnt 0x1
	v_add_f64_e32 v[0:1], v[88:89], v[0:1]
	s_delay_alu instid0(VALU_DEP_1) | instskip(SKIP_1) | instid1(VALU_DEP_1)
	v_add_f64_e32 v[0:1], v[0:1], v[2:3]
	s_wait_dscnt 0x0
	v_add_f64_e32 v[0:1], v[0:1], v[4:5]
	s_delay_alu instid0(VALU_DEP_1) | instskip(SKIP_4) | instid1(VALU_DEP_1)
	v_add_f64_e32 v[8:9], v[0:1], v[6:7]
	ds_load_2addr_b64 v[0:3], v175 offset0:4 offset1:5
	ds_load_2addr_b64 v[4:7], v175 offset0:6 offset1:7
	s_wait_dscnt 0x1
	v_add_f64_e32 v[0:1], v[8:9], v[0:1]
	v_add_f64_e32 v[0:1], v[0:1], v[2:3]
	s_wait_dscnt 0x0
	s_delay_alu instid0(VALU_DEP_1) | instskip(NEXT) | instid1(VALU_DEP_1)
	v_add_f64_e32 v[0:1], v[0:1], v[4:5]
	v_add_f64_e32 v[88:89], v[0:1], v[6:7]
.LBB162_66:                             ;   in Loop: Header=BB162_4 Depth=1
	s_or_b32 exec_lo, exec_lo, s0
	s_mul_u64 s[0:1], s[46:47], s[34:35]
	s_and_not1_b32 vcc_lo, exec_lo, s41
	s_lshl_b64 s[0:1], s[0:1], 3
	s_delay_alu instid0(SALU_CYCLE_1)
	s_add_nc_u64 s[0:1], s[48:49], s[0:1]
	s_barrier_signal -1
	s_barrier_wait -1
	s_cbranch_vccnz .LBB162_123
; %bb.67:                               ;   in Loop: Header=BB162_4 Depth=1
	v_add_nc_u64_e32 v[92:93], s[66:67], v[14:15]
	v_add_nc_u64_e32 v[94:95], v[14:15], v[70:71]
	;; [unrolled: 1-line block ×23, first 2 shown]
	v_lshl_add_u64 v[90:91], s[60:61], 3, v[12:13]
	v_lshl_add_u64 v[138:139], s[58:59], 3, v[14:15]
	v_mov_b32_e32 v210, v209
	s_mov_b32 s98, vcc_hi
	s_mov_b32 s4, s42
	s_delay_alu instid0(SALU_CYCLE_1)
	s_cmp_eq_u32 s43, s4
	s_cselect_b32 s5, s100, 0
	s_and_saveexec_b32 s6, s2
	s_cbranch_execz .LBB162_71
.LBB162_68:                             ;   in Loop: Header=BB162_4 Depth=1
	v_cmp_gt_i32_e32 vcc_lo, s5, v172
	v_mov_b64_e32 v[0:1], 0
	s_cmp_eq_u32 s5, 0
	s_cselect_b32 s7, -1, 0
	s_delay_alu instid0(SALU_CYCLE_1) | instskip(NEXT) | instid1(SALU_CYCLE_1)
	s_or_b32 s99, s7, vcc_lo
	s_and_saveexec_b32 s7, s99
	s_cbranch_execz .LBB162_70
; %bb.69:                               ;   in Loop: Header=BB162_4 Depth=1
	s_ashr_i32 s99, s98, 31
	s_delay_alu instid0(SALU_CYCLE_1)
	v_lshl_add_u64 v[0:1], s[98:99], 3, v[90:91]
	flat_load_b64 v[0:1], v[0:1]
.LBB162_70:                             ;   in Loop: Header=BB162_4 Depth=1
	s_wait_xcnt 0x0
	s_or_b32 exec_lo, exec_lo, s7
	s_wait_loadcnt_dscnt 0x0
	ds_store_b64 v181, v[0:1]
.LBB162_71:                             ;   Parent Loop BB162_4 Depth=1
                                        ; =>  This Inner Loop Header: Depth=2
	s_or_b32 exec_lo, exec_lo, s6
	s_cmp_eq_u32 s5, 0
	v_add_nc_u64_e32 v[0:1], v[138:139], v[68:69]
	s_cselect_b32 s99, -1, 0
	s_cmp_lg_u32 s5, 0
	s_mov_b32 s7, -1
	s_cselect_b32 s6, -1, 0
	s_wait_dscnt 0x0
	s_and_b32 vcc_lo, exec_lo, s6
	s_barrier_signal -1
	s_barrier_wait -1
                                        ; implicit-def: $vgpr144_vgpr145
                                        ; implicit-def: $vgpr146_vgpr147
                                        ; implicit-def: $vgpr140_vgpr141
                                        ; implicit-def: $vgpr142_vgpr143
	s_cbranch_vccz .LBB162_81
; %bb.72:                               ;   in Loop: Header=BB162_71 Depth=2
	v_mov_b64_e32 v[140:141], 0
	v_mov_b64_e32 v[142:143], 0
	s_mov_b32 s7, exec_lo
	v_cmpx_gt_i32_e64 s5, v179
	s_cbranch_execz .LBB162_74
; %bb.73:                               ;   in Loop: Header=BB162_71 Depth=2
	flat_load_b64 v[142:143], v[0:1]
.LBB162_74:                             ;   in Loop: Header=BB162_71 Depth=2
	s_wait_xcnt 0x0
	s_or_b32 exec_lo, exec_lo, s7
	s_delay_alu instid0(SALU_CYCLE_1)
	s_mov_b32 s7, exec_lo
	v_cmpx_gt_i32_e64 s5, v187
	s_cbranch_execz .LBB162_76
; %bb.75:                               ;   in Loop: Header=BB162_71 Depth=2
	v_add_nc_u64_e32 v[2:3], v[96:97], v[68:69]
	flat_load_b64 v[140:141], v[2:3]
.LBB162_76:                             ;   in Loop: Header=BB162_71 Depth=2
	s_wait_xcnt 0x0
	s_or_b32 exec_lo, exec_lo, s7
	v_mov_b64_e32 v[144:145], 0
	v_mov_b64_e32 v[146:147], 0
	s_mov_b32 s7, exec_lo
	v_cmpx_gt_i32_e64 s5, v188
	s_cbranch_execz .LBB162_78
; %bb.77:                               ;   in Loop: Header=BB162_71 Depth=2
	v_add_nc_u64_e32 v[2:3], v[98:99], v[68:69]
	flat_load_b64 v[146:147], v[2:3]
.LBB162_78:                             ;   in Loop: Header=BB162_71 Depth=2
	s_wait_xcnt 0x0
	s_or_b32 exec_lo, exec_lo, s7
	s_delay_alu instid0(SALU_CYCLE_1)
	s_mov_b32 s7, exec_lo
	v_cmpx_gt_i32_e64 s5, v189
	s_cbranch_execz .LBB162_80
; %bb.79:                               ;   in Loop: Header=BB162_71 Depth=2
	v_add_nc_u64_e32 v[2:3], v[100:101], v[68:69]
	flat_load_b64 v[144:145], v[2:3]
.LBB162_80:                             ;   in Loop: Header=BB162_71 Depth=2
	s_wait_xcnt 0x0
	s_or_b32 exec_lo, exec_lo, s7
	s_mov_b32 s7, 0
.LBB162_81:                             ;   in Loop: Header=BB162_71 Depth=2
	s_delay_alu instid0(SALU_CYCLE_1)
	s_and_b32 vcc_lo, exec_lo, s7
	s_cbranch_vccz .LBB162_83
; %bb.82:                               ;   in Loop: Header=BB162_71 Depth=2
	v_add_nc_u64_e32 v[2:3], v[96:97], v[68:69]
	v_add_nc_u64_e32 v[4:5], v[92:93], v[68:69]
	;; [unrolled: 1-line block ×3, first 2 shown]
	s_wait_loadcnt_dscnt 0x0
	flat_load_b64 v[142:143], v[0:1]
	flat_load_b64 v[140:141], v[2:3]
	flat_load_b64 v[146:147], v[4:5]
	flat_load_b64 v[144:145], v[6:7]
.LBB162_83:                             ;   in Loop: Header=BB162_71 Depth=2
	s_wait_xcnt 0x1
	ds_load_b64 v[4:5], v174
	ds_load_b128 v[0:3], v182
	v_cndmask_b32_e64 v44, 0, 1, s6
	s_and_not1_b32 vcc_lo, exec_lo, s6
	s_mov_b32 s6, -1
                                        ; implicit-def: $vgpr152_vgpr153
                                        ; implicit-def: $vgpr154_vgpr155
                                        ; implicit-def: $vgpr148_vgpr149
                                        ; implicit-def: $vgpr150_vgpr151
	s_wait_loadcnt_dscnt 0x1
	v_mul_f64_e32 v[8:9], v[142:143], v[4:5]
	v_mul_f64_e32 v[10:11], v[140:141], v[4:5]
	;; [unrolled: 1-line block ×4, first 2 shown]
	s_wait_xcnt 0x0
	ds_load_b128 v[4:7], v182 offset:16
	ds_store_2addr_b64 v183, v[8:9], v[10:11] offset1:67
	ds_store_2addr_b64 v183, v[12:13], v[14:15] offset0:134 offset1:201
	s_wait_dscnt 0x0
	s_barrier_signal -1
	s_barrier_wait -1
	ds_load_2addr_b64 v[20:23], v184 offset1:1
	ds_load_2addr_b64 v[8:11], v184 offset0:2 offset1:3
	v_add_nc_u64_e32 v[12:13], v[108:109], v[68:69]
	s_wait_dscnt 0x0
	s_barrier_signal -1
	s_barrier_wait -1
	s_cbranch_vccnz .LBB162_93
; %bb.84:                               ;   in Loop: Header=BB162_71 Depth=2
	v_mov_b64_e32 v[148:149], 0
	v_mov_b64_e32 v[150:151], 0
	s_mov_b32 s6, exec_lo
	v_cmpx_gt_i32_e64 s5, v190
	s_cbranch_execz .LBB162_86
; %bb.85:                               ;   in Loop: Header=BB162_71 Depth=2
	flat_load_b64 v[150:151], v[12:13]
.LBB162_86:                             ;   in Loop: Header=BB162_71 Depth=2
	s_wait_xcnt 0x0
	s_or_b32 exec_lo, exec_lo, s6
	s_delay_alu instid0(SALU_CYCLE_1)
	s_mov_b32 s6, exec_lo
	v_cmpx_gt_i32_e64 s5, v191
	s_cbranch_execz .LBB162_88
; %bb.87:                               ;   in Loop: Header=BB162_71 Depth=2
	v_add_nc_u64_e32 v[14:15], v[106:107], v[68:69]
	flat_load_b64 v[148:149], v[14:15]
.LBB162_88:                             ;   in Loop: Header=BB162_71 Depth=2
	s_wait_xcnt 0x0
	s_or_b32 exec_lo, exec_lo, s6
	v_mov_b64_e32 v[152:153], 0
	v_mov_b64_e32 v[154:155], 0
	s_mov_b32 s6, exec_lo
	v_cmpx_gt_i32_e64 s5, v192
	s_cbranch_execz .LBB162_90
; %bb.89:                               ;   in Loop: Header=BB162_71 Depth=2
	v_add_nc_u64_e32 v[14:15], v[110:111], v[68:69]
	flat_load_b64 v[154:155], v[14:15]
.LBB162_90:                             ;   in Loop: Header=BB162_71 Depth=2
	s_wait_xcnt 0x0
	s_or_b32 exec_lo, exec_lo, s6
	s_delay_alu instid0(SALU_CYCLE_1)
	s_mov_b32 s6, exec_lo
	v_cmpx_gt_i32_e64 s5, v193
	s_cbranch_execz .LBB162_92
; %bb.91:                               ;   in Loop: Header=BB162_71 Depth=2
	v_add_nc_u64_e32 v[14:15], v[112:113], v[68:69]
	flat_load_b64 v[152:153], v[14:15]
.LBB162_92:                             ;   in Loop: Header=BB162_71 Depth=2
	s_wait_xcnt 0x0
	s_or_b32 exec_lo, exec_lo, s6
	s_mov_b32 s6, 0
.LBB162_93:                             ;   in Loop: Header=BB162_71 Depth=2
	s_delay_alu instid0(SALU_CYCLE_1)
	s_and_b32 vcc_lo, exec_lo, s6
	s_cbranch_vccz .LBB162_95
; %bb.94:                               ;   in Loop: Header=BB162_71 Depth=2
	v_add_nc_u64_e32 v[14:15], v[106:107], v[68:69]
	v_add_nc_u64_e32 v[16:17], v[102:103], v[68:69]
	;; [unrolled: 1-line block ×3, first 2 shown]
	s_wait_loadcnt_dscnt 0x0
	flat_load_b64 v[150:151], v[12:13]
	flat_load_b64 v[148:149], v[14:15]
	;; [unrolled: 1-line block ×4, first 2 shown]
.LBB162_95:                             ;   in Loop: Header=BB162_71 Depth=2
	s_wait_xcnt 0x1
	ds_load_b64 v[16:17], v174
	ds_load_b128 v[12:15], v182 offset:128
	v_cmp_ne_u32_e32 vcc_lo, 1, v44
	s_mov_b32 s6, -1
                                        ; implicit-def: $vgpr160_vgpr161
                                        ; implicit-def: $vgpr162_vgpr163
                                        ; implicit-def: $vgpr156_vgpr157
                                        ; implicit-def: $vgpr158_vgpr159
	s_and_b32 vcc_lo, exec_lo, vcc_lo
	s_wait_loadcnt_dscnt 0x1
	v_mul_f64_e32 v[24:25], v[150:151], v[16:17]
	v_mul_f64_e32 v[26:27], v[148:149], v[16:17]
	;; [unrolled: 1-line block ×4, first 2 shown]
	s_wait_xcnt 0x0
	ds_load_b128 v[16:19], v182 offset:144
	ds_store_2addr_b64 v183, v[24:25], v[26:27] offset1:67
	ds_store_2addr_b64 v183, v[28:29], v[30:31] offset0:134 offset1:201
	s_wait_dscnt 0x0
	s_barrier_signal -1
	s_barrier_wait -1
	ds_load_2addr_b64 v[36:39], v184 offset1:1
	ds_load_2addr_b64 v[32:35], v184 offset0:2 offset1:3
	v_add_nc_u64_e32 v[24:25], v[120:121], v[68:69]
	s_wait_dscnt 0x0
	s_barrier_signal -1
	s_barrier_wait -1
	s_cbranch_vccnz .LBB162_105
; %bb.96:                               ;   in Loop: Header=BB162_71 Depth=2
	v_mov_b64_e32 v[156:157], 0
	v_mov_b64_e32 v[158:159], 0
	s_mov_b32 s6, exec_lo
	v_cmpx_gt_i32_e64 s5, v194
	s_cbranch_execz .LBB162_98
; %bb.97:                               ;   in Loop: Header=BB162_71 Depth=2
	flat_load_b64 v[158:159], v[24:25]
.LBB162_98:                             ;   in Loop: Header=BB162_71 Depth=2
	s_wait_xcnt 0x0
	s_or_b32 exec_lo, exec_lo, s6
	s_delay_alu instid0(SALU_CYCLE_1)
	s_mov_b32 s6, exec_lo
	v_cmpx_gt_i32_e64 s5, v195
	s_cbranch_execz .LBB162_100
; %bb.99:                               ;   in Loop: Header=BB162_71 Depth=2
	v_add_nc_u64_e32 v[26:27], v[118:119], v[68:69]
	flat_load_b64 v[156:157], v[26:27]
.LBB162_100:                            ;   in Loop: Header=BB162_71 Depth=2
	s_wait_xcnt 0x0
	s_or_b32 exec_lo, exec_lo, s6
	v_mov_b64_e32 v[160:161], 0
	v_mov_b64_e32 v[162:163], 0
	s_mov_b32 s6, exec_lo
	v_cmpx_gt_i32_e64 s5, v196
	s_cbranch_execz .LBB162_102
; %bb.101:                              ;   in Loop: Header=BB162_71 Depth=2
	v_add_nc_u64_e32 v[26:27], v[122:123], v[68:69]
	flat_load_b64 v[162:163], v[26:27]
.LBB162_102:                            ;   in Loop: Header=BB162_71 Depth=2
	s_wait_xcnt 0x0
	s_or_b32 exec_lo, exec_lo, s6
	s_delay_alu instid0(SALU_CYCLE_1)
	s_mov_b32 s6, exec_lo
	v_cmpx_gt_i32_e64 s5, v197
	s_cbranch_execz .LBB162_104
; %bb.103:                              ;   in Loop: Header=BB162_71 Depth=2
	v_add_nc_u64_e32 v[26:27], v[124:125], v[68:69]
	flat_load_b64 v[160:161], v[26:27]
.LBB162_104:                            ;   in Loop: Header=BB162_71 Depth=2
	s_wait_xcnt 0x0
	s_or_b32 exec_lo, exec_lo, s6
	s_mov_b32 s6, 0
.LBB162_105:                            ;   in Loop: Header=BB162_71 Depth=2
	s_delay_alu instid0(SALU_CYCLE_1)
	s_and_b32 vcc_lo, exec_lo, s6
	s_cbranch_vccz .LBB162_107
; %bb.106:                              ;   in Loop: Header=BB162_71 Depth=2
	v_add_nc_u64_e32 v[26:27], v[118:119], v[68:69]
	v_add_nc_u64_e32 v[28:29], v[114:115], v[68:69]
	;; [unrolled: 1-line block ×3, first 2 shown]
	s_wait_loadcnt_dscnt 0x0
	flat_load_b64 v[158:159], v[24:25]
	flat_load_b64 v[156:157], v[26:27]
	;; [unrolled: 1-line block ×4, first 2 shown]
.LBB162_107:                            ;   in Loop: Header=BB162_71 Depth=2
	s_wait_xcnt 0x1
	ds_load_b64 v[28:29], v174
	ds_load_b128 v[24:27], v182 offset:256
	v_cmp_ne_u32_e32 vcc_lo, 1, v44
	v_add_nc_u64_e32 v[44:45], v[132:133], v[66:67]
	s_mov_b32 s6, -1
                                        ; implicit-def: $vgpr168_vgpr169
                                        ; implicit-def: $vgpr170_vgpr171
                                        ; implicit-def: $vgpr164_vgpr165
                                        ; implicit-def: $vgpr166_vgpr167
	s_and_b32 vcc_lo, exec_lo, vcc_lo
	s_wait_loadcnt_dscnt 0x1
	v_mul_f64_e32 v[40:41], v[158:159], v[28:29]
	v_mul_f64_e32 v[42:43], v[156:157], v[28:29]
	;; [unrolled: 1-line block ×4, first 2 shown]
	s_wait_xcnt 0x0
	ds_load_b128 v[28:31], v182 offset:272
	ds_store_2addr_b64 v183, v[40:41], v[42:43] offset1:67
	ds_store_2addr_b64 v183, v[46:47], v[48:49] offset0:134 offset1:201
	s_wait_dscnt 0x0
	s_barrier_signal -1
	s_barrier_wait -1
	ds_load_2addr_b64 v[52:55], v184 offset1:1
	ds_load_2addr_b64 v[40:43], v184 offset0:2 offset1:3
	s_wait_dscnt 0x0
	s_barrier_signal -1
	s_barrier_wait -1
	s_cbranch_vccnz .LBB162_117
; %bb.108:                              ;   in Loop: Header=BB162_71 Depth=2
	v_mov_b64_e32 v[164:165], 0
	v_mov_b64_e32 v[166:167], 0
	s_mov_b32 s6, exec_lo
	v_cmpx_gt_i32_e64 s5, v198
	s_cbranch_execz .LBB162_110
; %bb.109:                              ;   in Loop: Header=BB162_71 Depth=2
	flat_load_b64 v[166:167], v[44:45]
.LBB162_110:                            ;   in Loop: Header=BB162_71 Depth=2
	s_wait_xcnt 0x0
	s_or_b32 exec_lo, exec_lo, s6
	s_delay_alu instid0(SALU_CYCLE_1)
	s_mov_b32 s6, exec_lo
	v_cmpx_gt_i32_e64 s5, v206
	s_cbranch_execz .LBB162_112
; %bb.111:                              ;   in Loop: Header=BB162_71 Depth=2
	v_add_nc_u64_e32 v[46:47], v[130:131], v[66:67]
	flat_load_b64 v[164:165], v[46:47]
.LBB162_112:                            ;   in Loop: Header=BB162_71 Depth=2
	s_wait_xcnt 0x0
	s_or_b32 exec_lo, exec_lo, s6
	v_mov_b64_e32 v[168:169], 0
	v_mov_b64_e32 v[170:171], 0
	s_mov_b32 s6, exec_lo
	v_cmpx_gt_i32_e64 s5, v207
	s_cbranch_execz .LBB162_114
; %bb.113:                              ;   in Loop: Header=BB162_71 Depth=2
	v_add_nc_u64_e32 v[46:47], v[134:135], v[66:67]
	flat_load_b64 v[170:171], v[46:47]
.LBB162_114:                            ;   in Loop: Header=BB162_71 Depth=2
	s_wait_xcnt 0x0
	s_or_b32 exec_lo, exec_lo, s6
	s_delay_alu instid0(SALU_CYCLE_1)
	s_mov_b32 s6, exec_lo
	v_cmpx_gt_i32_e64 s5, v208
	s_cbranch_execz .LBB162_116
; %bb.115:                              ;   in Loop: Header=BB162_71 Depth=2
	v_add_nc_u64_e32 v[46:47], v[136:137], v[66:67]
	flat_load_b64 v[168:169], v[46:47]
.LBB162_116:                            ;   in Loop: Header=BB162_71 Depth=2
	s_wait_xcnt 0x0
	s_or_b32 exec_lo, exec_lo, s6
	s_mov_b32 s6, 0
.LBB162_117:                            ;   in Loop: Header=BB162_71 Depth=2
	s_delay_alu instid0(SALU_CYCLE_1)
	s_and_b32 vcc_lo, exec_lo, s6
	s_cbranch_vccz .LBB162_119
; %bb.118:                              ;   in Loop: Header=BB162_71 Depth=2
	v_add_nc_u64_e32 v[46:47], v[130:131], v[66:67]
	v_add_nc_u64_e32 v[48:49], v[126:127], v[66:67]
	;; [unrolled: 1-line block ×3, first 2 shown]
	s_wait_loadcnt_dscnt 0x0
	flat_load_b64 v[166:167], v[44:45]
	flat_load_b64 v[164:165], v[46:47]
	;; [unrolled: 1-line block ×4, first 2 shown]
.LBB162_119:                            ;   in Loop: Header=BB162_71 Depth=2
	s_wait_xcnt 0x3
	ds_load_b64 v[44:45], v174
	s_wait_xcnt 0x0
	ds_load_b128 v[48:51], v182 offset:384
	v_add_f64_e32 v[36:37], 0, v[36:37]
	v_add_f64_e32 v[20:21], 0, v[20:21]
	;; [unrolled: 1-line block ×3, first 2 shown]
	v_cmp_gt_i32_e32 vcc_lo, s5, v172
	s_or_b32 s5, s99, vcc_lo
	s_delay_alu instid0(SALU_CYCLE_1)
	s_and_b32 s6, s19, s5
	s_wait_loadcnt_dscnt 0x1
	v_mul_f64_e32 v[212:213], v[166:167], v[44:45]
	v_mul_f64_e32 v[214:215], v[164:165], v[44:45]
	;; [unrolled: 1-line block ×4, first 2 shown]
	ds_load_b128 v[44:47], v182 offset:400
	ds_store_2addr_b64 v183, v[212:213], v[214:215] offset1:67
	ds_store_2addr_b64 v183, v[216:217], v[218:219] offset0:134 offset1:201
	s_wait_dscnt 0x0
	s_barrier_signal -1
	s_barrier_wait -1
	ds_load_2addr_b64 v[212:215], v184 offset1:1
	ds_load_2addr_b64 v[216:219], v184 offset0:2 offset1:3
	v_add_f64_e32 v[36:37], v[36:37], v[38:39]
	v_add_f64_e32 v[20:21], v[20:21], v[22:23]
	;; [unrolled: 1-line block ×3, first 2 shown]
	s_wait_dscnt 0x0
	s_barrier_signal -1
	s_barrier_wait -1
	v_add_f64_e32 v[212:213], 0, v[212:213]
	s_delay_alu instid0(VALU_DEP_4) | instskip(NEXT) | instid1(VALU_DEP_4)
	v_add_f64_e32 v[32:33], v[36:37], v[32:33]
	v_add_f64_e32 v[8:9], v[20:21], v[8:9]
	s_delay_alu instid0(VALU_DEP_4) | instskip(NEXT) | instid1(VALU_DEP_4)
	v_add_f64_e32 v[38:39], v[52:53], v[40:41]
	;; [unrolled: 3-line block ×3, first 2 shown]
	v_add_f64_e32 v[8:9], v[8:9], v[10:11]
	s_delay_alu instid0(VALU_DEP_3) | instskip(SKIP_1) | instid1(VALU_DEP_2)
	v_add_f64_e32 v[20:21], v[22:23], v[216:217]
	v_add_f64_e32 v[22:23], v[38:39], v[42:43]
	;; [unrolled: 1-line block ×3, first 2 shown]
	ds_store_2addr_b64 v205, v[8:9], v[32:33] offset1:16
	ds_store_2addr_b64 v205, v[22:23], v[10:11] offset0:32 offset1:48
	s_wait_dscnt 0x0
	s_barrier_signal -1
	s_barrier_wait -1
	s_and_saveexec_b32 s5, s6
	s_cbranch_execz .LBB162_121
; %bb.120:                              ;   in Loop: Header=BB162_71 Depth=2
	ds_load_2addr_b64 v[8:11], v185 offset1:1
	ds_load_2addr_b64 v[20:23], v185 offset0:2 offset1:3
	s_wait_dscnt 0x1
	v_add_f64_e32 v[8:9], v[8:9], v[10:11]
	s_wait_dscnt 0x0
	s_delay_alu instid0(VALU_DEP_1) | instskip(NEXT) | instid1(VALU_DEP_1)
	v_add_f64_e32 v[8:9], v[8:9], v[20:21]
	v_add_f64_e32 v[32:33], v[8:9], v[22:23]
	ds_load_2addr_b64 v[8:11], v185 offset0:4 offset1:5
	ds_load_2addr_b64 v[20:23], v185 offset0:6 offset1:7
	s_wait_dscnt 0x1
	v_add_f64_e32 v[8:9], v[32:33], v[8:9]
	s_delay_alu instid0(VALU_DEP_1) | instskip(SKIP_1) | instid1(VALU_DEP_1)
	v_add_f64_e32 v[8:9], v[8:9], v[10:11]
	s_wait_dscnt 0x0
	v_add_f64_e32 v[8:9], v[8:9], v[20:21]
	s_delay_alu instid0(VALU_DEP_1) | instskip(SKIP_4) | instid1(VALU_DEP_1)
	v_add_f64_e32 v[32:33], v[8:9], v[22:23]
	ds_load_2addr_b64 v[8:11], v185 offset0:8 offset1:9
	ds_load_2addr_b64 v[20:23], v185 offset0:10 offset1:11
	s_wait_dscnt 0x1
	v_add_f64_e32 v[8:9], v[32:33], v[8:9]
	v_add_f64_e32 v[8:9], v[8:9], v[10:11]
	s_wait_dscnt 0x0
	s_delay_alu instid0(VALU_DEP_1) | instskip(NEXT) | instid1(VALU_DEP_1)
	v_add_f64_e32 v[8:9], v[8:9], v[20:21]
	v_add_f64_e32 v[20:21], v[8:9], v[22:23]
	ds_load_2addr_b64 v[8:11], v185 offset0:12 offset1:13
	ds_load_b64 v[22:23], v185 offset:112
	s_wait_dscnt 0x1
	v_add_f64_e32 v[8:9], v[20:21], v[8:9]
	s_delay_alu instid0(VALU_DEP_1) | instskip(SKIP_4) | instid1(VALU_DEP_1)
	v_add_f64_e32 v[8:9], v[8:9], v[10:11]
	ds_load_b64 v[10:11], v186
	s_wait_dscnt 0x1
	v_add_f64_e32 v[8:9], v[8:9], v[22:23]
	s_wait_dscnt 0x0
	v_add_f64_e32 v[8:9], v[8:9], v[10:11]
	global_store_b64 v210, v[8:9], s[0:1] scale_offset
.LBB162_121:                            ;   in Loop: Header=BB162_71 Depth=2
	s_wait_xcnt 0x0
	s_or_b32 exec_lo, exec_lo, s5
	v_fmac_f64_e32 v[88:89], v[142:143], v[0:1]
	v_add_nc_u64_e32 v[92:93], s[68:69], v[92:93]
	v_add_nc_u64_e32 v[94:95], s[68:69], v[94:95]
	;; [unrolled: 1-line block ×24, first 2 shown]
	v_add_nc_u32_e32 v210, 64, v210
	s_add_co_i32 s5, s4, 1
	s_add_co_i32 s4, s4, 2
	s_add_co_i32 s98, s98, s103
	s_cmp_ge_u32 s4, s40
	s_wait_storecnt 0x0
	s_barrier_signal -1
	v_fmac_f64_e32 v[88:89], v[140:141], v[2:3]
	s_barrier_wait -1
	s_delay_alu instid0(VALU_DEP_1) | instskip(NEXT) | instid1(VALU_DEP_1)
	v_fmac_f64_e32 v[88:89], v[146:147], v[4:5]
	v_fmac_f64_e32 v[88:89], v[144:145], v[6:7]
	s_delay_alu instid0(VALU_DEP_1) | instskip(NEXT) | instid1(VALU_DEP_1)
	v_fmac_f64_e32 v[88:89], v[150:151], v[12:13]
	v_fmac_f64_e32 v[88:89], v[148:149], v[14:15]
	;; [unrolled: 3-line block ×7, first 2 shown]
	s_cbranch_scc1 .LBB162_123
; %bb.122:                              ;   in Loop: Header=BB162_71 Depth=2
	s_mov_b32 s4, s5
	s_delay_alu instid0(SALU_CYCLE_1)
	s_cmp_eq_u32 s43, s4
	s_cselect_b32 s5, s100, 0
	s_and_saveexec_b32 s6, s2
	s_cbranch_execnz .LBB162_68
	s_branch .LBB162_71
.LBB162_123:                            ;   in Loop: Header=BB162_4 Depth=1
	ds_store_b64 v199, v[88:89]
	s_wait_dscnt 0x0
	s_barrier_signal -1
	s_barrier_wait -1
	s_and_saveexec_b32 s4, s104
	s_cbranch_execz .LBB162_2
; %bb.124:                              ;   in Loop: Header=BB162_4 Depth=1
	ds_load_2addr_b64 v[0:3], v173 offset1:67
	s_wait_dscnt 0x0
	v_add_f64_e32 v[4:5], v[0:1], v[2:3]
	ds_load_2addr_b64 v[0:3], v173 offset0:134 offset1:201
	s_wait_dscnt 0x0
	v_add_f64_e32 v[0:1], v[4:5], v[0:1]
	s_delay_alu instid0(VALU_DEP_1)
	v_add_f64_e32 v[0:1], v[0:1], v[2:3]
	v_lshl_add_u64 v[2:3], v[58:59], 3, s[0:1]
	global_store_b64 v[2:3], v[0:1], off
	s_branch .LBB162_2
.LBB162_125:                            ;   in Loop: Header=BB162_4 Depth=1
	ds_load_b64 v[2:3], v203
	s_wait_dscnt 0x0
	ds_store_b64 v176, v[2:3]
	s_or_b32 exec_lo, exec_lo, s0
	s_and_saveexec_b32 s0, s9
	s_cbranch_execz .LBB162_26
.LBB162_126:                            ;   in Loop: Header=BB162_4 Depth=1
	ds_load_b64 v[2:3], v204
	s_wait_dscnt 0x0
	ds_store_b64 v176, v[2:3] offset:8
	s_or_b32 exec_lo, exec_lo, s0
	s_and_saveexec_b32 s0, s10
	s_cbranch_execz .LBB162_27
.LBB162_127:                            ;   in Loop: Header=BB162_4 Depth=1
	ds_load_b64 v[2:3], v204 offset:264
	s_wait_dscnt 0x0
	ds_store_b64 v176, v[2:3] offset:16
	s_or_b32 exec_lo, exec_lo, s0
	s_and_saveexec_b32 s0, s11
	s_cbranch_execnz .LBB162_28
	s_branch .LBB162_29
.LBB162_128:                            ;   in Loop: Header=BB162_4 Depth=1
	ds_load_b64 v[2:3], v203
	s_wait_dscnt 0x0
	ds_store_b64 v176, v[2:3]
	s_or_b32 exec_lo, exec_lo, s0
	s_and_saveexec_b32 s0, s9
	s_cbranch_execz .LBB162_45
.LBB162_129:                            ;   in Loop: Header=BB162_4 Depth=1
	ds_load_b64 v[2:3], v204
	s_wait_dscnt 0x0
	ds_store_b64 v176, v[2:3] offset:8
	s_or_b32 exec_lo, exec_lo, s0
	s_and_saveexec_b32 s0, s10
	s_cbranch_execz .LBB162_46
.LBB162_130:                            ;   in Loop: Header=BB162_4 Depth=1
	ds_load_b64 v[2:3], v204 offset:264
	s_wait_dscnt 0x0
	ds_store_b64 v176, v[2:3] offset:16
	s_or_b32 exec_lo, exec_lo, s0
	s_and_saveexec_b32 s0, s11
	s_cbranch_execnz .LBB162_47
	s_branch .LBB162_48
.LBB162_131:
	s_sendmsg sendmsg(MSG_DEALLOC_VGPRS)
	s_endpgm
	.section	.rodata,"a",@progbits
	.p2align	6, 0x0
	.amdhsa_kernel _ZL26rocblas_hemvn_kernel_upperILb0ELi64ELi4ELi33ELi32ELi16EiPKdPKS1_PdEviT6_lT7_lT5_lS6_lS7_lS5_lT8_i
		.amdhsa_group_segment_fixed_size 9600
		.amdhsa_private_segment_fixed_size 0
		.amdhsa_kernarg_size 376
		.amdhsa_user_sgpr_count 2
		.amdhsa_user_sgpr_dispatch_ptr 0
		.amdhsa_user_sgpr_queue_ptr 0
		.amdhsa_user_sgpr_kernarg_segment_ptr 1
		.amdhsa_user_sgpr_dispatch_id 0
		.amdhsa_user_sgpr_kernarg_preload_length 0
		.amdhsa_user_sgpr_kernarg_preload_offset 0
		.amdhsa_user_sgpr_private_segment_size 0
		.amdhsa_wavefront_size32 1
		.amdhsa_uses_dynamic_stack 0
		.amdhsa_enable_private_segment 0
		.amdhsa_system_sgpr_workgroup_id_x 1
		.amdhsa_system_sgpr_workgroup_id_y 0
		.amdhsa_system_sgpr_workgroup_id_z 1
		.amdhsa_system_sgpr_workgroup_info 0
		.amdhsa_system_vgpr_workitem_id 1
		.amdhsa_next_free_vgpr 220
		.amdhsa_next_free_sgpr 105
		.amdhsa_named_barrier_count 0
		.amdhsa_reserve_vcc 1
		.amdhsa_float_round_mode_32 0
		.amdhsa_float_round_mode_16_64 0
		.amdhsa_float_denorm_mode_32 3
		.amdhsa_float_denorm_mode_16_64 3
		.amdhsa_fp16_overflow 0
		.amdhsa_memory_ordered 1
		.amdhsa_forward_progress 1
		.amdhsa_inst_pref_size 54
		.amdhsa_round_robin_scheduling 0
		.amdhsa_exception_fp_ieee_invalid_op 0
		.amdhsa_exception_fp_denorm_src 0
		.amdhsa_exception_fp_ieee_div_zero 0
		.amdhsa_exception_fp_ieee_overflow 0
		.amdhsa_exception_fp_ieee_underflow 0
		.amdhsa_exception_fp_ieee_inexact 0
		.amdhsa_exception_int_div_zero 0
	.end_amdhsa_kernel
	.section	.text._ZL26rocblas_hemvn_kernel_upperILb0ELi64ELi4ELi33ELi32ELi16EiPKdPKS1_PdEviT6_lT7_lT5_lS6_lS7_lS5_lT8_i,"axG",@progbits,_ZL26rocblas_hemvn_kernel_upperILb0ELi64ELi4ELi33ELi32ELi16EiPKdPKS1_PdEviT6_lT7_lT5_lS6_lS7_lS5_lT8_i,comdat
.Lfunc_end162:
	.size	_ZL26rocblas_hemvn_kernel_upperILb0ELi64ELi4ELi33ELi32ELi16EiPKdPKS1_PdEviT6_lT7_lT5_lS6_lS7_lS5_lT8_i, .Lfunc_end162-_ZL26rocblas_hemvn_kernel_upperILb0ELi64ELi4ELi33ELi32ELi16EiPKdPKS1_PdEviT6_lT7_lT5_lS6_lS7_lS5_lT8_i
                                        ; -- End function
	.set _ZL26rocblas_hemvn_kernel_upperILb0ELi64ELi4ELi33ELi32ELi16EiPKdPKS1_PdEviT6_lT7_lT5_lS6_lS7_lS5_lT8_i.num_vgpr, 220
	.set _ZL26rocblas_hemvn_kernel_upperILb0ELi64ELi4ELi33ELi32ELi16EiPKdPKS1_PdEviT6_lT7_lT5_lS6_lS7_lS5_lT8_i.num_agpr, 0
	.set _ZL26rocblas_hemvn_kernel_upperILb0ELi64ELi4ELi33ELi32ELi16EiPKdPKS1_PdEviT6_lT7_lT5_lS6_lS7_lS5_lT8_i.numbered_sgpr, 105
	.set _ZL26rocblas_hemvn_kernel_upperILb0ELi64ELi4ELi33ELi32ELi16EiPKdPKS1_PdEviT6_lT7_lT5_lS6_lS7_lS5_lT8_i.num_named_barrier, 0
	.set _ZL26rocblas_hemvn_kernel_upperILb0ELi64ELi4ELi33ELi32ELi16EiPKdPKS1_PdEviT6_lT7_lT5_lS6_lS7_lS5_lT8_i.private_seg_size, 0
	.set _ZL26rocblas_hemvn_kernel_upperILb0ELi64ELi4ELi33ELi32ELi16EiPKdPKS1_PdEviT6_lT7_lT5_lS6_lS7_lS5_lT8_i.uses_vcc, 1
	.set _ZL26rocblas_hemvn_kernel_upperILb0ELi64ELi4ELi33ELi32ELi16EiPKdPKS1_PdEviT6_lT7_lT5_lS6_lS7_lS5_lT8_i.uses_flat_scratch, 1
	.set _ZL26rocblas_hemvn_kernel_upperILb0ELi64ELi4ELi33ELi32ELi16EiPKdPKS1_PdEviT6_lT7_lT5_lS6_lS7_lS5_lT8_i.has_dyn_sized_stack, 0
	.set _ZL26rocblas_hemvn_kernel_upperILb0ELi64ELi4ELi33ELi32ELi16EiPKdPKS1_PdEviT6_lT7_lT5_lS6_lS7_lS5_lT8_i.has_recursion, 0
	.set _ZL26rocblas_hemvn_kernel_upperILb0ELi64ELi4ELi33ELi32ELi16EiPKdPKS1_PdEviT6_lT7_lT5_lS6_lS7_lS5_lT8_i.has_indirect_call, 0
	.section	.AMDGPU.csdata,"",@progbits
; Kernel info:
; codeLenInByte = 6848
; TotalNumSgprs: 107
; NumVgprs: 220
; ScratchSize: 0
; MemoryBound: 0
; FloatMode: 240
; IeeeMode: 1
; LDSByteSize: 9600 bytes/workgroup (compile time only)
; SGPRBlocks: 0
; VGPRBlocks: 13
; NumSGPRsForWavesPerEU: 107
; NumVGPRsForWavesPerEU: 220
; NamedBarCnt: 0
; Occupancy: 4
; WaveLimiterHint : 1
; COMPUTE_PGM_RSRC2:SCRATCH_EN: 0
; COMPUTE_PGM_RSRC2:USER_SGPR: 2
; COMPUTE_PGM_RSRC2:TRAP_HANDLER: 0
; COMPUTE_PGM_RSRC2:TGID_X_EN: 1
; COMPUTE_PGM_RSRC2:TGID_Y_EN: 0
; COMPUTE_PGM_RSRC2:TGID_Z_EN: 1
; COMPUTE_PGM_RSRC2:TIDIG_COMP_CNT: 1
	.section	.text._ZL36rocblas_hemvn_kernel_upper_block_sumILi64EiPKdPKPddEviT1_lS5_lT2_lT0_lPT3_i,"axG",@progbits,_ZL36rocblas_hemvn_kernel_upper_block_sumILi64EiPKdPKPddEviT1_lS5_lT2_lT0_lPT3_i,comdat
	.globl	_ZL36rocblas_hemvn_kernel_upper_block_sumILi64EiPKdPKPddEviT1_lS5_lT2_lT0_lPT3_i ; -- Begin function _ZL36rocblas_hemvn_kernel_upper_block_sumILi64EiPKdPKPddEviT1_lS5_lT2_lT0_lPT3_i
	.p2align	8
	.type	_ZL36rocblas_hemvn_kernel_upper_block_sumILi64EiPKdPKPddEviT1_lS5_lT2_lT0_lPT3_i,@function
_ZL36rocblas_hemvn_kernel_upper_block_sumILi64EiPKdPKPddEviT1_lS5_lT2_lT0_lPT3_i: ; @_ZL36rocblas_hemvn_kernel_upper_block_sumILi64EiPKdPKPddEviT1_lS5_lT2_lT0_lPT3_i
; %bb.0:
	s_load_b32 s22, s[0:1], 0x50
	s_bfe_u32 s2, ttmp6, 0x40014
	s_lshr_b32 s3, ttmp7, 16
	s_add_co_i32 s2, s2, 1
	s_bfe_u32 s5, ttmp6, 0x40008
	s_mul_i32 s2, s3, s2
	s_getreg_b32 s4, hwreg(HW_REG_IB_STS2, 6, 4)
	s_add_co_i32 s5, s5, s2
	s_cmp_eq_u32 s4, 0
	s_cselect_b32 s2, s3, s5
	s_mov_b32 s3, 0
	s_wait_kmcnt 0x0
	s_cmp_ge_u32 s2, s22
	s_cbranch_scc1 .LBB163_24
; %bb.1:
	s_clause 0x2
	s_load_b32 s16, s[0:1], 0x38
	s_load_b64 s[20:21], s[0:1], 0x48
	s_load_b32 s18, s[0:1], 0x0
	s_bfe_u32 s5, ttmp6, 0x4000c
	s_and_b32 s6, ttmp6, 15
	s_add_co_i32 s5, s5, 1
	v_mov_b32_e32 v12, 0
	s_mul_i32 s5, ttmp9, s5
	s_delay_alu instid0(SALU_CYCLE_1)
	s_add_co_i32 s6, s6, s5
	s_cmp_eq_u32 s4, 0
	s_cselect_b32 s24, ttmp9, s6
	s_clause 0x1
	s_load_b128 s[12:15], s[0:1], 0x28
	s_load_b256 s[4:11], s[0:1], 0x8
	v_lshl_or_b32 v2, s24, 6, v0
	s_delay_alu instid0(VALU_DEP_1)
	v_ashrrev_i32_e32 v3, 31, v2
	s_wait_kmcnt 0x0
	v_mul_lo_u32 v0, s16, v2
	s_add_nc_u64 s[16:17], s[0:1], 0x58
	v_cmp_gt_i32_e64 s0, s18, v2
	s_ashr_i32 s19, s18, 31
	v_lshl_add_u64 v[2:3], v[2:3], 3, s[20:21]
	s_cmp_gt_i32 s24, -1
	s_cselect_b32 s23, -1, 0
	s_add_co_i32 s24, s24, 1
	s_lshl_b64 s[18:19], s[18:19], 3
	v_ashrrev_i32_e32 v1, 31, v0
	s_lshl_b64 s[14:15], s[14:15], 3
	s_branch .LBB163_4
.LBB163_2:                              ;   in Loop: Header=BB163_4 Depth=1
	s_wait_xcnt 0x0
	s_or_b32 exec_lo, exec_lo, s25
.LBB163_3:                              ;   in Loop: Header=BB163_4 Depth=1
	s_add_co_i32 s2, s2, 0x10000
	s_delay_alu instid0(SALU_CYCLE_1)
	s_cmp_lt_u32 s2, s22
	s_cbranch_scc0 .LBB163_24
.LBB163_4:                              ; =>This Loop Header: Depth=1
                                        ;     Child Loop BB163_15 Depth 2
	s_wait_xcnt 0x1
	s_mul_u64 s[20:21], s[6:7], s[2:3]
	s_wait_xcnt 0x0
	s_mul_u64 s[26:27], s[10:11], s[2:3]
	s_lshl_b64 s[20:21], s[20:21], 3
	s_lshl_b64 s[26:27], s[26:27], 3
	s_add_nc_u64 s[20:21], s[4:5], s[20:21]
	s_add_nc_u64 s[26:27], s[8:9], s[26:27]
	s_clause 0x1
	global_load_b64 v[4:5], v12, s[20:21]
	global_load_b64 v[6:7], v12, s[26:27]
	s_wait_loadcnt 0x1
	v_cmp_eq_f64_e32 vcc_lo, 0, v[4:5]
	s_wait_loadcnt 0x0
	v_cmp_eq_f64_e64 s1, 1.0, v[6:7]
	s_and_b32 s1, vcc_lo, s1
	s_delay_alu instid0(SALU_CYCLE_1)
	s_and_b32 vcc_lo, exec_lo, s1
	s_cbranch_vccnz .LBB163_3
; %bb.5:                                ;   in Loop: Header=BB163_4 Depth=1
	v_cmp_neq_f64_e32 vcc_lo, 0, v[4:5]
	s_wait_xcnt 0x1
	s_lshl_b64 s[20:21], s[2:3], 3
	s_delay_alu instid0(SALU_CYCLE_1)
	s_add_nc_u64 s[20:21], s[12:13], s[20:21]
	s_load_b64 s[20:21], s[20:21], 0x0
	s_wait_kmcnt 0x0
	s_wait_xcnt 0x0
	s_add_nc_u64 s[20:21], s[20:21], s[14:15]
	s_cbranch_vccnz .LBB163_10
; %bb.6:                                ;   in Loop: Header=BB163_4 Depth=1
	s_mov_b32 s25, 0
	s_mov_b32 s1, 0
                                        ; implicit-def: $vgpr8_vgpr9
	s_and_saveexec_b32 s26, s0
	s_cbranch_execz .LBB163_11
; %bb.7:                                ;   in Loop: Header=BB163_4 Depth=1
	v_cmp_eq_f64_e32 vcc_lo, 0, v[6:7]
	v_mov_b64_e32 v[8:9], 0
	s_cbranch_vccnz .LBB163_9
; %bb.8:                                ;   in Loop: Header=BB163_4 Depth=1
	v_lshl_add_u64 v[8:9], v[0:1], 3, s[20:21]
	flat_load_b64 v[8:9], v[8:9]
	s_wait_loadcnt_dscnt 0x0
	s_wait_xcnt 0x0
	v_mul_f64_e32 v[8:9], v[6:7], v[8:9]
.LBB163_9:                              ;   in Loop: Header=BB163_4 Depth=1
	s_mov_b32 s1, exec_lo
	s_or_b32 exec_lo, exec_lo, s26
	s_delay_alu instid0(SALU_CYCLE_1)
	s_and_b32 vcc_lo, exec_lo, s25
	s_cbranch_vccnz .LBB163_12
	s_branch .LBB163_21
.LBB163_10:                             ;   in Loop: Header=BB163_4 Depth=1
	s_mov_b32 s1, 0
                                        ; implicit-def: $vgpr8_vgpr9
	s_cbranch_execnz .LBB163_12
	s_branch .LBB163_21
.LBB163_11:                             ;   in Loop: Header=BB163_4 Depth=1
	s_or_b32 exec_lo, exec_lo, s26
	s_delay_alu instid0(SALU_CYCLE_1)
	s_and_b32 vcc_lo, exec_lo, s25
	s_cbranch_vccz .LBB163_21
.LBB163_12:                             ;   in Loop: Header=BB163_4 Depth=1
                                        ; implicit-def: $vgpr8_vgpr9
	s_and_saveexec_b32 s25, s0
	s_cbranch_execz .LBB163_20
; %bb.13:                               ;   in Loop: Header=BB163_4 Depth=1
	v_mov_b64_e32 v[10:11], 0
	s_and_not1_b32 vcc_lo, exec_lo, s23
	s_cbranch_vccnz .LBB163_16
; %bb.14:                               ;   in Loop: Header=BB163_4 Depth=1
	s_load_b32 s26, s[16:17], 0x0
	s_mov_b32 s27, s3
	v_mov_b64_e32 v[10:11], 0
	s_wait_kmcnt 0x0
	s_mul_u64 s[26:27], s[18:19], s[26:27]
	s_delay_alu instid0(SALU_CYCLE_1) | instskip(SKIP_1) | instid1(VALU_DEP_1)
	v_mad_nc_u64_u32 v[8:9], s26, s2, v[2:3]
	s_mov_b32 s26, s24
	v_mad_u32 v9, s27, s2, v9
.LBB163_15:                             ;   Parent Loop BB163_4 Depth=1
                                        ; =>  This Inner Loop Header: Depth=2
	global_load_b64 v[14:15], v[8:9], off
	s_wait_xcnt 0x0
	v_add_nc_u64_e32 v[8:9], s[18:19], v[8:9]
	s_add_co_i32 s26, s26, -1
	s_delay_alu instid0(SALU_CYCLE_1)
	s_cmp_eq_u32 s26, 0
	s_wait_loadcnt 0x0
	v_add_f64_e32 v[10:11], v[10:11], v[14:15]
	s_cbranch_scc0 .LBB163_15
.LBB163_16:                             ;   in Loop: Header=BB163_4 Depth=1
	v_cmp_eq_f64_e32 vcc_lo, 0, v[6:7]
	s_cbranch_vccz .LBB163_23
; %bb.17:                               ;   in Loop: Header=BB163_4 Depth=1
	s_delay_alu instid0(VALU_DEP_2)
	v_mul_f64_e32 v[8:9], v[4:5], v[10:11]
	s_cbranch_execnz .LBB163_19
.LBB163_18:                             ;   in Loop: Header=BB163_4 Depth=1
	v_lshl_add_u64 v[8:9], v[0:1], 3, s[20:21]
	flat_load_b64 v[8:9], v[8:9]
	s_wait_loadcnt_dscnt 0x0
	s_wait_xcnt 0x0
	v_mul_f64_e32 v[8:9], v[6:7], v[8:9]
	s_delay_alu instid0(VALU_DEP_1)
	v_fmac_f64_e32 v[8:9], v[4:5], v[10:11]
.LBB163_19:                             ;   in Loop: Header=BB163_4 Depth=1
	s_or_b32 s1, s1, exec_lo
.LBB163_20:                             ;   in Loop: Header=BB163_4 Depth=1
	s_or_b32 exec_lo, exec_lo, s25
.LBB163_21:                             ;   in Loop: Header=BB163_4 Depth=1
	s_and_saveexec_b32 s25, s1
	s_cbranch_execz .LBB163_2
; %bb.22:                               ;   in Loop: Header=BB163_4 Depth=1
	v_lshl_add_u64 v[4:5], v[0:1], 3, s[20:21]
	flat_store_b64 v[4:5], v[8:9]
	s_branch .LBB163_2
.LBB163_23:                             ;   in Loop: Header=BB163_4 Depth=1
                                        ; implicit-def: $vgpr8_vgpr9
	s_branch .LBB163_18
.LBB163_24:
	s_endpgm
	.section	.rodata,"a",@progbits
	.p2align	6, 0x0
	.amdhsa_kernel _ZL36rocblas_hemvn_kernel_upper_block_sumILi64EiPKdPKPddEviT1_lS5_lT2_lT0_lPT3_i
		.amdhsa_group_segment_fixed_size 0
		.amdhsa_private_segment_fixed_size 0
		.amdhsa_kernarg_size 344
		.amdhsa_user_sgpr_count 2
		.amdhsa_user_sgpr_dispatch_ptr 0
		.amdhsa_user_sgpr_queue_ptr 0
		.amdhsa_user_sgpr_kernarg_segment_ptr 1
		.amdhsa_user_sgpr_dispatch_id 0
		.amdhsa_user_sgpr_kernarg_preload_length 0
		.amdhsa_user_sgpr_kernarg_preload_offset 0
		.amdhsa_user_sgpr_private_segment_size 0
		.amdhsa_wavefront_size32 1
		.amdhsa_uses_dynamic_stack 0
		.amdhsa_enable_private_segment 0
		.amdhsa_system_sgpr_workgroup_id_x 1
		.amdhsa_system_sgpr_workgroup_id_y 0
		.amdhsa_system_sgpr_workgroup_id_z 1
		.amdhsa_system_sgpr_workgroup_info 0
		.amdhsa_system_vgpr_workitem_id 0
		.amdhsa_next_free_vgpr 16
		.amdhsa_next_free_sgpr 28
		.amdhsa_named_barrier_count 0
		.amdhsa_reserve_vcc 1
		.amdhsa_float_round_mode_32 0
		.amdhsa_float_round_mode_16_64 0
		.amdhsa_float_denorm_mode_32 3
		.amdhsa_float_denorm_mode_16_64 3
		.amdhsa_fp16_overflow 0
		.amdhsa_memory_ordered 1
		.amdhsa_forward_progress 1
		.amdhsa_inst_pref_size 6
		.amdhsa_round_robin_scheduling 0
		.amdhsa_exception_fp_ieee_invalid_op 0
		.amdhsa_exception_fp_denorm_src 0
		.amdhsa_exception_fp_ieee_div_zero 0
		.amdhsa_exception_fp_ieee_overflow 0
		.amdhsa_exception_fp_ieee_underflow 0
		.amdhsa_exception_fp_ieee_inexact 0
		.amdhsa_exception_int_div_zero 0
	.end_amdhsa_kernel
	.section	.text._ZL36rocblas_hemvn_kernel_upper_block_sumILi64EiPKdPKPddEviT1_lS5_lT2_lT0_lPT3_i,"axG",@progbits,_ZL36rocblas_hemvn_kernel_upper_block_sumILi64EiPKdPKPddEviT1_lS5_lT2_lT0_lPT3_i,comdat
.Lfunc_end163:
	.size	_ZL36rocblas_hemvn_kernel_upper_block_sumILi64EiPKdPKPddEviT1_lS5_lT2_lT0_lPT3_i, .Lfunc_end163-_ZL36rocblas_hemvn_kernel_upper_block_sumILi64EiPKdPKPddEviT1_lS5_lT2_lT0_lPT3_i
                                        ; -- End function
	.set _ZL36rocblas_hemvn_kernel_upper_block_sumILi64EiPKdPKPddEviT1_lS5_lT2_lT0_lPT3_i.num_vgpr, 16
	.set _ZL36rocblas_hemvn_kernel_upper_block_sumILi64EiPKdPKPddEviT1_lS5_lT2_lT0_lPT3_i.num_agpr, 0
	.set _ZL36rocblas_hemvn_kernel_upper_block_sumILi64EiPKdPKPddEviT1_lS5_lT2_lT0_lPT3_i.numbered_sgpr, 28
	.set _ZL36rocblas_hemvn_kernel_upper_block_sumILi64EiPKdPKPddEviT1_lS5_lT2_lT0_lPT3_i.num_named_barrier, 0
	.set _ZL36rocblas_hemvn_kernel_upper_block_sumILi64EiPKdPKPddEviT1_lS5_lT2_lT0_lPT3_i.private_seg_size, 0
	.set _ZL36rocblas_hemvn_kernel_upper_block_sumILi64EiPKdPKPddEviT1_lS5_lT2_lT0_lPT3_i.uses_vcc, 1
	.set _ZL36rocblas_hemvn_kernel_upper_block_sumILi64EiPKdPKPddEviT1_lS5_lT2_lT0_lPT3_i.uses_flat_scratch, 0
	.set _ZL36rocblas_hemvn_kernel_upper_block_sumILi64EiPKdPKPddEviT1_lS5_lT2_lT0_lPT3_i.has_dyn_sized_stack, 0
	.set _ZL36rocblas_hemvn_kernel_upper_block_sumILi64EiPKdPKPddEviT1_lS5_lT2_lT0_lPT3_i.has_recursion, 0
	.set _ZL36rocblas_hemvn_kernel_upper_block_sumILi64EiPKdPKPddEviT1_lS5_lT2_lT0_lPT3_i.has_indirect_call, 0
	.section	.AMDGPU.csdata,"",@progbits
; Kernel info:
; codeLenInByte = 740
; TotalNumSgprs: 30
; NumVgprs: 16
; ScratchSize: 0
; MemoryBound: 0
; FloatMode: 240
; IeeeMode: 1
; LDSByteSize: 0 bytes/workgroup (compile time only)
; SGPRBlocks: 0
; VGPRBlocks: 0
; NumSGPRsForWavesPerEU: 30
; NumVGPRsForWavesPerEU: 16
; NamedBarCnt: 0
; Occupancy: 16
; WaveLimiterHint : 1
; COMPUTE_PGM_RSRC2:SCRATCH_EN: 0
; COMPUTE_PGM_RSRC2:USER_SGPR: 2
; COMPUTE_PGM_RSRC2:TRAP_HANDLER: 0
; COMPUTE_PGM_RSRC2:TGID_X_EN: 1
; COMPUTE_PGM_RSRC2:TGID_Y_EN: 0
; COMPUTE_PGM_RSRC2:TGID_Z_EN: 1
; COMPUTE_PGM_RSRC2:TIDIG_COMP_CNT: 0
	.section	.text._ZL26rocblas_hemvn_kernel_upperILb0ELi64ELi4ELi33ELi32ELi16EldPKPKdPdEviT6_lT7_lT5_lS6_lS7_lS5_lT8_i,"axG",@progbits,_ZL26rocblas_hemvn_kernel_upperILb0ELi64ELi4ELi33ELi32ELi16EldPKPKdPdEviT6_lT7_lT5_lS6_lS7_lS5_lT8_i,comdat
	.globl	_ZL26rocblas_hemvn_kernel_upperILb0ELi64ELi4ELi33ELi32ELi16EldPKPKdPdEviT6_lT7_lT5_lS6_lS7_lS5_lT8_i ; -- Begin function _ZL26rocblas_hemvn_kernel_upperILb0ELi64ELi4ELi33ELi32ELi16EldPKPKdPdEviT6_lT7_lT5_lS6_lS7_lS5_lT8_i
	.p2align	8
	.type	_ZL26rocblas_hemvn_kernel_upperILb0ELi64ELi4ELi33ELi32ELi16EldPKPKdPdEviT6_lT7_lT5_lS6_lS7_lS5_lT8_i,@function
_ZL26rocblas_hemvn_kernel_upperILb0ELi64ELi4ELi33ELi32ELi16EldPKPKdPdEviT6_lT7_lT5_lS6_lS7_lS5_lT8_i: ; @_ZL26rocblas_hemvn_kernel_upperILb0ELi64ELi4ELi33ELi32ELi16EldPKPKdPdEviT6_lT7_lT5_lS6_lS7_lS5_lT8_i
; %bb.0:
	s_clause 0x1
	s_load_b64 s[2:3], s[0:1], 0x84
	s_load_b32 s33, s[0:1], 0x70
	s_bfe_u32 s4, ttmp6, 0x40014
	s_lshr_b32 s5, ttmp7, 16
	s_add_co_i32 s4, s4, 1
	s_bfe_u32 s6, ttmp6, 0x40008
	s_mul_i32 s7, s5, s4
	s_getreg_b32 s4, hwreg(HW_REG_IB_STS2, 6, 4)
	s_add_co_i32 s6, s6, s7
	s_mov_b32 s19, 0
	s_wait_kmcnt 0x0
	s_lshr_b32 s7, s2, 16
	s_and_b32 s2, s2, 0xffff
	s_and_b32 s3, s3, 0xffff
	s_mul_i32 s2, s7, s2
	s_cmp_eq_u32 s4, 0
	s_mul_i32 s2, s2, s3
	s_cselect_b32 s18, s5, s6
	s_cmp_lg_u32 s2, 0x100
	s_cselect_b32 s2, -1, 0
	s_cmp_ge_u32 s18, s33
	s_cselect_b32 s3, -1, 0
	s_delay_alu instid0(SALU_CYCLE_1) | instskip(NEXT) | instid1(SALU_CYCLE_1)
	s_or_b32 s2, s2, s3
	s_and_b32 vcc_lo, exec_lo, s2
	s_cbranch_vccnz .LBB164_131
; %bb.1:
	s_clause 0x2
	s_load_b64 s[2:3], s[0:1], 0x8
	s_load_b64 s[10:11], s[0:1], 0x58
	s_load_b32 s6, s[0:1], 0x0
	s_add_nc_u64 s[12:13], s[0:1], 0x78
	s_clause 0x4
	s_load_b128 s[20:23], s[0:1], 0x18
	s_load_b64 s[56:57], s[0:1], 0x28
	s_load_b128 s[24:27], s[0:1], 0x38
	s_load_b64 s[28:29], s[0:1], 0x48
	s_load_b64 s[8:9], s[0:1], 0x68
	s_load_b32 s30, s[12:13], 0x0
	v_and_b32_e32 v170, 0x3ff, v0
	v_bfe_u32 v1, v0, 10, 10
	s_wait_xcnt 0x0
	s_bfe_u32 s0, ttmp6, 0x4000c
	s_and_b32 s1, ttmp6, 15
	s_add_co_i32 s0, s0, 1
	s_mov_b32 s31, s19
	s_mul_i32 s7, ttmp9, s0
	v_lshl_add_u32 v36, v1, 6, v170
	s_add_co_i32 s1, s1, s7
	v_dual_lshlrev_b32 v60, 3, v170 :: v_dual_bitop2_b32 v56, 31, v0 bitop3:0x40
	s_delay_alu instid0(VALU_DEP_2)
	v_dual_mov_b32 v59, 0 :: v_dual_lshrrev_b32 v37, 5, v36
	v_and_b32_e32 v6, 0x7fe0, v36
	s_wait_kmcnt 0x0
	v_cmp_neq_f64_e64 s5, s[2:3], 0
	v_cmp_neq_f64_e64 s10, s[10:11], 1.0
	s_ashr_i32 s7, s6, 31
	s_cmp_eq_u32 s4, 0
	v_cmp_eq_f64_e64 s68, s[2:3], 0
	s_cselect_b32 s36, ttmp9, s1
	s_lshr_b32 s1, s7, 26
	s_lshl_b32 s62, s36, 6
	s_add_co_i32 s1, s6, s1
	s_add_co_i32 s2, s30, -1
	s_and_not1_b32 s1, s1, 63
	v_dual_add_nc_u32 v40, 24, v37 :: v_dual_add_nc_u32 v64, s62, v170
	s_mul_u64 s[34:35], s[30:31], s[6:7]
	s_sub_co_i32 s31, s6, s1
	v_dual_mov_b32 v57, v59 :: v_dual_lshlrev_b32 v2, 2, v37
	v_lshlrev_b32_e32 v38, 3, v56
	v_dual_ashrrev_i32 v65, 31, v64 :: v_dual_lshlrev_b32 v58, 5, v1
	s_delay_alu instid0(VALU_DEP_3) | instskip(SKIP_3) | instid1(VALU_DEP_4)
	v_or_b32_e32 v3, 1, v2
	v_dual_lshlrev_b32 v176, 2, v1 :: v_dual_bitop2_b32 v7, 2, v2 bitop3:0x54
	v_or_b32_e32 v8, 3, v2
	v_mad_nc_u64_u32 v[62:63], s56, v37, v[56:57]
	v_mul_u32_u24_e32 v42, 0x108, v3
	v_lshl_or_b32 v171, v56, 8, v38
	v_add_nc_u64_e32 v[4:5], 0x118, v[58:59]
	v_mul_u32_u24_e32 v9, 33, v56
	v_lshlrev_b32_e32 v43, 3, v37
	v_mul_u32_u24_e32 v39, 0x108, v37
	v_dual_add_nc_u32 v172, v171, v6 :: v_dual_add_nc_u32 v34, 8, v37
	v_add_nc_u32_e32 v35, 16, v37
	s_or_b32 s69, s5, s10
	s_cmp_eq_u32 s36, s2
	v_mul_u64_e32 v[4:5], s[56:57], v[4:5]
	s_cselect_b32 s38, s31, 0
	v_mad_u32 v63, s57, v37, v63
	s_cmp_lg_u32 s38, 0
	v_cmp_gt_i32_e64 s2, s38, v37
	s_cselect_b32 s70, -1, 0
	s_cmp_eq_u32 s38, 0
	v_mul_u32_u24_e32 v41, 0x420, v37
	s_cselect_b32 s5, -1, 0
	s_ashr_i32 s37, s36, 31
	s_sub_co_i32 s15, s38, 32
	s_mul_u64 s[6:7], s[6:7], s[36:37]
	v_add_nc_u32_e32 v173, 0x2380, v6
	s_lshl_b64 s[6:7], s[6:7], 3
	v_lshl_add_u32 v174, v9, 3, v43
	s_add_nc_u64 s[44:45], s[8:9], s[6:7]
	v_cmp_gt_u32_e64 s6, v2, v56
	v_cmp_ge_u32_e64 s7, v2, v56
	v_add_nc_u64_e32 v[2:3], 0x110, v[58:59]
	v_cmp_gt_u32_e64 s8, v7, v56
	v_add_nc_u64_e32 v[6:7], 0x108, v[58:59]
	v_add_nc_u64_e32 v[10:11], 0x190, v[58:59]
	;; [unrolled: 1-line block ×5, first 2 shown]
	v_mul_u64_e32 v[2:3], s[56:57], v[2:3]
	v_add_nc_u64_e32 v[18:19], 0x210, v[58:59]
	v_add_nc_u64_e32 v[20:21], 0x218, v[58:59]
	;; [unrolled: 1-line block ×8, first 2 shown]
	v_cmp_gt_i32_e64 s12, s15, v37
	v_cmp_eq_u32_e64 s16, 1, v37
	v_mul_i32_i24_e32 v175, 0xffffffe8, v37
	v_lshrrev_b32_e32 v37, 4, v36
	v_cmp_gt_u32_e64 s9, v8, v56
	v_add_nc_u64_e32 v[8:9], 0x100, v[58:59]
	v_mul_u64_e32 v[6:7], s[56:57], v[6:7]
	v_mul_u64_e32 v[10:11], s[56:57], v[10:11]
	v_mul_u64_e32 v[12:13], s[56:57], v[12:13]
	v_mul_u64_e32 v[14:15], s[56:57], v[14:15]
	v_mul_u64_e32 v[16:17], s[56:57], v[16:17]
	v_mul_u64_e32 v[18:19], s[56:57], v[18:19]
	v_mul_u64_e32 v[8:9], s[56:57], v[8:9]
	v_mul_u64_e32 v[20:21], s[56:57], v[20:21]
	v_mul_u64_e32 v[22:23], s[56:57], v[22:23]
	v_mul_u64_e32 v[24:25], s[56:57], v[24:25]
	v_mul_u64_e32 v[26:27], s[56:57], v[26:27]
	v_mul_u64_e32 v[28:29], s[56:57], v[28:29]
	v_mul_u64_e32 v[30:31], s[56:57], v[30:31]
	v_mul_u64_e32 v[32:33], s[56:57], v[32:33]
	v_mul_u64_e32 v[98:99], s[28:29], v[64:65]
	v_cmp_gt_i32_e64 s3, s38, v34
	v_cmp_gt_i32_e64 s4, s38, v35
	;; [unrolled: 1-line block ×4, first 2 shown]
	v_lshlrev_b64_e32 v[34:35], 3, v[62:63]
	v_dual_add_nc_u32 v182, v38, v39 :: v_dual_bitop2_b32 v44, 32, v56 bitop3:0x54
	v_cmp_gt_i32_e32 vcc_lo, s38, v170
	v_cmp_eq_u32_e64 s0, 0, v1
	s_add_co_i32 s17, s36, 1
	v_sub_nc_u64_e32 v[100:101], 0, v[56:57]
	v_sub_nc_u64_e32 v[66:67], v[2:3], v[34:35]
	v_and_b32_e32 v2, 48, v0
	v_sub_nc_u64_e32 v[68:69], v[4:5], v[34:35]
	v_dual_lshlrev_b32 v3, 5, v37 :: v_dual_bitop2_b32 v0, 15, v0 bitop3:0x40
	v_or_b32_e32 v4, 0x78, v60
	s_delay_alu instid0(VALU_DEP_4)
	v_lshlrev_b32_e32 v2, 3, v2
	v_sub_nc_u64_e32 v[70:71], v[6:7], v[34:35]
	v_sub_nc_u64_e32 v[74:75], v[10:11], v[34:35]
	v_mad_u32_u24 v177, 0x218, v0, v3
	v_mad_u32_u24 v179, 0x218, v0, v4
	;; [unrolled: 1-line block ×3, first 2 shown]
	v_mul_i32_i24_e32 v0, 0xffffffe8, v37
	v_sub_nc_u64_e32 v[72:73], v[8:9], v[34:35]
	v_sub_nc_u64_e32 v[76:77], v[12:13], v[34:35]
	;; [unrolled: 1-line block ×12, first 2 shown]
	s_ashr_i32 s63, s62, 31
	s_ashr_i32 s39, s38, 31
	s_lshl_b64 s[40:41], s[56:57], 6
	s_or_b32 s37, s5, vcc_lo
	s_lshl_b64 s[46:47], s[56:57], 7
	s_lshl_b64 s[50:51], s[56:57], 5
	v_cmp_gt_i32_e64 s1, s38, v56
	v_cmp_gt_i32_e64 s5, s38, v40
	v_cmp_gt_u32_e64 s10, 32, v36
	v_cmp_gt_i32_e64 s11, s38, v44
	v_cmp_gt_i32_e64 s15, s15, v40
	s_cmp_lt_u32 s17, s30
	v_cmp_gt_u32_e64 s17, 64, v36
	v_mad_u32_u24 v180, 0x860, v1, v60
	v_mad_u32_u24 v181, 0x218, v1, v60
	v_dual_add_nc_u32 v183, v38, v41 :: v_dual_add_nc_u32 v184, v38, v42
	v_dual_add_nc_u32 v185, v171, v43 :: v_dual_add_nc_u32 v187, v177, v0
	v_dual_mov_b32 v61, v59 :: v_dual_add_nc_u32 v186, 0x2380, v43
	v_add_nc_u32_e32 v188, 0x2380, v60
	v_add_nc_u32_e32 v189, 0x2180, v60
	;; [unrolled: 1-line block ×3, first 2 shown]
	v_dual_add_nc_u32 v194, 16, v176 :: v_dual_bitop2_b32 v191, 1, v176 bitop3:0x54
	v_dual_add_nc_u32 v195, 17, v176 :: v_dual_bitop2_b32 v192, 2, v176 bitop3:0x54
	;; [unrolled: 1-line block ×3, first 2 shown]
	v_dual_add_nc_u32 v197, 19, v176 :: v_dual_add_nc_u32 v198, 32, v176
	v_dual_add_nc_u32 v199, 33, v176 :: v_dual_add_nc_u32 v200, 34, v176
	;; [unrolled: 1-line block ×4, first 2 shown]
	v_add_nc_u32_e32 v57, 51, v176
	s_mul_u64 s[52:53], s[28:29], s[62:63]
	s_mul_u64 s[42:43], s[56:57], s[62:63]
	;; [unrolled: 1-line block ×3, first 2 shown]
	s_sub_nc_u64 s[52:53], 0, s[52:53]
	s_cselect_b32 s71, -1, 0
	s_add_co_i32 s72, s30, -2
	s_and_b32 s73, s0, s37
	s_sub_nc_u64 s[54:55], 0, s[38:39]
	s_add_co_i32 s74, s62, 64
	s_lshl_b64 s[56:57], s[56:57], 9
	s_mov_b64 s[58:59], 0xffffffffffffff00
	s_mov_b64 s[60:61], 0xfffffffffffffef8
	s_lshl_b64 s[26:27], s[26:27], 3
	s_lshl_b64 s[22:23], s[22:23], 3
	;; [unrolled: 1-line block ×3, first 2 shown]
	s_branch .LBB164_4
.LBB164_2:                              ;   in Loop: Header=BB164_4 Depth=1
	s_wait_xcnt 0x0
	s_or_b32 exec_lo, exec_lo, s66
.LBB164_3:                              ;   in Loop: Header=BB164_4 Depth=1
	s_add_co_i32 s18, s18, 0x10000
	s_delay_alu instid0(SALU_CYCLE_1)
	s_cmp_lt_u32 s18, s33
	s_cbranch_scc0 .LBB164_131
.LBB164_4:                              ; =>This Loop Header: Depth=1
                                        ;     Child Loop BB164_71 Depth 2
	s_and_not1_b32 vcc_lo, exec_lo, s69
	s_cbranch_vccnz .LBB164_3
; %bb.5:                                ;   in Loop: Header=BB164_4 Depth=1
	s_and_b32 vcc_lo, exec_lo, s68
	s_cbranch_vccz .LBB164_7
; %bb.6:                                ;   in Loop: Header=BB164_4 Depth=1
	s_cbranch_execnz .LBB164_3
	s_branch .LBB164_8
.LBB164_7:                              ;   in Loop: Header=BB164_4 Depth=1
.LBB164_8:                              ;   in Loop: Header=BB164_4 Depth=1
	v_mov_b32_e32 v0, s18
	s_clause 0x1
	global_load_b64 v[2:3], v0, s[24:25] scale_offset
	global_load_b64 v[0:1], v0, s[20:21] scale_offset
	s_wait_loadcnt 0x1
	v_add_nc_u64_e32 v[2:3], s[26:27], v[2:3]
	s_delay_alu instid0(VALU_DEP_1)
	v_lshl_add_u64 v[12:13], v[98:99], 3, v[2:3]
	s_wait_xcnt 0x0
	s_and_saveexec_b32 s64, s0
	s_cbranch_execz .LBB164_12
; %bb.9:                                ;   in Loop: Header=BB164_4 Depth=1
	v_mov_b64_e32 v[2:3], 0
	s_and_saveexec_b32 s65, s37
	s_cbranch_execz .LBB164_11
; %bb.10:                               ;   in Loop: Header=BB164_4 Depth=1
	flat_load_b64 v[2:3], v[12:13]
.LBB164_11:                             ;   in Loop: Header=BB164_4 Depth=1
	s_wait_xcnt 0x0
	s_or_b32 exec_lo, exec_lo, s65
	s_wait_loadcnt_dscnt 0x0
	ds_store_b64 v188, v[2:3]
.LBB164_12:                             ;   in Loop: Header=BB164_4 Depth=1
	s_or_b32 exec_lo, exec_lo, s64
	s_wait_loadcnt 0x0
	v_add_nc_u64_e32 v[0:1], s[22:23], v[0:1]
	s_and_b32 vcc_lo, exec_lo, s70
	s_mov_b32 s64, -1
	s_delay_alu instid0(VALU_DEP_1) | instskip(NEXT) | instid1(VALU_DEP_1)
	v_add_nc_u64_e32 v[0:1], s[62:63], v[0:1]
	v_lshl_add_u64 v[0:1], v[62:63], 3, v[0:1]
	s_delay_alu instid0(VALU_DEP_1)
	v_lshl_add_u64 v[2:3], s[42:43], 3, v[0:1]
                                        ; implicit-def: $vgpr0_vgpr1
	s_cbranch_vccz .LBB164_22
; %bb.13:                               ;   in Loop: Header=BB164_4 Depth=1
	s_delay_alu instid0(VALU_DEP_1) | instskip(SKIP_2) | instid1(VALU_DEP_3)
	v_lshl_add_u64 v[0:1], v[100:101], 3, v[2:3]
	v_mov_b64_e32 v[6:7], 0
	v_mov_b64_e32 v[4:5], 0
	v_lshl_add_u64 v[0:1], s[38:39], 3, v[0:1]
	s_delay_alu instid0(VALU_DEP_1) | instskip(NEXT) | instid1(VALU_DEP_1)
	v_add_nc_u64_e32 v[0:1], -8, v[0:1]
	v_dual_cndmask_b32 v1, v1, v3, s1 :: v_dual_cndmask_b32 v0, v0, v2, s1
	s_and_saveexec_b32 s64, s2
	s_cbranch_execz .LBB164_15
; %bb.14:                               ;   in Loop: Header=BB164_4 Depth=1
	flat_load_b64 v[4:5], v[0:1]
.LBB164_15:                             ;   in Loop: Header=BB164_4 Depth=1
	s_wait_xcnt 0x0
	s_or_b32 exec_lo, exec_lo, s64
	s_wait_loadcnt_dscnt 0x0
	ds_store_b64 v182, v[4:5]
	s_and_saveexec_b32 s64, s3
	s_cbranch_execz .LBB164_17
; %bb.16:                               ;   in Loop: Header=BB164_4 Depth=1
	v_add_nc_u64_e32 v[4:5], s[40:41], v[0:1]
	flat_load_b64 v[6:7], v[4:5]
.LBB164_17:                             ;   in Loop: Header=BB164_4 Depth=1
	s_wait_xcnt 0x0
	s_or_b32 exec_lo, exec_lo, s64
	v_mov_b64_e32 v[4:5], 0
	v_mov_b64_e32 v[8:9], 0
	s_wait_loadcnt_dscnt 0x0
	ds_store_b64 v182, v[6:7] offset:2112
	s_and_saveexec_b32 s64, s4
	s_cbranch_execz .LBB164_19
; %bb.18:                               ;   in Loop: Header=BB164_4 Depth=1
	v_add_nc_u64_e32 v[6:7], s[46:47], v[0:1]
	flat_load_b64 v[8:9], v[6:7]
.LBB164_19:                             ;   in Loop: Header=BB164_4 Depth=1
	s_wait_xcnt 0x0
	s_or_b32 exec_lo, exec_lo, s64
	s_wait_loadcnt_dscnt 0x0
	ds_store_b64 v182, v[8:9] offset:4224
	s_and_saveexec_b32 s64, s5
	s_cbranch_execz .LBB164_21
; %bb.20:                               ;   in Loop: Header=BB164_4 Depth=1
	v_add_nc_u64_e32 v[4:5], s[48:49], v[0:1]
	flat_load_b64 v[4:5], v[4:5]
.LBB164_21:                             ;   in Loop: Header=BB164_4 Depth=1
	s_wait_xcnt 0x0
	s_or_b32 exec_lo, exec_lo, s64
	v_lshlrev_b32_e32 v58, 3, v56
	s_mov_b32 s64, 0
	s_wait_loadcnt_dscnt 0x0
	ds_store_b64 v182, v[4:5] offset:6336
	v_add_nc_u64_e32 v[0:1], v[0:1], v[58:59]
	s_delay_alu instid0(VALU_DEP_1) | instskip(NEXT) | instid1(VALU_DEP_1)
	v_lshl_add_u64 v[0:1], s[54:55], 3, v[0:1]
	v_add_nc_u64_e32 v[0:1], 8, v[0:1]
	s_delay_alu instid0(VALU_DEP_1)
	v_dual_cndmask_b32 v1, v1, v3, s1 :: v_dual_cndmask_b32 v0, v0, v2, s1
.LBB164_22:                             ;   in Loop: Header=BB164_4 Depth=1
	s_and_b32 vcc_lo, exec_lo, s64
	s_cbranch_vccz .LBB164_24
; %bb.23:                               ;   in Loop: Header=BB164_4 Depth=1
	s_delay_alu instid0(VALU_DEP_1) | instskip(NEXT) | instid1(VALU_DEP_1)
	v_add_nc_u64_e32 v[0:1], s[40:41], v[2:3]
	v_add_nc_u64_e32 v[4:5], s[40:41], v[0:1]
	s_delay_alu instid0(VALU_DEP_1)
	v_add_nc_u64_e32 v[6:7], s[40:41], v[4:5]
	s_clause 0x3
	flat_load_b64 v[8:9], v[2:3]
	flat_load_b64 v[10:11], v[0:1]
	;; [unrolled: 1-line block ×4, first 2 shown]
	s_wait_xcnt 0x2
	v_mov_b64_e32 v[0:1], v[2:3]
	s_wait_loadcnt_dscnt 0x303
	ds_store_b64 v182, v[8:9]
	s_wait_loadcnt_dscnt 0x203
	ds_store_b64 v182, v[10:11] offset:2112
	s_wait_loadcnt_dscnt 0x103
	ds_store_b64 v182, v[4:5] offset:4224
	;; [unrolled: 2-line block ×3, first 2 shown]
.LBB164_24:                             ;   in Loop: Header=BB164_4 Depth=1
	s_wait_dscnt 0x0
	s_barrier_signal -1
	s_barrier_wait -1
	s_wait_xcnt 0x0
	s_and_saveexec_b32 s64, s6
	s_cbranch_execnz .LBB164_125
; %bb.25:                               ;   in Loop: Header=BB164_4 Depth=1
	s_or_b32 exec_lo, exec_lo, s64
	s_and_saveexec_b32 s64, s7
	s_cbranch_execnz .LBB164_126
.LBB164_26:                             ;   in Loop: Header=BB164_4 Depth=1
	s_or_b32 exec_lo, exec_lo, s64
	s_and_saveexec_b32 s64, s8
	s_cbranch_execnz .LBB164_127
.LBB164_27:                             ;   in Loop: Header=BB164_4 Depth=1
	s_or_b32 exec_lo, exec_lo, s64
	s_and_saveexec_b32 s64, s9
	s_cbranch_execz .LBB164_29
.LBB164_28:                             ;   in Loop: Header=BB164_4 Depth=1
	ds_load_b64 v[2:3], v184 offset:528
	s_wait_dscnt 0x0
	ds_store_b64 v172, v[2:3] offset:24
.LBB164_29:                             ;   in Loop: Header=BB164_4 Depth=1
	s_or_b32 exec_lo, exec_lo, s64
	s_wait_dscnt 0x0
	s_barrier_signal -1
	s_barrier_wait -1
	ds_load_b64 v[10:11], v183
	ds_load_b128 v[2:5], v173
	ds_load_b128 v[6:9], v173 offset:16
	ds_load_b64 v[18:19], v184 offset:528
	ds_load_2addr_b64 v[14:17], v184 offset1:33
	v_mov_b64_e32 v[102:103], 0
	s_wait_dscnt 0x0
	s_barrier_signal -1
	s_barrier_wait -1
	v_fma_f64 v[2:3], v[10:11], v[2:3], 0
	s_delay_alu instid0(VALU_DEP_1) | instskip(NEXT) | instid1(VALU_DEP_1)
	v_fmac_f64_e32 v[2:3], v[14:15], v[4:5]
	v_fmac_f64_e32 v[2:3], v[16:17], v[6:7]
	s_delay_alu instid0(VALU_DEP_1)
	v_fmac_f64_e32 v[2:3], v[18:19], v[8:9]
	ds_store_b64 v174, v[2:3]
	s_wait_dscnt 0x0
	s_barrier_signal -1
	s_barrier_wait -1
	s_and_saveexec_b32 s64, s10
	s_cbranch_execz .LBB164_31
; %bb.30:                               ;   in Loop: Header=BB164_4 Depth=1
	ds_load_2addr_b64 v[2:5], v171 offset1:1
	ds_load_2addr_b64 v[6:9], v171 offset0:2 offset1:3
	s_wait_dscnt 0x1
	v_add_f64_e32 v[2:3], v[2:3], v[4:5]
	s_wait_dscnt 0x0
	s_delay_alu instid0(VALU_DEP_1) | instskip(NEXT) | instid1(VALU_DEP_1)
	v_add_f64_e32 v[2:3], v[2:3], v[6:7]
	v_add_f64_e32 v[10:11], v[2:3], v[8:9]
	ds_load_2addr_b64 v[2:5], v171 offset0:4 offset1:5
	ds_load_2addr_b64 v[6:9], v171 offset0:6 offset1:7
	s_wait_dscnt 0x1
	v_add_f64_e32 v[2:3], v[10:11], v[2:3]
	s_delay_alu instid0(VALU_DEP_1) | instskip(SKIP_1) | instid1(VALU_DEP_1)
	v_add_f64_e32 v[2:3], v[2:3], v[4:5]
	s_wait_dscnt 0x0
	v_add_f64_e32 v[2:3], v[2:3], v[6:7]
	s_delay_alu instid0(VALU_DEP_1)
	v_add_f64_e32 v[102:103], v[2:3], v[8:9]
.LBB164_31:                             ;   in Loop: Header=BB164_4 Depth=1
	s_or_b32 exec_lo, exec_lo, s64
	v_lshl_add_u64 v[4:5], s[50:51], 3, v[0:1]
	s_and_b32 vcc_lo, exec_lo, s70
	s_mov_b32 s64, -1
	s_barrier_signal -1
	s_delay_alu instid0(VALU_DEP_1)
	v_add_nc_u64_e32 v[2:3], 0x100, v[4:5]
	s_barrier_wait -1
                                        ; implicit-def: $vgpr0_vgpr1
	s_cbranch_vccz .LBB164_41
; %bb.32:                               ;   in Loop: Header=BB164_4 Depth=1
	v_lshl_add_u64 v[0:1], v[100:101], 3, v[4:5]
	v_mov_b64_e32 v[8:9], 0
	v_mov_b64_e32 v[6:7], 0
	s_delay_alu instid0(VALU_DEP_3) | instskip(NEXT) | instid1(VALU_DEP_1)
	v_lshl_add_u64 v[0:1], s[38:39], 3, v[0:1]
	v_add_nc_u64_e32 v[0:1], -8, v[0:1]
	s_delay_alu instid0(VALU_DEP_1)
	v_dual_cndmask_b32 v1, v1, v3, s11 :: v_dual_cndmask_b32 v0, v0, v2, s11
	s_and_saveexec_b32 s64, s12
	s_cbranch_execz .LBB164_34
; %bb.33:                               ;   in Loop: Header=BB164_4 Depth=1
	flat_load_b64 v[6:7], v[0:1]
.LBB164_34:                             ;   in Loop: Header=BB164_4 Depth=1
	s_wait_xcnt 0x0
	s_or_b32 exec_lo, exec_lo, s64
	s_wait_loadcnt_dscnt 0x0
	ds_store_b64 v182, v[6:7]
	s_and_saveexec_b32 s64, s13
	s_cbranch_execz .LBB164_36
; %bb.35:                               ;   in Loop: Header=BB164_4 Depth=1
	v_add_nc_u64_e32 v[6:7], s[40:41], v[0:1]
	flat_load_b64 v[8:9], v[6:7]
.LBB164_36:                             ;   in Loop: Header=BB164_4 Depth=1
	s_wait_xcnt 0x0
	s_or_b32 exec_lo, exec_lo, s64
	v_mov_b64_e32 v[6:7], 0
	v_mov_b64_e32 v[10:11], 0
	s_wait_loadcnt_dscnt 0x0
	ds_store_b64 v182, v[8:9] offset:2112
	s_and_saveexec_b32 s64, s14
	s_cbranch_execz .LBB164_38
; %bb.37:                               ;   in Loop: Header=BB164_4 Depth=1
	v_add_nc_u64_e32 v[8:9], s[46:47], v[0:1]
	flat_load_b64 v[10:11], v[8:9]
.LBB164_38:                             ;   in Loop: Header=BB164_4 Depth=1
	s_wait_xcnt 0x0
	s_or_b32 exec_lo, exec_lo, s64
	s_wait_loadcnt_dscnt 0x0
	ds_store_b64 v182, v[10:11] offset:4224
	s_and_saveexec_b32 s64, s15
	s_cbranch_execz .LBB164_40
; %bb.39:                               ;   in Loop: Header=BB164_4 Depth=1
	v_add_nc_u64_e32 v[6:7], s[48:49], v[0:1]
	flat_load_b64 v[6:7], v[6:7]
.LBB164_40:                             ;   in Loop: Header=BB164_4 Depth=1
	s_wait_xcnt 0x0
	s_or_b32 exec_lo, exec_lo, s64
	v_lshlrev_b32_e32 v58, 3, v56
	s_mov_b32 s64, 0
	s_wait_loadcnt_dscnt 0x0
	ds_store_b64 v182, v[6:7] offset:6336
	v_add_nc_u64_e32 v[0:1], v[0:1], v[58:59]
	s_delay_alu instid0(VALU_DEP_1) | instskip(NEXT) | instid1(VALU_DEP_1)
	v_lshl_add_u64 v[0:1], s[54:55], 3, v[0:1]
	v_add_nc_u64_e32 v[0:1], 0x108, v[0:1]
	s_delay_alu instid0(VALU_DEP_1)
	v_dual_cndmask_b32 v1, v1, v3, s11 :: v_dual_cndmask_b32 v0, v0, v2, s11
.LBB164_41:                             ;   in Loop: Header=BB164_4 Depth=1
	s_and_b32 vcc_lo, exec_lo, s64
	s_cbranch_vccz .LBB164_43
; %bb.42:                               ;   in Loop: Header=BB164_4 Depth=1
	v_add_nc_u64_e32 v[0:1], s[40:41], v[4:5]
	s_delay_alu instid0(VALU_DEP_1) | instskip(NEXT) | instid1(VALU_DEP_1)
	v_add_nc_u64_e32 v[6:7], s[40:41], v[0:1]
	v_add_nc_u64_e32 v[8:9], s[40:41], v[6:7]
	s_clause 0x3
	flat_load_b64 v[4:5], v[4:5] offset:256
	flat_load_b64 v[10:11], v[0:1] offset:256
	;; [unrolled: 1-line block ×4, first 2 shown]
	s_wait_xcnt 0x2
	v_mov_b64_e32 v[0:1], v[2:3]
	s_wait_loadcnt_dscnt 0x303
	ds_store_b64 v182, v[4:5]
	s_wait_loadcnt_dscnt 0x203
	ds_store_b64 v182, v[10:11] offset:2112
	s_wait_loadcnt_dscnt 0x103
	ds_store_b64 v182, v[6:7] offset:4224
	s_wait_loadcnt_dscnt 0x3
	ds_store_b64 v182, v[8:9] offset:6336
.LBB164_43:                             ;   in Loop: Header=BB164_4 Depth=1
	s_wait_dscnt 0x0
	s_barrier_signal -1
	s_barrier_wait -1
	s_wait_xcnt 0x0
	s_and_saveexec_b32 s64, s6
	s_cbranch_execnz .LBB164_128
; %bb.44:                               ;   in Loop: Header=BB164_4 Depth=1
	s_or_b32 exec_lo, exec_lo, s64
	s_and_saveexec_b32 s64, s7
	s_cbranch_execnz .LBB164_129
.LBB164_45:                             ;   in Loop: Header=BB164_4 Depth=1
	s_or_b32 exec_lo, exec_lo, s64
	s_and_saveexec_b32 s64, s8
	s_cbranch_execnz .LBB164_130
.LBB164_46:                             ;   in Loop: Header=BB164_4 Depth=1
	s_or_b32 exec_lo, exec_lo, s64
	s_and_saveexec_b32 s64, s9
	s_cbranch_execz .LBB164_48
.LBB164_47:                             ;   in Loop: Header=BB164_4 Depth=1
	ds_load_b64 v[2:3], v184 offset:528
	s_wait_dscnt 0x0
	ds_store_b64 v172, v[2:3] offset:24
.LBB164_48:                             ;   in Loop: Header=BB164_4 Depth=1
	s_or_b32 exec_lo, exec_lo, s64
	s_wait_dscnt 0x0
	s_barrier_signal -1
	s_barrier_wait -1
	ds_load_b64 v[10:11], v183
	ds_load_b128 v[2:5], v173 offset:256
	ds_load_b128 v[6:9], v173 offset:272
	ds_load_b64 v[18:19], v184 offset:528
	ds_load_2addr_b64 v[14:17], v184 offset1:33
	s_wait_dscnt 0x0
	s_barrier_signal -1
	s_barrier_wait -1
	v_fma_f64 v[2:3], v[10:11], v[2:3], 0
	s_delay_alu instid0(VALU_DEP_1) | instskip(NEXT) | instid1(VALU_DEP_1)
	v_fmac_f64_e32 v[2:3], v[14:15], v[4:5]
	v_fmac_f64_e32 v[2:3], v[16:17], v[6:7]
	s_delay_alu instid0(VALU_DEP_1)
	v_fmac_f64_e32 v[2:3], v[18:19], v[8:9]
	ds_store_b64 v174, v[2:3]
	s_wait_dscnt 0x0
	s_barrier_signal -1
	s_barrier_wait -1
	s_and_saveexec_b32 s64, s16
	s_cbranch_execz .LBB164_50
; %bb.49:                               ;   in Loop: Header=BB164_4 Depth=1
	ds_load_2addr_b64 v[2:5], v171 offset1:1
	ds_load_2addr_b64 v[6:9], v171 offset0:2 offset1:3
	s_wait_dscnt 0x1
	v_add_f64_e32 v[2:3], v[2:3], v[4:5]
	s_wait_dscnt 0x0
	s_delay_alu instid0(VALU_DEP_1) | instskip(NEXT) | instid1(VALU_DEP_1)
	v_add_f64_e32 v[2:3], v[2:3], v[6:7]
	v_add_f64_e32 v[10:11], v[2:3], v[8:9]
	ds_load_2addr_b64 v[2:5], v171 offset0:4 offset1:5
	ds_load_2addr_b64 v[6:9], v171 offset0:6 offset1:7
	s_wait_dscnt 0x1
	v_add_f64_e32 v[2:3], v[10:11], v[2:3]
	s_delay_alu instid0(VALU_DEP_1) | instskip(SKIP_1) | instid1(VALU_DEP_1)
	v_add_f64_e32 v[2:3], v[2:3], v[4:5]
	s_wait_dscnt 0x0
	v_add_f64_e32 v[2:3], v[2:3], v[6:7]
	s_delay_alu instid0(VALU_DEP_1)
	v_add_f64_e32 v[102:103], v[2:3], v[8:9]
.LBB164_50:                             ;   in Loop: Header=BB164_4 Depth=1
	s_or_b32 exec_lo, exec_lo, s64
	v_add_nc_u64_e32 v[2:3], s[58:59], v[0:1]
	s_and_b32 vcc_lo, exec_lo, s70
	s_mov_b32 s64, -1
	s_barrier_signal -1
	s_barrier_wait -1
                                        ; implicit-def: $vgpr14_vgpr15
	s_cbranch_vccz .LBB164_60
; %bb.51:                               ;   in Loop: Header=BB164_4 Depth=1
	v_lshl_add_u64 v[4:5], v[100:101], 3, v[0:1]
	v_mov_b64_e32 v[8:9], 0
	v_mov_b64_e32 v[6:7], 0
	s_delay_alu instid0(VALU_DEP_3) | instskip(NEXT) | instid1(VALU_DEP_1)
	v_lshl_add_u64 v[4:5], s[38:39], 3, v[4:5]
	v_add_nc_u64_e32 v[4:5], s[60:61], v[4:5]
	s_delay_alu instid0(VALU_DEP_1)
	v_dual_cndmask_b32 v5, v5, v3, s1 :: v_dual_cndmask_b32 v4, v4, v2, s1
	s_and_saveexec_b32 s64, s12
	s_cbranch_execz .LBB164_53
; %bb.52:                               ;   in Loop: Header=BB164_4 Depth=1
	flat_load_b64 v[6:7], v[4:5]
.LBB164_53:                             ;   in Loop: Header=BB164_4 Depth=1
	s_wait_xcnt 0x0
	s_or_b32 exec_lo, exec_lo, s64
	s_wait_loadcnt_dscnt 0x0
	ds_store_b64 v182, v[6:7]
	s_and_saveexec_b32 s64, s13
	s_cbranch_execz .LBB164_55
; %bb.54:                               ;   in Loop: Header=BB164_4 Depth=1
	v_add_nc_u64_e32 v[6:7], s[40:41], v[4:5]
	flat_load_b64 v[8:9], v[6:7]
.LBB164_55:                             ;   in Loop: Header=BB164_4 Depth=1
	s_wait_xcnt 0x0
	s_or_b32 exec_lo, exec_lo, s64
	v_mov_b64_e32 v[6:7], 0
	v_mov_b64_e32 v[10:11], 0
	s_wait_loadcnt_dscnt 0x0
	ds_store_b64 v182, v[8:9] offset:2112
	s_and_saveexec_b32 s64, s14
	s_cbranch_execz .LBB164_57
; %bb.56:                               ;   in Loop: Header=BB164_4 Depth=1
	v_add_nc_u64_e32 v[8:9], s[46:47], v[4:5]
	flat_load_b64 v[10:11], v[8:9]
.LBB164_57:                             ;   in Loop: Header=BB164_4 Depth=1
	s_wait_xcnt 0x0
	s_or_b32 exec_lo, exec_lo, s64
	s_wait_loadcnt_dscnt 0x0
	ds_store_b64 v182, v[10:11] offset:4224
	s_and_saveexec_b32 s64, s15
	s_cbranch_execz .LBB164_59
; %bb.58:                               ;   in Loop: Header=BB164_4 Depth=1
	v_add_nc_u64_e32 v[6:7], s[48:49], v[4:5]
	flat_load_b64 v[6:7], v[6:7]
.LBB164_59:                             ;   in Loop: Header=BB164_4 Depth=1
	s_wait_xcnt 0x0
	s_or_b32 exec_lo, exec_lo, s64
	v_lshlrev_b32_e32 v58, 3, v56
	s_mov_b32 s64, 0
	s_wait_loadcnt_dscnt 0x0
	ds_store_b64 v182, v[6:7] offset:6336
	v_add_nc_u64_e32 v[4:5], v[4:5], v[58:59]
	s_delay_alu instid0(VALU_DEP_1) | instskip(NEXT) | instid1(VALU_DEP_1)
	v_lshl_add_u64 v[4:5], s[54:55], 3, v[4:5]
	v_add_nc_u64_e32 v[4:5], 8, v[4:5]
	s_delay_alu instid0(VALU_DEP_1)
	v_dual_cndmask_b32 v15, v5, v3, s1 :: v_dual_cndmask_b32 v14, v4, v2, s1
.LBB164_60:                             ;   in Loop: Header=BB164_4 Depth=1
	s_and_b32 vcc_lo, exec_lo, s64
	s_cbranch_vccz .LBB164_62
; %bb.61:                               ;   in Loop: Header=BB164_4 Depth=1
	v_add_nc_u64_e32 v[4:5], s[40:41], v[0:1]
	v_mov_b64_e32 v[14:15], v[2:3]
	s_delay_alu instid0(VALU_DEP_2) | instskip(NEXT) | instid1(VALU_DEP_1)
	v_add_nc_u64_e32 v[6:7], s[40:41], v[4:5]
	v_add_nc_u64_e32 v[8:9], s[40:41], v[6:7]
	s_clause 0x3
	flat_load_b64 v[0:1], v[0:1] offset:-256
	flat_load_b64 v[4:5], v[4:5] offset:-256
	;; [unrolled: 1-line block ×4, first 2 shown]
	s_wait_loadcnt_dscnt 0x303
	ds_store_b64 v182, v[0:1]
	s_wait_loadcnt_dscnt 0x203
	ds_store_b64 v182, v[4:5] offset:2112
	s_wait_loadcnt_dscnt 0x103
	ds_store_b64 v182, v[6:7] offset:4224
	;; [unrolled: 2-line block ×3, first 2 shown]
.LBB164_62:                             ;   in Loop: Header=BB164_4 Depth=1
	s_wait_xcnt 0x3
	v_dual_add_nc_u32 v0, v172, v175 :: v_dual_add_nc_u32 v2, v173, v175
	s_wait_dscnt 0x0
	s_barrier_signal -1
	s_barrier_wait -1
	ds_load_b64 v[0:1], v0
	ds_load_b64 v[2:3], v2
	s_wait_xcnt 0x0
	ds_load_b64 v[8:9], v186 offset:192
	s_wait_dscnt 0x1
	v_fma_f64 v[20:21], v[0:1], v[2:3], 0
	ds_load_2addr_b64 v[0:3], v185 offset0:8 offset1:16
	ds_load_2addr_b64 v[4:7], v186 offset0:8 offset1:16
	s_wait_dscnt 0x0
	v_fmac_f64_e32 v[20:21], v[0:1], v[4:5]
	ds_load_b64 v[0:1], v185 offset:192
	v_fmac_f64_e32 v[20:21], v[2:3], v[6:7]
	s_wait_dscnt 0x0
	s_delay_alu instid0(VALU_DEP_1)
	v_fmac_f64_e32 v[20:21], v[0:1], v[8:9]
	ds_load_b128 v[8:11], v173 offset:256
	ds_load_b128 v[0:3], v173 offset:272
	ds_load_2addr_b64 v[4:7], v184 offset1:33
	ds_load_b64 v[18:19], v183
	ds_load_b64 v[16:17], v184 offset:528
	s_wait_dscnt 0x0
	s_barrier_signal -1
	s_barrier_wait -1
	ds_store_b64 v174, v[20:21]
	s_wait_dscnt 0x0
	s_barrier_signal -1
	s_barrier_wait -1
	s_and_saveexec_b32 s64, s16
	s_cbranch_execz .LBB164_64
; %bb.63:                               ;   in Loop: Header=BB164_4 Depth=1
	ds_load_2addr_b64 v[20:23], v171 offset1:1
	ds_load_2addr_b64 v[24:27], v171 offset0:2 offset1:3
	s_wait_dscnt 0x1
	v_add_f64_e32 v[20:21], v[102:103], v[20:21]
	s_delay_alu instid0(VALU_DEP_1) | instskip(SKIP_1) | instid1(VALU_DEP_1)
	v_add_f64_e32 v[20:21], v[20:21], v[22:23]
	s_wait_dscnt 0x0
	v_add_f64_e32 v[20:21], v[20:21], v[24:25]
	s_delay_alu instid0(VALU_DEP_1) | instskip(SKIP_4) | instid1(VALU_DEP_1)
	v_add_f64_e32 v[28:29], v[20:21], v[26:27]
	ds_load_2addr_b64 v[20:23], v171 offset0:4 offset1:5
	ds_load_2addr_b64 v[24:27], v171 offset0:6 offset1:7
	s_wait_dscnt 0x1
	v_add_f64_e32 v[20:21], v[28:29], v[20:21]
	v_add_f64_e32 v[20:21], v[20:21], v[22:23]
	s_wait_dscnt 0x0
	s_delay_alu instid0(VALU_DEP_1) | instskip(NEXT) | instid1(VALU_DEP_1)
	v_add_f64_e32 v[20:21], v[20:21], v[24:25]
	v_add_f64_e32 v[102:103], v[20:21], v[26:27]
.LBB164_64:                             ;   in Loop: Header=BB164_4 Depth=1
	s_or_b32 exec_lo, exec_lo, s64
	v_fma_f64 v[8:9], v[18:19], v[8:9], 0
	s_barrier_signal -1
	s_barrier_wait -1
	s_delay_alu instid0(VALU_DEP_1) | instskip(NEXT) | instid1(VALU_DEP_1)
	v_fmac_f64_e32 v[8:9], v[4:5], v[10:11]
	v_fmac_f64_e32 v[8:9], v[6:7], v[0:1]
	s_delay_alu instid0(VALU_DEP_1)
	v_fmac_f64_e32 v[8:9], v[16:17], v[2:3]
	ds_store_b64 v174, v[8:9]
	s_wait_dscnt 0x0
	s_barrier_signal -1
	s_barrier_wait -1
	s_and_saveexec_b32 s64, s10
	s_cbranch_execz .LBB164_66
; %bb.65:                               ;   in Loop: Header=BB164_4 Depth=1
	ds_load_2addr_b64 v[0:3], v171 offset1:1
	ds_load_2addr_b64 v[4:7], v171 offset0:2 offset1:3
	s_wait_dscnt 0x1
	v_add_f64_e32 v[0:1], v[102:103], v[0:1]
	s_delay_alu instid0(VALU_DEP_1) | instskip(SKIP_1) | instid1(VALU_DEP_1)
	v_add_f64_e32 v[0:1], v[0:1], v[2:3]
	s_wait_dscnt 0x0
	v_add_f64_e32 v[0:1], v[0:1], v[4:5]
	s_delay_alu instid0(VALU_DEP_1) | instskip(SKIP_4) | instid1(VALU_DEP_1)
	v_add_f64_e32 v[8:9], v[0:1], v[6:7]
	ds_load_2addr_b64 v[0:3], v171 offset0:4 offset1:5
	ds_load_2addr_b64 v[4:7], v171 offset0:6 offset1:7
	s_wait_dscnt 0x1
	v_add_f64_e32 v[0:1], v[8:9], v[0:1]
	v_add_f64_e32 v[0:1], v[0:1], v[2:3]
	s_wait_dscnt 0x0
	s_delay_alu instid0(VALU_DEP_1) | instskip(NEXT) | instid1(VALU_DEP_1)
	v_add_f64_e32 v[0:1], v[0:1], v[4:5]
	v_add_f64_e32 v[102:103], v[0:1], v[6:7]
.LBB164_66:                             ;   in Loop: Header=BB164_4 Depth=1
	s_or_b32 exec_lo, exec_lo, s64
	s_mul_u64 s[64:65], s[34:35], s[18:19]
	s_and_not1_b32 vcc_lo, exec_lo, s71
	s_lshl_b64 s[64:65], s[64:65], 3
	s_delay_alu instid0(SALU_CYCLE_1)
	s_add_nc_u64 s[64:65], s[44:45], s[64:65]
	s_barrier_signal -1
	s_barrier_wait -1
	s_cbranch_vccnz .LBB164_123
; %bb.67:                               ;   in Loop: Header=BB164_4 Depth=1
	v_add_nc_u64_e32 v[104:105], v[14:15], v[66:67]
	v_add_nc_u64_e32 v[106:107], v[14:15], v[68:69]
	;; [unrolled: 1-line block ×16, first 2 shown]
	v_lshl_add_u64 v[136:137], s[52:53], 3, v[12:13]
	s_mov_b32 s66, s74
	s_mov_b32 s75, s36
	s_delay_alu instid0(SALU_CYCLE_1)
	s_cmp_eq_u32 s72, s75
	s_cselect_b32 s76, s31, 0
	s_and_saveexec_b32 s77, s0
	s_cbranch_execz .LBB164_71
.LBB164_68:                             ;   in Loop: Header=BB164_4 Depth=1
	v_cmp_gt_i32_e32 vcc_lo, s76, v170
	v_mov_b64_e32 v[0:1], 0
	s_cmp_eq_u32 s76, 0
	s_cselect_b32 s67, -1, 0
	s_delay_alu instid0(SALU_CYCLE_1) | instskip(NEXT) | instid1(SALU_CYCLE_1)
	s_or_b32 s67, s67, vcc_lo
	s_and_saveexec_b32 s78, s67
	s_cbranch_execz .LBB164_70
; %bb.69:                               ;   in Loop: Header=BB164_4 Depth=1
	s_ashr_i32 s67, s66, 31
	s_delay_alu instid0(SALU_CYCLE_1) | instskip(NEXT) | instid1(SALU_CYCLE_1)
	s_mul_u64 s[80:81], s[28:29], s[66:67]
	v_lshl_add_u64 v[0:1], s[80:81], 3, v[136:137]
	flat_load_b64 v[0:1], v[0:1]
.LBB164_70:                             ;   in Loop: Header=BB164_4 Depth=1
	s_wait_xcnt 0x0
	s_or_b32 exec_lo, exec_lo, s78
	s_wait_loadcnt_dscnt 0x0
	ds_store_b64 v189, v[0:1]
.LBB164_71:                             ;   Parent Loop BB164_4 Depth=1
                                        ; =>  This Inner Loop Header: Depth=2
	s_or_b32 exec_lo, exec_lo, s77
	s_cmp_eq_u32 s76, 0
	v_add_nc_u64_e32 v[0:1], v[110:111], v[60:61]
	s_cselect_b32 s67, -1, 0
	s_cmp_lg_u32 s76, 0
	s_mov_b32 s78, -1
	s_cselect_b32 s77, -1, 0
	s_wait_dscnt 0x0
	s_and_b32 vcc_lo, exec_lo, s77
	s_barrier_signal -1
	s_barrier_wait -1
                                        ; implicit-def: $vgpr142_vgpr143
                                        ; implicit-def: $vgpr144_vgpr145
                                        ; implicit-def: $vgpr138_vgpr139
                                        ; implicit-def: $vgpr140_vgpr141
	s_cbranch_vccz .LBB164_81
; %bb.72:                               ;   in Loop: Header=BB164_71 Depth=2
	v_mov_b64_e32 v[138:139], 0
	v_mov_b64_e32 v[140:141], 0
	s_mov_b32 s78, exec_lo
	v_cmpx_gt_i32_e64 s76, v176
	s_cbranch_execz .LBB164_74
; %bb.73:                               ;   in Loop: Header=BB164_71 Depth=2
	flat_load_b64 v[140:141], v[0:1]
.LBB164_74:                             ;   in Loop: Header=BB164_71 Depth=2
	s_wait_xcnt 0x0
	s_or_b32 exec_lo, exec_lo, s78
	s_delay_alu instid0(SALU_CYCLE_1)
	s_mov_b32 s78, exec_lo
	v_cmpx_gt_i32_e64 s76, v191
	s_cbranch_execz .LBB164_76
; %bb.75:                               ;   in Loop: Header=BB164_71 Depth=2
	v_add_nc_u64_e32 v[2:3], v[108:109], v[60:61]
	flat_load_b64 v[138:139], v[2:3]
.LBB164_76:                             ;   in Loop: Header=BB164_71 Depth=2
	s_wait_xcnt 0x0
	s_or_b32 exec_lo, exec_lo, s78
	v_mov_b64_e32 v[142:143], 0
	v_mov_b64_e32 v[144:145], 0
	s_mov_b32 s78, exec_lo
	v_cmpx_gt_i32_e64 s76, v192
	s_cbranch_execz .LBB164_78
; %bb.77:                               ;   in Loop: Header=BB164_71 Depth=2
	v_add_nc_u64_e32 v[2:3], v[104:105], v[60:61]
	flat_load_b64 v[144:145], v[2:3]
.LBB164_78:                             ;   in Loop: Header=BB164_71 Depth=2
	s_wait_xcnt 0x0
	s_or_b32 exec_lo, exec_lo, s78
	s_delay_alu instid0(SALU_CYCLE_1)
	s_mov_b32 s78, exec_lo
	v_cmpx_gt_i32_e64 s76, v193
	s_cbranch_execz .LBB164_80
; %bb.79:                               ;   in Loop: Header=BB164_71 Depth=2
	v_add_nc_u64_e32 v[2:3], v[106:107], v[60:61]
	flat_load_b64 v[142:143], v[2:3]
.LBB164_80:                             ;   in Loop: Header=BB164_71 Depth=2
	s_wait_xcnt 0x0
	s_or_b32 exec_lo, exec_lo, s78
	s_mov_b32 s78, 0
.LBB164_81:                             ;   in Loop: Header=BB164_71 Depth=2
	s_delay_alu instid0(SALU_CYCLE_1)
	s_and_b32 vcc_lo, exec_lo, s78
	s_cbranch_vccz .LBB164_83
; %bb.82:                               ;   in Loop: Header=BB164_71 Depth=2
	v_add_nc_u64_e32 v[2:3], v[108:109], v[60:61]
	v_add_nc_u64_e32 v[4:5], v[104:105], v[60:61]
	;; [unrolled: 1-line block ×3, first 2 shown]
	s_wait_loadcnt_dscnt 0x0
	flat_load_b64 v[140:141], v[0:1]
	flat_load_b64 v[138:139], v[2:3]
	;; [unrolled: 1-line block ×4, first 2 shown]
.LBB164_83:                             ;   in Loop: Header=BB164_71 Depth=2
	s_wait_xcnt 0x1
	ds_load_b64 v[4:5], v188
	ds_load_b128 v[0:3], v190
	v_cndmask_b32_e64 v44, 0, 1, s77
	s_and_not1_b32 vcc_lo, exec_lo, s77
	s_mov_b32 s77, -1
                                        ; implicit-def: $vgpr150_vgpr151
                                        ; implicit-def: $vgpr152_vgpr153
                                        ; implicit-def: $vgpr146_vgpr147
                                        ; implicit-def: $vgpr148_vgpr149
	s_wait_loadcnt_dscnt 0x1
	v_mul_f64_e32 v[8:9], v[140:141], v[4:5]
	v_mul_f64_e32 v[10:11], v[138:139], v[4:5]
	;; [unrolled: 1-line block ×4, first 2 shown]
	s_wait_xcnt 0x0
	ds_load_b128 v[4:7], v190 offset:16
	ds_store_2addr_b64 v180, v[8:9], v[10:11] offset1:67
	ds_store_2addr_b64 v180, v[12:13], v[14:15] offset0:134 offset1:201
	s_wait_dscnt 0x0
	s_barrier_signal -1
	s_barrier_wait -1
	ds_load_2addr_b64 v[20:23], v177 offset1:1
	ds_load_2addr_b64 v[8:11], v177 offset0:2 offset1:3
	v_add_nc_u64_e32 v[12:13], v[118:119], v[60:61]
	s_wait_dscnt 0x0
	s_barrier_signal -1
	s_barrier_wait -1
	s_cbranch_vccnz .LBB164_93
; %bb.84:                               ;   in Loop: Header=BB164_71 Depth=2
	v_mov_b64_e32 v[146:147], 0
	v_mov_b64_e32 v[148:149], 0
	s_mov_b32 s77, exec_lo
	v_cmpx_gt_i32_e64 s76, v194
	s_cbranch_execz .LBB164_86
; %bb.85:                               ;   in Loop: Header=BB164_71 Depth=2
	flat_load_b64 v[148:149], v[12:13]
.LBB164_86:                             ;   in Loop: Header=BB164_71 Depth=2
	s_wait_xcnt 0x0
	s_or_b32 exec_lo, exec_lo, s77
	s_delay_alu instid0(SALU_CYCLE_1)
	s_mov_b32 s77, exec_lo
	v_cmpx_gt_i32_e64 s76, v195
	s_cbranch_execz .LBB164_88
; %bb.87:                               ;   in Loop: Header=BB164_71 Depth=2
	v_add_nc_u64_e32 v[14:15], v[116:117], v[60:61]
	flat_load_b64 v[146:147], v[14:15]
.LBB164_88:                             ;   in Loop: Header=BB164_71 Depth=2
	s_wait_xcnt 0x0
	s_or_b32 exec_lo, exec_lo, s77
	v_mov_b64_e32 v[150:151], 0
	v_mov_b64_e32 v[152:153], 0
	s_mov_b32 s77, exec_lo
	v_cmpx_gt_i32_e64 s76, v196
	s_cbranch_execz .LBB164_90
; %bb.89:                               ;   in Loop: Header=BB164_71 Depth=2
	v_add_nc_u64_e32 v[14:15], v[112:113], v[60:61]
	flat_load_b64 v[152:153], v[14:15]
.LBB164_90:                             ;   in Loop: Header=BB164_71 Depth=2
	s_wait_xcnt 0x0
	s_or_b32 exec_lo, exec_lo, s77
	s_delay_alu instid0(SALU_CYCLE_1)
	s_mov_b32 s77, exec_lo
	v_cmpx_gt_i32_e64 s76, v197
	s_cbranch_execz .LBB164_92
; %bb.91:                               ;   in Loop: Header=BB164_71 Depth=2
	v_add_nc_u64_e32 v[14:15], v[114:115], v[60:61]
	flat_load_b64 v[150:151], v[14:15]
.LBB164_92:                             ;   in Loop: Header=BB164_71 Depth=2
	s_wait_xcnt 0x0
	s_or_b32 exec_lo, exec_lo, s77
	s_mov_b32 s77, 0
.LBB164_93:                             ;   in Loop: Header=BB164_71 Depth=2
	s_delay_alu instid0(SALU_CYCLE_1)
	s_and_b32 vcc_lo, exec_lo, s77
	s_cbranch_vccz .LBB164_95
; %bb.94:                               ;   in Loop: Header=BB164_71 Depth=2
	v_add_nc_u64_e32 v[14:15], v[116:117], v[60:61]
	v_add_nc_u64_e32 v[16:17], v[112:113], v[60:61]
	;; [unrolled: 1-line block ×3, first 2 shown]
	s_wait_loadcnt_dscnt 0x0
	flat_load_b64 v[148:149], v[12:13]
	flat_load_b64 v[146:147], v[14:15]
	;; [unrolled: 1-line block ×4, first 2 shown]
.LBB164_95:                             ;   in Loop: Header=BB164_71 Depth=2
	s_wait_xcnt 0x1
	ds_load_b64 v[16:17], v188
	ds_load_b128 v[12:15], v190 offset:128
	v_cmp_ne_u32_e32 vcc_lo, 1, v44
	s_mov_b32 s77, -1
                                        ; implicit-def: $vgpr158_vgpr159
                                        ; implicit-def: $vgpr160_vgpr161
                                        ; implicit-def: $vgpr154_vgpr155
                                        ; implicit-def: $vgpr156_vgpr157
	s_and_b32 vcc_lo, exec_lo, vcc_lo
	s_wait_loadcnt_dscnt 0x1
	v_mul_f64_e32 v[24:25], v[148:149], v[16:17]
	v_mul_f64_e32 v[26:27], v[146:147], v[16:17]
	;; [unrolled: 1-line block ×4, first 2 shown]
	s_wait_xcnt 0x0
	ds_load_b128 v[16:19], v190 offset:144
	ds_store_2addr_b64 v180, v[24:25], v[26:27] offset1:67
	ds_store_2addr_b64 v180, v[28:29], v[30:31] offset0:134 offset1:201
	s_wait_dscnt 0x0
	s_barrier_signal -1
	s_barrier_wait -1
	ds_load_2addr_b64 v[36:39], v177 offset1:1
	ds_load_2addr_b64 v[32:35], v177 offset0:2 offset1:3
	v_add_nc_u64_e32 v[24:25], v[126:127], v[60:61]
	s_wait_dscnt 0x0
	s_barrier_signal -1
	s_barrier_wait -1
	s_cbranch_vccnz .LBB164_105
; %bb.96:                               ;   in Loop: Header=BB164_71 Depth=2
	v_mov_b64_e32 v[154:155], 0
	v_mov_b64_e32 v[156:157], 0
	s_mov_b32 s77, exec_lo
	v_cmpx_gt_i32_e64 s76, v198
	s_cbranch_execz .LBB164_98
; %bb.97:                               ;   in Loop: Header=BB164_71 Depth=2
	flat_load_b64 v[156:157], v[24:25]
.LBB164_98:                             ;   in Loop: Header=BB164_71 Depth=2
	s_wait_xcnt 0x0
	s_or_b32 exec_lo, exec_lo, s77
	s_delay_alu instid0(SALU_CYCLE_1)
	s_mov_b32 s77, exec_lo
	v_cmpx_gt_i32_e64 s76, v199
	s_cbranch_execz .LBB164_100
; %bb.99:                               ;   in Loop: Header=BB164_71 Depth=2
	v_add_nc_u64_e32 v[26:27], v[124:125], v[60:61]
	flat_load_b64 v[154:155], v[26:27]
.LBB164_100:                            ;   in Loop: Header=BB164_71 Depth=2
	s_wait_xcnt 0x0
	s_or_b32 exec_lo, exec_lo, s77
	v_mov_b64_e32 v[158:159], 0
	v_mov_b64_e32 v[160:161], 0
	s_mov_b32 s77, exec_lo
	v_cmpx_gt_i32_e64 s76, v200
	s_cbranch_execz .LBB164_102
; %bb.101:                              ;   in Loop: Header=BB164_71 Depth=2
	v_add_nc_u64_e32 v[26:27], v[120:121], v[60:61]
	flat_load_b64 v[160:161], v[26:27]
.LBB164_102:                            ;   in Loop: Header=BB164_71 Depth=2
	s_wait_xcnt 0x0
	s_or_b32 exec_lo, exec_lo, s77
	s_delay_alu instid0(SALU_CYCLE_1)
	s_mov_b32 s77, exec_lo
	v_cmpx_gt_i32_e64 s76, v201
	s_cbranch_execz .LBB164_104
; %bb.103:                              ;   in Loop: Header=BB164_71 Depth=2
	v_add_nc_u64_e32 v[26:27], v[122:123], v[60:61]
	flat_load_b64 v[158:159], v[26:27]
.LBB164_104:                            ;   in Loop: Header=BB164_71 Depth=2
	s_wait_xcnt 0x0
	s_or_b32 exec_lo, exec_lo, s77
	s_mov_b32 s77, 0
.LBB164_105:                            ;   in Loop: Header=BB164_71 Depth=2
	s_delay_alu instid0(SALU_CYCLE_1)
	s_and_b32 vcc_lo, exec_lo, s77
	s_cbranch_vccz .LBB164_107
; %bb.106:                              ;   in Loop: Header=BB164_71 Depth=2
	v_add_nc_u64_e32 v[26:27], v[124:125], v[60:61]
	v_add_nc_u64_e32 v[28:29], v[120:121], v[60:61]
	;; [unrolled: 1-line block ×3, first 2 shown]
	s_wait_loadcnt_dscnt 0x0
	flat_load_b64 v[156:157], v[24:25]
	flat_load_b64 v[154:155], v[26:27]
	;; [unrolled: 1-line block ×4, first 2 shown]
.LBB164_107:                            ;   in Loop: Header=BB164_71 Depth=2
	s_wait_xcnt 0x3
	ds_load_b64 v[24:25], v188
	v_cmp_ne_u32_e32 vcc_lo, 1, v44
	v_add_nc_u64_e32 v[44:45], v[134:135], v[60:61]
	s_mov_b32 s77, -1
                                        ; implicit-def: $vgpr166_vgpr167
                                        ; implicit-def: $vgpr168_vgpr169
                                        ; implicit-def: $vgpr162_vgpr163
                                        ; implicit-def: $vgpr164_vgpr165
	s_and_b32 vcc_lo, exec_lo, vcc_lo
	s_wait_loadcnt_dscnt 0x0
	v_mul_f64_e32 v[40:41], v[156:157], v[24:25]
	v_mul_f64_e32 v[42:43], v[154:155], v[24:25]
	;; [unrolled: 1-line block ×4, first 2 shown]
	s_wait_xcnt 0x0
	ds_load_b128 v[28:31], v190 offset:256
	ds_load_b128 v[24:27], v190 offset:272
	ds_store_2addr_b64 v180, v[40:41], v[42:43] offset1:67
	ds_store_2addr_b64 v180, v[46:47], v[48:49] offset0:134 offset1:201
	s_wait_dscnt 0x0
	s_barrier_signal -1
	s_barrier_wait -1
	ds_load_2addr_b64 v[48:51], v177 offset1:1
	ds_load_2addr_b64 v[40:43], v177 offset0:2 offset1:3
	s_wait_dscnt 0x0
	s_barrier_signal -1
	s_barrier_wait -1
	s_cbranch_vccnz .LBB164_117
; %bb.108:                              ;   in Loop: Header=BB164_71 Depth=2
	v_mov_b64_e32 v[162:163], 0
	v_mov_b64_e32 v[164:165], 0
	s_mov_b32 s77, exec_lo
	v_cmpx_gt_i32_e64 s76, v202
	s_cbranch_execz .LBB164_110
; %bb.109:                              ;   in Loop: Header=BB164_71 Depth=2
	flat_load_b64 v[164:165], v[44:45]
.LBB164_110:                            ;   in Loop: Header=BB164_71 Depth=2
	s_wait_xcnt 0x0
	s_or_b32 exec_lo, exec_lo, s77
	s_delay_alu instid0(SALU_CYCLE_1)
	s_mov_b32 s77, exec_lo
	v_cmpx_gt_i32_e64 s76, v203
	s_cbranch_execz .LBB164_112
; %bb.111:                              ;   in Loop: Header=BB164_71 Depth=2
	v_add_nc_u64_e32 v[46:47], v[132:133], v[60:61]
	flat_load_b64 v[162:163], v[46:47]
.LBB164_112:                            ;   in Loop: Header=BB164_71 Depth=2
	s_wait_xcnt 0x0
	s_or_b32 exec_lo, exec_lo, s77
	v_mov_b64_e32 v[166:167], 0
	v_mov_b64_e32 v[168:169], 0
	s_mov_b32 s77, exec_lo
	v_cmpx_gt_i32_e64 s76, v204
	s_cbranch_execz .LBB164_114
; %bb.113:                              ;   in Loop: Header=BB164_71 Depth=2
	v_add_nc_u64_e32 v[46:47], v[128:129], v[60:61]
	flat_load_b64 v[168:169], v[46:47]
.LBB164_114:                            ;   in Loop: Header=BB164_71 Depth=2
	s_wait_xcnt 0x0
	s_or_b32 exec_lo, exec_lo, s77
	s_delay_alu instid0(SALU_CYCLE_1)
	s_mov_b32 s77, exec_lo
	v_cmpx_gt_i32_e64 s76, v57
	s_cbranch_execz .LBB164_116
; %bb.115:                              ;   in Loop: Header=BB164_71 Depth=2
	v_add_nc_u64_e32 v[46:47], v[130:131], v[60:61]
	flat_load_b64 v[166:167], v[46:47]
.LBB164_116:                            ;   in Loop: Header=BB164_71 Depth=2
	s_wait_xcnt 0x0
	s_or_b32 exec_lo, exec_lo, s77
	s_mov_b32 s77, 0
.LBB164_117:                            ;   in Loop: Header=BB164_71 Depth=2
	s_delay_alu instid0(SALU_CYCLE_1)
	s_and_b32 vcc_lo, exec_lo, s77
	s_cbranch_vccz .LBB164_119
; %bb.118:                              ;   in Loop: Header=BB164_71 Depth=2
	v_add_nc_u64_e32 v[46:47], v[132:133], v[60:61]
	v_add_nc_u64_e32 v[52:53], v[128:129], v[60:61]
	;; [unrolled: 1-line block ×3, first 2 shown]
	s_wait_loadcnt_dscnt 0x0
	flat_load_b64 v[164:165], v[44:45]
	flat_load_b64 v[162:163], v[46:47]
	;; [unrolled: 1-line block ×4, first 2 shown]
.LBB164_119:                            ;   in Loop: Header=BB164_71 Depth=2
	s_wait_xcnt 0x1
	ds_load_b64 v[52:53], v188
	ds_load_b128 v[44:47], v190 offset:384
	v_add_f64_e32 v[36:37], 0, v[36:37]
	v_add_f64_e32 v[20:21], 0, v[20:21]
	;; [unrolled: 1-line block ×3, first 2 shown]
	v_cmp_gt_i32_e32 vcc_lo, s76, v170
	s_or_b32 s67, s67, vcc_lo
	s_delay_alu instid0(SALU_CYCLE_1)
	s_and_b32 s76, s17, s67
	s_wait_loadcnt_dscnt 0x1
	v_mul_f64_e32 v[206:207], v[164:165], v[52:53]
	v_mul_f64_e32 v[208:209], v[162:163], v[52:53]
	;; [unrolled: 1-line block ×4, first 2 shown]
	s_wait_xcnt 0x0
	ds_load_b128 v[52:55], v190 offset:400
	ds_store_2addr_b64 v180, v[206:207], v[208:209] offset1:67
	ds_store_2addr_b64 v180, v[210:211], v[212:213] offset0:134 offset1:201
	s_wait_dscnt 0x0
	s_barrier_signal -1
	s_barrier_wait -1
	ds_load_2addr_b64 v[206:209], v177 offset1:1
	ds_load_2addr_b64 v[210:213], v177 offset0:2 offset1:3
	v_add_f64_e32 v[36:37], v[36:37], v[38:39]
	v_add_f64_e32 v[20:21], v[20:21], v[22:23]
	;; [unrolled: 1-line block ×3, first 2 shown]
	s_wait_dscnt 0x0
	s_barrier_signal -1
	s_barrier_wait -1
	v_add_f64_e32 v[206:207], 0, v[206:207]
	s_delay_alu instid0(VALU_DEP_4) | instskip(NEXT) | instid1(VALU_DEP_4)
	v_add_f64_e32 v[32:33], v[36:37], v[32:33]
	v_add_f64_e32 v[8:9], v[20:21], v[8:9]
	s_delay_alu instid0(VALU_DEP_4) | instskip(NEXT) | instid1(VALU_DEP_4)
	v_add_f64_e32 v[38:39], v[48:49], v[40:41]
	;; [unrolled: 3-line block ×3, first 2 shown]
	v_add_f64_e32 v[8:9], v[8:9], v[10:11]
	s_delay_alu instid0(VALU_DEP_3) | instskip(SKIP_1) | instid1(VALU_DEP_2)
	v_add_f64_e32 v[20:21], v[22:23], v[210:211]
	v_add_f64_e32 v[22:23], v[38:39], v[42:43]
	;; [unrolled: 1-line block ×3, first 2 shown]
	ds_store_2addr_b64 v187, v[8:9], v[32:33] offset1:16
	ds_store_2addr_b64 v187, v[22:23], v[10:11] offset0:32 offset1:48
	s_wait_dscnt 0x0
	s_barrier_signal -1
	s_barrier_wait -1
	s_and_saveexec_b32 s67, s76
	s_cbranch_execz .LBB164_121
; %bb.120:                              ;   in Loop: Header=BB164_71 Depth=2
	ds_load_2addr_b64 v[8:11], v178 offset1:1
	ds_load_2addr_b64 v[20:23], v178 offset0:2 offset1:3
	s_wait_dscnt 0x1
	v_add_f64_e32 v[8:9], v[8:9], v[10:11]
	s_wait_dscnt 0x0
	s_delay_alu instid0(VALU_DEP_1) | instskip(NEXT) | instid1(VALU_DEP_1)
	v_add_f64_e32 v[8:9], v[8:9], v[20:21]
	v_add_f64_e32 v[32:33], v[8:9], v[22:23]
	ds_load_2addr_b64 v[8:11], v178 offset0:4 offset1:5
	ds_load_2addr_b64 v[20:23], v178 offset0:6 offset1:7
	s_wait_dscnt 0x1
	v_add_f64_e32 v[8:9], v[32:33], v[8:9]
	s_delay_alu instid0(VALU_DEP_1) | instskip(SKIP_1) | instid1(VALU_DEP_1)
	v_add_f64_e32 v[8:9], v[8:9], v[10:11]
	s_wait_dscnt 0x0
	v_add_f64_e32 v[8:9], v[8:9], v[20:21]
	s_delay_alu instid0(VALU_DEP_1) | instskip(SKIP_4) | instid1(VALU_DEP_1)
	v_add_f64_e32 v[32:33], v[8:9], v[22:23]
	ds_load_2addr_b64 v[8:11], v178 offset0:8 offset1:9
	ds_load_2addr_b64 v[20:23], v178 offset0:10 offset1:11
	s_wait_dscnt 0x1
	v_add_f64_e32 v[8:9], v[32:33], v[8:9]
	v_add_f64_e32 v[8:9], v[8:9], v[10:11]
	s_wait_dscnt 0x0
	s_delay_alu instid0(VALU_DEP_1) | instskip(NEXT) | instid1(VALU_DEP_1)
	v_add_f64_e32 v[8:9], v[8:9], v[20:21]
	v_add_f64_e32 v[20:21], v[8:9], v[22:23]
	ds_load_2addr_b64 v[8:11], v178 offset0:12 offset1:13
	ds_load_b64 v[22:23], v178 offset:112
	s_wait_dscnt 0x1
	v_add_f64_e32 v[8:9], v[20:21], v[8:9]
	s_delay_alu instid0(VALU_DEP_1) | instskip(SKIP_4) | instid1(VALU_DEP_1)
	v_add_f64_e32 v[8:9], v[8:9], v[10:11]
	ds_load_b64 v[10:11], v179
	s_wait_dscnt 0x1
	v_add_f64_e32 v[8:9], v[8:9], v[22:23]
	s_wait_dscnt 0x0
	v_add_f64_e32 v[8:9], v[8:9], v[10:11]
	v_add_nc_u32_e32 v10, s66, v170
	global_store_b64 v10, v[8:9], s[64:65] scale_offset
.LBB164_121:                            ;   in Loop: Header=BB164_71 Depth=2
	s_wait_xcnt 0x0
	s_or_b32 exec_lo, exec_lo, s67
	v_fmac_f64_e32 v[102:103], v[140:141], v[0:1]
	v_add_nc_u64_e32 v[104:105], s[56:57], v[104:105]
	v_add_nc_u64_e32 v[106:107], s[56:57], v[106:107]
	;; [unrolled: 1-line block ×16, first 2 shown]
	s_add_co_i32 s67, s75, 1
	s_add_co_i32 s75, s75, 2
	;; [unrolled: 1-line block ×3, first 2 shown]
	s_cmp_ge_u32 s75, s30
	s_wait_storecnt 0x0
	s_barrier_signal -1
	s_barrier_wait -1
	v_fmac_f64_e32 v[102:103], v[138:139], v[2:3]
	s_delay_alu instid0(VALU_DEP_1) | instskip(NEXT) | instid1(VALU_DEP_1)
	v_fmac_f64_e32 v[102:103], v[144:145], v[4:5]
	v_fmac_f64_e32 v[102:103], v[142:143], v[6:7]
	s_delay_alu instid0(VALU_DEP_1) | instskip(NEXT) | instid1(VALU_DEP_1)
	v_fmac_f64_e32 v[102:103], v[148:149], v[12:13]
	;; [unrolled: 3-line block ×7, first 2 shown]
	v_fmac_f64_e32 v[102:103], v[166:167], v[54:55]
	s_cbranch_scc1 .LBB164_123
; %bb.122:                              ;   in Loop: Header=BB164_71 Depth=2
	s_mov_b32 s75, s67
	s_delay_alu instid0(SALU_CYCLE_1)
	s_cmp_eq_u32 s72, s75
	s_cselect_b32 s76, s31, 0
	s_and_saveexec_b32 s77, s0
	s_cbranch_execnz .LBB164_68
	s_branch .LBB164_71
.LBB164_123:                            ;   in Loop: Header=BB164_4 Depth=1
	ds_store_b64 v181, v[102:103]
	s_wait_dscnt 0x0
	s_barrier_signal -1
	s_barrier_wait -1
	s_and_saveexec_b32 s66, s73
	s_cbranch_execz .LBB164_2
; %bb.124:                              ;   in Loop: Header=BB164_4 Depth=1
	ds_load_2addr_b64 v[0:3], v60 offset1:67
	s_wait_dscnt 0x0
	v_add_f64_e32 v[4:5], v[0:1], v[2:3]
	ds_load_2addr_b64 v[0:3], v60 offset0:134 offset1:201
	s_wait_dscnt 0x0
	v_add_f64_e32 v[0:1], v[4:5], v[0:1]
	s_delay_alu instid0(VALU_DEP_1)
	v_add_f64_e32 v[0:1], v[0:1], v[2:3]
	v_lshl_add_u64 v[2:3], v[64:65], 3, s[64:65]
	global_store_b64 v[2:3], v[0:1], off
	s_branch .LBB164_2
.LBB164_125:                            ;   in Loop: Header=BB164_4 Depth=1
	ds_load_b64 v[2:3], v183
	s_wait_dscnt 0x0
	ds_store_b64 v172, v[2:3]
	s_or_b32 exec_lo, exec_lo, s64
	s_and_saveexec_b32 s64, s7
	s_cbranch_execz .LBB164_26
.LBB164_126:                            ;   in Loop: Header=BB164_4 Depth=1
	ds_load_b64 v[2:3], v184
	s_wait_dscnt 0x0
	ds_store_b64 v172, v[2:3] offset:8
	s_or_b32 exec_lo, exec_lo, s64
	s_and_saveexec_b32 s64, s8
	s_cbranch_execz .LBB164_27
.LBB164_127:                            ;   in Loop: Header=BB164_4 Depth=1
	ds_load_b64 v[2:3], v184 offset:264
	s_wait_dscnt 0x0
	ds_store_b64 v172, v[2:3] offset:16
	s_or_b32 exec_lo, exec_lo, s64
	s_and_saveexec_b32 s64, s9
	s_cbranch_execnz .LBB164_28
	s_branch .LBB164_29
.LBB164_128:                            ;   in Loop: Header=BB164_4 Depth=1
	ds_load_b64 v[2:3], v183
	s_wait_dscnt 0x0
	ds_store_b64 v172, v[2:3]
	s_or_b32 exec_lo, exec_lo, s64
	s_and_saveexec_b32 s64, s7
	s_cbranch_execz .LBB164_45
.LBB164_129:                            ;   in Loop: Header=BB164_4 Depth=1
	ds_load_b64 v[2:3], v184
	s_wait_dscnt 0x0
	ds_store_b64 v172, v[2:3] offset:8
	s_or_b32 exec_lo, exec_lo, s64
	s_and_saveexec_b32 s64, s8
	s_cbranch_execz .LBB164_46
.LBB164_130:                            ;   in Loop: Header=BB164_4 Depth=1
	ds_load_b64 v[2:3], v184 offset:264
	s_wait_dscnt 0x0
	ds_store_b64 v172, v[2:3] offset:16
	s_or_b32 exec_lo, exec_lo, s64
	s_and_saveexec_b32 s64, s9
	s_cbranch_execnz .LBB164_47
	s_branch .LBB164_48
.LBB164_131:
	s_sendmsg sendmsg(MSG_DEALLOC_VGPRS)
	s_endpgm
	.section	.rodata,"a",@progbits
	.p2align	6, 0x0
	.amdhsa_kernel _ZL26rocblas_hemvn_kernel_upperILb0ELi64ELi4ELi33ELi32ELi16EldPKPKdPdEviT6_lT7_lT5_lS6_lS7_lS5_lT8_i
		.amdhsa_group_segment_fixed_size 9600
		.amdhsa_private_segment_fixed_size 0
		.amdhsa_kernarg_size 376
		.amdhsa_user_sgpr_count 2
		.amdhsa_user_sgpr_dispatch_ptr 0
		.amdhsa_user_sgpr_queue_ptr 0
		.amdhsa_user_sgpr_kernarg_segment_ptr 1
		.amdhsa_user_sgpr_dispatch_id 0
		.amdhsa_user_sgpr_kernarg_preload_length 0
		.amdhsa_user_sgpr_kernarg_preload_offset 0
		.amdhsa_user_sgpr_private_segment_size 0
		.amdhsa_wavefront_size32 1
		.amdhsa_uses_dynamic_stack 0
		.amdhsa_enable_private_segment 0
		.amdhsa_system_sgpr_workgroup_id_x 1
		.amdhsa_system_sgpr_workgroup_id_y 0
		.amdhsa_system_sgpr_workgroup_id_z 1
		.amdhsa_system_sgpr_workgroup_info 0
		.amdhsa_system_vgpr_workitem_id 1
		.amdhsa_next_free_vgpr 214
		.amdhsa_next_free_sgpr 82
		.amdhsa_named_barrier_count 0
		.amdhsa_reserve_vcc 1
		.amdhsa_float_round_mode_32 0
		.amdhsa_float_round_mode_16_64 0
		.amdhsa_float_denorm_mode_32 3
		.amdhsa_float_denorm_mode_16_64 3
		.amdhsa_fp16_overflow 0
		.amdhsa_memory_ordered 1
		.amdhsa_forward_progress 1
		.amdhsa_inst_pref_size 52
		.amdhsa_round_robin_scheduling 0
		.amdhsa_exception_fp_ieee_invalid_op 0
		.amdhsa_exception_fp_denorm_src 0
		.amdhsa_exception_fp_ieee_div_zero 0
		.amdhsa_exception_fp_ieee_overflow 0
		.amdhsa_exception_fp_ieee_underflow 0
		.amdhsa_exception_fp_ieee_inexact 0
		.amdhsa_exception_int_div_zero 0
	.end_amdhsa_kernel
	.section	.text._ZL26rocblas_hemvn_kernel_upperILb0ELi64ELi4ELi33ELi32ELi16EldPKPKdPdEviT6_lT7_lT5_lS6_lS7_lS5_lT8_i,"axG",@progbits,_ZL26rocblas_hemvn_kernel_upperILb0ELi64ELi4ELi33ELi32ELi16EldPKPKdPdEviT6_lT7_lT5_lS6_lS7_lS5_lT8_i,comdat
.Lfunc_end164:
	.size	_ZL26rocblas_hemvn_kernel_upperILb0ELi64ELi4ELi33ELi32ELi16EldPKPKdPdEviT6_lT7_lT5_lS6_lS7_lS5_lT8_i, .Lfunc_end164-_ZL26rocblas_hemvn_kernel_upperILb0ELi64ELi4ELi33ELi32ELi16EldPKPKdPdEviT6_lT7_lT5_lS6_lS7_lS5_lT8_i
                                        ; -- End function
	.set _ZL26rocblas_hemvn_kernel_upperILb0ELi64ELi4ELi33ELi32ELi16EldPKPKdPdEviT6_lT7_lT5_lS6_lS7_lS5_lT8_i.num_vgpr, 214
	.set _ZL26rocblas_hemvn_kernel_upperILb0ELi64ELi4ELi33ELi32ELi16EldPKPKdPdEviT6_lT7_lT5_lS6_lS7_lS5_lT8_i.num_agpr, 0
	.set _ZL26rocblas_hemvn_kernel_upperILb0ELi64ELi4ELi33ELi32ELi16EldPKPKdPdEviT6_lT7_lT5_lS6_lS7_lS5_lT8_i.numbered_sgpr, 82
	.set _ZL26rocblas_hemvn_kernel_upperILb0ELi64ELi4ELi33ELi32ELi16EldPKPKdPdEviT6_lT7_lT5_lS6_lS7_lS5_lT8_i.num_named_barrier, 0
	.set _ZL26rocblas_hemvn_kernel_upperILb0ELi64ELi4ELi33ELi32ELi16EldPKPKdPdEviT6_lT7_lT5_lS6_lS7_lS5_lT8_i.private_seg_size, 0
	.set _ZL26rocblas_hemvn_kernel_upperILb0ELi64ELi4ELi33ELi32ELi16EldPKPKdPdEviT6_lT7_lT5_lS6_lS7_lS5_lT8_i.uses_vcc, 1
	.set _ZL26rocblas_hemvn_kernel_upperILb0ELi64ELi4ELi33ELi32ELi16EldPKPKdPdEviT6_lT7_lT5_lS6_lS7_lS5_lT8_i.uses_flat_scratch, 1
	.set _ZL26rocblas_hemvn_kernel_upperILb0ELi64ELi4ELi33ELi32ELi16EldPKPKdPdEviT6_lT7_lT5_lS6_lS7_lS5_lT8_i.has_dyn_sized_stack, 0
	.set _ZL26rocblas_hemvn_kernel_upperILb0ELi64ELi4ELi33ELi32ELi16EldPKPKdPdEviT6_lT7_lT5_lS6_lS7_lS5_lT8_i.has_recursion, 0
	.set _ZL26rocblas_hemvn_kernel_upperILb0ELi64ELi4ELi33ELi32ELi16EldPKPKdPdEviT6_lT7_lT5_lS6_lS7_lS5_lT8_i.has_indirect_call, 0
	.section	.AMDGPU.csdata,"",@progbits
; Kernel info:
; codeLenInByte = 6576
; TotalNumSgprs: 84
; NumVgprs: 214
; ScratchSize: 0
; MemoryBound: 0
; FloatMode: 240
; IeeeMode: 1
; LDSByteSize: 9600 bytes/workgroup (compile time only)
; SGPRBlocks: 0
; VGPRBlocks: 13
; NumSGPRsForWavesPerEU: 84
; NumVGPRsForWavesPerEU: 214
; NamedBarCnt: 0
; Occupancy: 4
; WaveLimiterHint : 1
; COMPUTE_PGM_RSRC2:SCRATCH_EN: 0
; COMPUTE_PGM_RSRC2:USER_SGPR: 2
; COMPUTE_PGM_RSRC2:TRAP_HANDLER: 0
; COMPUTE_PGM_RSRC2:TGID_X_EN: 1
; COMPUTE_PGM_RSRC2:TGID_Y_EN: 0
; COMPUTE_PGM_RSRC2:TGID_Z_EN: 1
; COMPUTE_PGM_RSRC2:TIDIG_COMP_CNT: 1
	.section	.text._ZL36rocblas_hemvn_kernel_upper_block_sumILi64EldPKPddEviT1_lS3_lT2_lT0_lPT3_i,"axG",@progbits,_ZL36rocblas_hemvn_kernel_upper_block_sumILi64EldPKPddEviT1_lS3_lT2_lT0_lPT3_i,comdat
	.globl	_ZL36rocblas_hemvn_kernel_upper_block_sumILi64EldPKPddEviT1_lS3_lT2_lT0_lPT3_i ; -- Begin function _ZL36rocblas_hemvn_kernel_upper_block_sumILi64EldPKPddEviT1_lS3_lT2_lT0_lPT3_i
	.p2align	8
	.type	_ZL36rocblas_hemvn_kernel_upper_block_sumILi64EldPKPddEviT1_lS3_lT2_lT0_lPT3_i,@function
_ZL36rocblas_hemvn_kernel_upper_block_sumILi64EldPKPddEviT1_lS3_lT2_lT0_lPT3_i: ; @_ZL36rocblas_hemvn_kernel_upper_block_sumILi64EldPKPddEviT1_lS3_lT2_lT0_lPT3_i
; %bb.0:
	s_load_b32 s3, s[0:1], 0x50
	s_bfe_u32 s2, ttmp6, 0x40014
	s_lshr_b32 s4, ttmp7, 16
	s_add_co_i32 s2, s2, 1
	s_bfe_u32 s6, ttmp6, 0x40008
	s_mul_i32 s5, s4, s2
	s_getreg_b32 s2, hwreg(HW_REG_IB_STS2, 6, 4)
	s_add_co_i32 s6, s6, s5
	s_cmp_eq_u32 s2, 0
	s_mov_b32 s5, 0
	s_cselect_b32 s4, s4, s6
	s_wait_kmcnt 0x0
	s_cmp_ge_u32 s4, s3
	s_cbranch_scc1 .LBB165_25
; %bb.1:
	s_clause 0x1
	s_load_b64 s[6:7], s[0:1], 0x8
	s_load_b64 s[8:9], s[0:1], 0x18
	s_bfe_u32 s12, ttmp6, 0x4000c
	s_load_b128 s[24:27], s[0:1], 0x30
	s_add_co_i32 s12, s12, 1
	s_and_b32 s13, ttmp6, 15
	s_mul_i32 s12, ttmp9, s12
	s_delay_alu instid0(SALU_CYCLE_1)
	s_add_co_i32 s13, s13, s12
	s_clause 0x1
	s_load_b32 s12, s[0:1], 0x0
	s_load_b64 s[14:15], s[0:1], 0x48
	s_wait_kmcnt 0x0
	v_cmp_neq_f64_e64 s10, s[6:7], 0
	v_cmp_neq_f64_e64 s11, s[8:9], 1.0
	v_cmp_eq_f64_e64 s19, s[8:9], 0
	v_cmp_eq_f64_e64 s20, s[6:7], 0
	v_cmp_neq_f64_e64 s21, s[8:9], 0
	s_or_b32 s18, s10, s11
	s_cmp_eq_u32 s2, 0
	s_load_b64 s[10:11], s[0:1], 0x28
	s_cselect_b32 s23, ttmp9, s13
	s_ashr_i32 s13, s12, 31
	v_lshl_or_b32 v2, s23, 6, v0
	s_cmp_gt_i32 s23, -1
	s_wait_xcnt 0x0
	s_add_nc_u64 s[0:1], s[0:1], 0x58
	s_cselect_b32 s22, -1, 0
	s_add_co_i32 s23, s23, 1
	v_ashrrev_i32_e32 v3, 31, v2
	v_cmp_gt_i32_e64 s2, s12, v2
	s_lshl_b64 s[12:13], s[12:13], 3
	v_mul_u64_e32 v[0:1], s[26:27], v[2:3]
	v_lshl_add_u64 v[2:3], v[2:3], 3, s[14:15]
	s_lshl_b64 s[14:15], s[24:25], 3
	s_branch .LBB165_4
.LBB165_2:                              ;   in Loop: Header=BB165_4 Depth=1
	s_wait_xcnt 0x0
	s_or_b32 exec_lo, exec_lo, s25
.LBB165_3:                              ;   in Loop: Header=BB165_4 Depth=1
	s_add_co_i32 s4, s4, 0x10000
	s_delay_alu instid0(SALU_CYCLE_1)
	s_cmp_lt_u32 s4, s3
	s_cbranch_scc0 .LBB165_25
.LBB165_4:                              ; =>This Loop Header: Depth=1
                                        ;     Child Loop BB165_16 Depth 2
	s_and_not1_b32 vcc_lo, exec_lo, s18
	s_cbranch_vccnz .LBB165_3
; %bb.5:                                ;   in Loop: Header=BB165_4 Depth=1
	s_lshl_b64 s[16:17], s[4:5], 3
	s_and_not1_b32 vcc_lo, exec_lo, s20
	s_wait_kmcnt 0x0
	s_add_nc_u64 s[16:17], s[10:11], s[16:17]
	s_load_b64 s[16:17], s[16:17], 0x0
	s_wait_kmcnt 0x0
	s_wait_xcnt 0x0
	s_add_nc_u64 s[16:17], s[16:17], s[14:15]
	s_cbranch_vccnz .LBB165_9
; %bb.6:                                ;   in Loop: Header=BB165_4 Depth=1
	s_mov_b32 s25, 0
	s_mov_b32 s24, 0
                                        ; implicit-def: $vgpr4_vgpr5
	s_and_saveexec_b32 s26, s2
	s_cbranch_execz .LBB165_10
; %bb.7:                                ;   in Loop: Header=BB165_4 Depth=1
	s_and_not1_b32 vcc_lo, exec_lo, s21
	s_cbranch_vccnz .LBB165_11
; %bb.8:                                ;   in Loop: Header=BB165_4 Depth=1
	s_delay_alu instid0(VALU_DEP_2)
	v_lshl_add_u64 v[4:5], v[0:1], 3, s[16:17]
	flat_load_b64 v[4:5], v[4:5]
	s_wait_loadcnt_dscnt 0x0
	s_wait_xcnt 0x0
	v_mul_f64_e32 v[4:5], s[8:9], v[4:5]
	s_branch .LBB165_12
.LBB165_9:                              ;   in Loop: Header=BB165_4 Depth=1
	s_mov_b32 s24, 0
                                        ; implicit-def: $vgpr4_vgpr5
	s_cbranch_execnz .LBB165_13
	s_branch .LBB165_23
.LBB165_10:                             ;   in Loop: Header=BB165_4 Depth=1
	s_or_b32 exec_lo, exec_lo, s26
	s_delay_alu instid0(SALU_CYCLE_1)
	s_and_b32 vcc_lo, exec_lo, s25
	s_cbranch_vccnz .LBB165_13
	s_branch .LBB165_23
.LBB165_11:                             ;   in Loop: Header=BB165_4 Depth=1
	v_mov_b64_e32 v[4:5], 0
.LBB165_12:                             ;   in Loop: Header=BB165_4 Depth=1
	s_mov_b32 s24, exec_lo
	s_or_b32 exec_lo, exec_lo, s26
	s_delay_alu instid0(SALU_CYCLE_1)
	s_and_b32 vcc_lo, exec_lo, s25
	s_cbranch_vccz .LBB165_23
.LBB165_13:                             ;   in Loop: Header=BB165_4 Depth=1
                                        ; implicit-def: $vgpr4_vgpr5
	s_and_saveexec_b32 s25, s2
	s_cbranch_execz .LBB165_22
; %bb.14:                               ;   in Loop: Header=BB165_4 Depth=1
	v_mov_b64_e32 v[6:7], 0
	s_and_not1_b32 vcc_lo, exec_lo, s22
	s_cbranch_vccnz .LBB165_17
; %bb.15:                               ;   in Loop: Header=BB165_4 Depth=1
	s_load_b32 s26, s[0:1], 0x0
	s_mov_b32 s27, s5
	v_mov_b64_e32 v[6:7], 0
	s_wait_kmcnt 0x0
	s_mul_u64 s[26:27], s[12:13], s[26:27]
	s_delay_alu instid0(SALU_CYCLE_1) | instskip(SKIP_1) | instid1(VALU_DEP_1)
	v_mad_nc_u64_u32 v[4:5], s26, s4, v[2:3]
	s_mov_b32 s26, s23
	v_mad_u32 v5, s27, s4, v5
.LBB165_16:                             ;   Parent Loop BB165_4 Depth=1
                                        ; =>  This Inner Loop Header: Depth=2
	global_load_b64 v[8:9], v[4:5], off
	s_wait_xcnt 0x0
	v_add_nc_u64_e32 v[4:5], s[12:13], v[4:5]
	s_add_co_i32 s26, s26, -1
	s_delay_alu instid0(SALU_CYCLE_1)
	s_cmp_eq_u32 s26, 0
	s_wait_loadcnt 0x0
	v_add_f64_e32 v[6:7], v[6:7], v[8:9]
	s_cbranch_scc0 .LBB165_16
.LBB165_17:                             ;   in Loop: Header=BB165_4 Depth=1
	s_and_b32 vcc_lo, exec_lo, s19
	s_mov_b32 s26, -1
                                        ; implicit-def: $vgpr4_vgpr5
	s_cbranch_vccz .LBB165_19
; %bb.18:                               ;   in Loop: Header=BB165_4 Depth=1
	s_delay_alu instid0(VALU_DEP_1)
	v_mul_f64_e32 v[4:5], s[6:7], v[6:7]
	s_mov_b32 s26, 0
.LBB165_19:                             ;   in Loop: Header=BB165_4 Depth=1
	s_delay_alu instid0(SALU_CYCLE_1)
	s_and_not1_b32 vcc_lo, exec_lo, s26
	s_cbranch_vccnz .LBB165_21
; %bb.20:                               ;   in Loop: Header=BB165_4 Depth=1
	s_delay_alu instid0(VALU_DEP_3) | instskip(SKIP_4) | instid1(VALU_DEP_1)
	v_lshl_add_u64 v[4:5], v[0:1], 3, s[16:17]
	flat_load_b64 v[4:5], v[4:5]
	s_wait_loadcnt_dscnt 0x0
	s_wait_xcnt 0x0
	v_mul_f64_e32 v[4:5], s[8:9], v[4:5]
	v_fmac_f64_e32 v[4:5], s[6:7], v[6:7]
.LBB165_21:                             ;   in Loop: Header=BB165_4 Depth=1
	s_or_b32 s24, s24, exec_lo
.LBB165_22:                             ;   in Loop: Header=BB165_4 Depth=1
	s_or_b32 exec_lo, exec_lo, s25
.LBB165_23:                             ;   in Loop: Header=BB165_4 Depth=1
	s_and_saveexec_b32 s25, s24
	s_cbranch_execz .LBB165_2
; %bb.24:                               ;   in Loop: Header=BB165_4 Depth=1
	s_delay_alu instid0(VALU_DEP_2)
	v_lshl_add_u64 v[6:7], v[0:1], 3, s[16:17]
	flat_store_b64 v[6:7], v[4:5]
	s_branch .LBB165_2
.LBB165_25:
	s_endpgm
	.section	.rodata,"a",@progbits
	.p2align	6, 0x0
	.amdhsa_kernel _ZL36rocblas_hemvn_kernel_upper_block_sumILi64EldPKPddEviT1_lS3_lT2_lT0_lPT3_i
		.amdhsa_group_segment_fixed_size 0
		.amdhsa_private_segment_fixed_size 0
		.amdhsa_kernarg_size 344
		.amdhsa_user_sgpr_count 2
		.amdhsa_user_sgpr_dispatch_ptr 0
		.amdhsa_user_sgpr_queue_ptr 0
		.amdhsa_user_sgpr_kernarg_segment_ptr 1
		.amdhsa_user_sgpr_dispatch_id 0
		.amdhsa_user_sgpr_kernarg_preload_length 0
		.amdhsa_user_sgpr_kernarg_preload_offset 0
		.amdhsa_user_sgpr_private_segment_size 0
		.amdhsa_wavefront_size32 1
		.amdhsa_uses_dynamic_stack 0
		.amdhsa_enable_private_segment 0
		.amdhsa_system_sgpr_workgroup_id_x 1
		.amdhsa_system_sgpr_workgroup_id_y 0
		.amdhsa_system_sgpr_workgroup_id_z 1
		.amdhsa_system_sgpr_workgroup_info 0
		.amdhsa_system_vgpr_workitem_id 0
		.amdhsa_next_free_vgpr 10
		.amdhsa_next_free_sgpr 28
		.amdhsa_named_barrier_count 0
		.amdhsa_reserve_vcc 1
		.amdhsa_float_round_mode_32 0
		.amdhsa_float_round_mode_16_64 0
		.amdhsa_float_denorm_mode_32 3
		.amdhsa_float_denorm_mode_16_64 3
		.amdhsa_fp16_overflow 0
		.amdhsa_memory_ordered 1
		.amdhsa_forward_progress 1
		.amdhsa_inst_pref_size 6
		.amdhsa_round_robin_scheduling 0
		.amdhsa_exception_fp_ieee_invalid_op 0
		.amdhsa_exception_fp_denorm_src 0
		.amdhsa_exception_fp_ieee_div_zero 0
		.amdhsa_exception_fp_ieee_overflow 0
		.amdhsa_exception_fp_ieee_underflow 0
		.amdhsa_exception_fp_ieee_inexact 0
		.amdhsa_exception_int_div_zero 0
	.end_amdhsa_kernel
	.section	.text._ZL36rocblas_hemvn_kernel_upper_block_sumILi64EldPKPddEviT1_lS3_lT2_lT0_lPT3_i,"axG",@progbits,_ZL36rocblas_hemvn_kernel_upper_block_sumILi64EldPKPddEviT1_lS3_lT2_lT0_lPT3_i,comdat
.Lfunc_end165:
	.size	_ZL36rocblas_hemvn_kernel_upper_block_sumILi64EldPKPddEviT1_lS3_lT2_lT0_lPT3_i, .Lfunc_end165-_ZL36rocblas_hemvn_kernel_upper_block_sumILi64EldPKPddEviT1_lS3_lT2_lT0_lPT3_i
                                        ; -- End function
	.set _ZL36rocblas_hemvn_kernel_upper_block_sumILi64EldPKPddEviT1_lS3_lT2_lT0_lPT3_i.num_vgpr, 10
	.set _ZL36rocblas_hemvn_kernel_upper_block_sumILi64EldPKPddEviT1_lS3_lT2_lT0_lPT3_i.num_agpr, 0
	.set _ZL36rocblas_hemvn_kernel_upper_block_sumILi64EldPKPddEviT1_lS3_lT2_lT0_lPT3_i.numbered_sgpr, 28
	.set _ZL36rocblas_hemvn_kernel_upper_block_sumILi64EldPKPddEviT1_lS3_lT2_lT0_lPT3_i.num_named_barrier, 0
	.set _ZL36rocblas_hemvn_kernel_upper_block_sumILi64EldPKPddEviT1_lS3_lT2_lT0_lPT3_i.private_seg_size, 0
	.set _ZL36rocblas_hemvn_kernel_upper_block_sumILi64EldPKPddEviT1_lS3_lT2_lT0_lPT3_i.uses_vcc, 1
	.set _ZL36rocblas_hemvn_kernel_upper_block_sumILi64EldPKPddEviT1_lS3_lT2_lT0_lPT3_i.uses_flat_scratch, 0
	.set _ZL36rocblas_hemvn_kernel_upper_block_sumILi64EldPKPddEviT1_lS3_lT2_lT0_lPT3_i.has_dyn_sized_stack, 0
	.set _ZL36rocblas_hemvn_kernel_upper_block_sumILi64EldPKPddEviT1_lS3_lT2_lT0_lPT3_i.has_recursion, 0
	.set _ZL36rocblas_hemvn_kernel_upper_block_sumILi64EldPKPddEviT1_lS3_lT2_lT0_lPT3_i.has_indirect_call, 0
	.section	.AMDGPU.csdata,"",@progbits
; Kernel info:
; codeLenInByte = 712
; TotalNumSgprs: 30
; NumVgprs: 10
; ScratchSize: 0
; MemoryBound: 0
; FloatMode: 240
; IeeeMode: 1
; LDSByteSize: 0 bytes/workgroup (compile time only)
; SGPRBlocks: 0
; VGPRBlocks: 0
; NumSGPRsForWavesPerEU: 30
; NumVGPRsForWavesPerEU: 10
; NamedBarCnt: 0
; Occupancy: 16
; WaveLimiterHint : 1
; COMPUTE_PGM_RSRC2:SCRATCH_EN: 0
; COMPUTE_PGM_RSRC2:USER_SGPR: 2
; COMPUTE_PGM_RSRC2:TRAP_HANDLER: 0
; COMPUTE_PGM_RSRC2:TGID_X_EN: 1
; COMPUTE_PGM_RSRC2:TGID_Y_EN: 0
; COMPUTE_PGM_RSRC2:TGID_Z_EN: 1
; COMPUTE_PGM_RSRC2:TIDIG_COMP_CNT: 0
	.section	.text._ZL26rocblas_hemvn_kernel_upperILb0ELi64ELi4ELi33ELi32ELi16EidPKPKdPdEviT6_lT7_lT5_lS6_lS7_lS5_lT8_i,"axG",@progbits,_ZL26rocblas_hemvn_kernel_upperILb0ELi64ELi4ELi33ELi32ELi16EidPKPKdPdEviT6_lT7_lT5_lS6_lS7_lS5_lT8_i,comdat
	.globl	_ZL26rocblas_hemvn_kernel_upperILb0ELi64ELi4ELi33ELi32ELi16EidPKPKdPdEviT6_lT7_lT5_lS6_lS7_lS5_lT8_i ; -- Begin function _ZL26rocblas_hemvn_kernel_upperILb0ELi64ELi4ELi33ELi32ELi16EidPKPKdPdEviT6_lT7_lT5_lS6_lS7_lS5_lT8_i
	.p2align	8
	.type	_ZL26rocblas_hemvn_kernel_upperILb0ELi64ELi4ELi33ELi32ELi16EidPKPKdPdEviT6_lT7_lT5_lS6_lS7_lS5_lT8_i,@function
_ZL26rocblas_hemvn_kernel_upperILb0ELi64ELi4ELi33ELi32ELi16EidPKPKdPdEviT6_lT7_lT5_lS6_lS7_lS5_lT8_i: ; @_ZL26rocblas_hemvn_kernel_upperILb0ELi64ELi4ELi33ELi32ELi16EidPKPKdPdEviT6_lT7_lT5_lS6_lS7_lS5_lT8_i
; %bb.0:
	s_clause 0x1
	s_load_b64 s[2:3], s[0:1], 0x84
	s_load_b32 s33, s[0:1], 0x70
	s_bfe_u32 s4, ttmp6, 0x40014
	s_lshr_b32 s5, ttmp7, 16
	s_add_co_i32 s4, s4, 1
	s_bfe_u32 s6, ttmp6, 0x40008
	s_mul_i32 s4, s5, s4
	s_getreg_b32 s8, hwreg(HW_REG_IB_STS2, 6, 4)
	s_add_co_i32 s6, s6, s4
	s_mov_b32 s19, 0
	s_wait_kmcnt 0x0
	s_lshr_b32 s4, s2, 16
	s_and_b32 s2, s2, 0xffff
	s_and_b32 s3, s3, 0xffff
	s_mul_i32 s2, s4, s2
	s_cmp_eq_u32 s8, 0
	s_mul_i32 s2, s2, s3
	s_cselect_b32 s18, s5, s6
	s_cmp_lg_u32 s2, 0x100
	s_cselect_b32 s2, -1, 0
	s_cmp_ge_u32 s18, s33
	s_cselect_b32 s3, -1, 0
	s_delay_alu instid0(SALU_CYCLE_1) | instskip(NEXT) | instid1(SALU_CYCLE_1)
	s_or_b32 s2, s2, s3
	s_and_b32 vcc_lo, exec_lo, s2
	s_cbranch_vccnz .LBB166_131
; %bb.1:
	s_clause 0x7
	s_load_b64 s[2:3], s[0:1], 0x8
	s_load_b64 s[10:11], s[0:1], 0x58
	s_load_b32 s4, s[0:1], 0x0
	s_load_b128 s[20:23], s[0:1], 0x18
	s_load_b32 s72, s[0:1], 0x28
	s_load_b128 s[24:27], s[0:1], 0x38
	s_load_b32 s56, s[0:1], 0x48
	s_load_b64 s[6:7], s[0:1], 0x68
	v_and_b32_e32 v172, 0x3ff, v0
	v_bfe_u32 v1, v0, 10, 10
	v_dual_mov_b32 v57, 0 :: v_dual_bitop2_b32 v56, 31, v0 bitop3:0x40
	s_add_nc_u64 s[12:13], s[0:1], 0x78
	s_wait_xcnt 0x0
	s_bfe_u32 s0, ttmp6, 0x4000c
	v_lshl_add_u32 v4, v1, 6, v172
	s_add_co_i32 s0, s0, 1
	s_and_b32 s1, ttmp6, 15
	s_load_b32 s28, s[12:13], 0x0
	s_mul_i32 s5, ttmp9, s0
	v_lshrrev_b32_e32 v3, 5, v4
	s_add_co_i32 s1, s1, s5
	s_mov_b32 s29, s19
	v_and_b32_e32 v10, 0x7fe0, v4
	v_cmp_eq_u32_e64 s0, 0, v1
	s_wait_kmcnt 0x0
	v_cmp_neq_f64_e64 s9, s[2:3], 0
	v_cmp_neq_f64_e64 s10, s[10:11], 1.0
	v_mad_u32 v62, s72, v3, v56
	s_ashr_i32 s5, s4, 31
	s_ashr_i32 s73, s72, 31
	s_cmp_eq_u32 s8, 0
	v_cmp_eq_f64_e64 s94, s[2:3], 0
	s_cselect_b32 s30, ttmp9, s1
	s_lshr_b32 s1, s5, 26
	s_lshl_b32 s84, s30, 6
	s_add_co_i32 s1, s4, s1
	v_lshl_add_u32 v182, v1, 5, 0x2180
	s_and_not1_b32 s1, s1, 63
	v_dual_ashrrev_i32 v63, 31, v62 :: v_dual_add_nc_u32 v60, s84, v172
	v_add_nc_u32_e32 v6, 24, v3
	s_add_co_i32 s2, s28, -1
	s_mul_u64 s[34:35], s[28:29], s[4:5]
	s_sub_co_i32 s29, s4, s1
	v_mul_lo_u32 v64, s56, v60
	v_dual_lshlrev_b32 v8, 3, v56 :: v_dual_add_nc_u32 v5, 16, v3
	v_dual_lshlrev_b32 v173, 3, v172 :: v_dual_add_nc_u32 v2, 8, v3
	v_lshlrev_b32_e32 v15, 3, v3
	s_delay_alu instid0(VALU_DEP_3) | instskip(SKIP_4) | instid1(VALU_DEP_4)
	v_lshl_or_b32 v175, v56, 8, v8
	v_lshlrev_b32_e32 v7, 2, v3
	v_mul_u32_u24_e32 v9, 0x108, v3
	v_mul_u32_u24_e32 v12, 0x420, v3
	v_cmp_eq_u32_e64 s16, 1, v3
	v_dual_ashrrev_i32 v65, 31, v64 :: v_dual_bitop2_b32 v13, 2, v7 bitop3:0x54
	v_lshlrev_b32_e32 v179, 2, v1
	s_or_b32 s95, s9, s10
	s_cmp_eq_u32 s30, s2
	v_dual_add_nc_u32 v176, v175, v10 :: v_dual_bitop2_b32 v11, 1, v7 bitop3:0x54
	s_cselect_b32 s38, s29, 0
	v_mul_i32_i24_e32 v180, 0xffffffe8, v3
	s_cmp_lg_u32 s38, 0
	v_cmp_gt_i32_e32 vcc_lo, s38, v172
	s_cselect_b32 s96, -1, 0
	s_cmp_eq_u32 s38, 0
	v_cmp_gt_i32_e64 s2, s38, v3
	s_cselect_b32 s3, -1, 0
	s_ashr_i32 s31, s30, 31
	s_sub_co_i32 s15, s38, 32
	s_mul_u64 s[4:5], s[4:5], s[30:31]
	s_or_b32 s31, s3, vcc_lo
	s_lshl_b64 s[4:5], s[4:5], 3
	v_cmp_gt_i32_e64 s3, s38, v2
	v_cmp_gt_i32_e64 s13, s15, v2
	v_mad_u32 v2, s72, v179, v172
	s_add_nc_u64 s[40:41], s[6:7], s[4:5]
	v_cmp_gt_u32_e64 s6, v7, v56
	v_cmp_ge_u32_e64 s7, v7, v56
	v_or_b32_e32 v7, 3, v7
	v_cmp_gt_i32_e64 s4, s38, v5
	v_cmp_gt_i32_e64 s5, s38, v6
	;; [unrolled: 1-line block ×5, first 2 shown]
	v_lshrrev_b32_e32 v5, 4, v4
	v_cmp_gt_u32_e64 s9, v7, v56
	v_or_b32_e32 v7, 32, v56
	v_dual_ashrrev_i32 v3, 31, v2 :: v_dual_bitop2_b32 v6, 15, v0 bitop3:0x40
	v_and_b32_e32 v0, 48, v0
	s_lshl_b32 s48, s72, 5
	s_delay_alu instid0(VALU_DEP_3)
	v_cmp_gt_i32_e64 s11, s38, v7
	v_lshlrev_b32_e32 v7, 5, v5
	s_ashr_i32 s49, s48, 31
	v_dual_lshlrev_b32 v0, 3, v0 :: v_dual_bitop2_b32 v187, 1, v179 bitop3:0x54
	v_mad_u32_u24 v183, 0x860, v1, v173
	v_mad_u32_u24 v199, 0x218, v1, v173
	s_mul_i32 s36, s72, s84
	s_delay_alu instid0(VALU_DEP_3)
	v_mad_u32_u24 v185, 0x218, v6, v0
	v_add_nc_u64_e32 v[0:1], s[48:49], v[2:3]
	s_lshl_b32 s42, s72, 3
	s_lshl_b32 s44, s72, 4
	s_mul_i32 s46, s72, 24
	s_mul_i32 s50, s56, s84
	s_add_co_i32 s57, s30, 1
	s_ashr_i32 s85, s84, 31
	s_ashr_i32 s37, s36, 31
	;; [unrolled: 1-line block ×7, first 2 shown]
	v_lshlrev_b64_e32 v[0:1], 3, v[0:1]
	s_cmp_lt_u32 s57, s28
	s_mul_u64 s[70:71], s[72:73], 24
	s_cselect_b32 s97, -1, 0
	s_lshl_b64 s[80:81], s[44:45], 4
	v_add_nc_u32_e32 v177, 0x2380, v10
	s_add_nc_u64 s[82:83], s[70:71], s[80:81]
	v_or_b32_e32 v10, 0x78, v173
	v_add_nc_u64_e32 v[74:75], s[82:83], v[0:1]
	s_add_nc_u64 s[82:83], s[72:73], s[44:45]
	s_add_nc_u64 s[62:63], s[48:49], s[44:45]
	v_mad_nc_u64_u32 v[76:77], s82, 24, v[0:1]
	v_mad_u32_u24 v184, 0x218, v6, v7
	v_mad_u32_u24 v186, 0x218, v6, v10
	v_lshlrev_b64_e32 v[6:7], 3, v[2:3]
	v_add_nc_u64_e32 v[2:3], s[62:63], v[2:3]
	v_mad_nc_i64_i32 v[78:79], s44, 24, v[0:1]
	s_lshl_b32 s60, s72, 1
	s_lshl_b32 s99, s56, 6
	s_ashr_i32 s61, s60, 31
	s_mul_i32 s56, s56, s57
	s_lshl_b64 s[86:87], s[72:73], 3
	s_lshl_b64 s[74:75], s[72:73], 4
	;; [unrolled: 1-line block ×3, first 2 shown]
	v_cmp_gt_u32_e64 s8, v13, v56
	v_cmp_gt_u32_e64 s10, 32, v4
	v_mul_i32_i24_e32 v13, 0xffffffe8, v5
	v_cmp_gt_u32_e64 s17, 64, v4
	v_lshlrev_b64_e32 v[4:5], 3, v[62:63]
	s_mul_i32 s64, s72, 3
	s_lshl_b32 s101, s56, 6
	s_add_nc_u64 s[56:57], s[74:75], s[76:77]
	s_lshl_b64 s[88:89], s[60:61], 3
	s_add_nc_u64 s[60:61], s[86:87], s[76:77]
	s_lshl_b64 s[78:79], s[44:45], 3
	s_ashr_i32 s65, s64, 31
	v_add_nc_u64_e32 v[70:71], s[70:71], v[0:1]
	s_add_nc_u64 s[66:67], s[56:57], s[78:79]
	v_lshl_add_u64 v[72:73], v[2:3], 3, s[70:71]
	s_add_nc_u64 s[68:69], s[60:61], s[78:79]
	s_add_nc_u64 s[70:71], s[76:77], s[78:79]
	s_mul_u64 s[78:79], s[44:45], 24
	v_mad_u32 v77, s83, 24, v77
	v_mul_u32_u24_e32 v11, 0x108, v11
	v_mul_u32_u24_e32 v14, 33, v56
	s_lshl_b64 s[90:91], s[64:65], 3
	s_add_nc_u64 s[92:93], s[78:79], s[74:75]
	v_sub_nc_u64_e32 v[58:59], 0, v[56:57]
	v_sub_nc_u64_e32 v[66:67], 0, v[4:5]
	;; [unrolled: 1-line block ×3, first 2 shown]
	v_add_nc_u64_e32 v[80:81], s[92:93], v[0:1]
	v_add_nc_u64_e32 v[82:83], s[86:87], v[78:79]
	;; [unrolled: 1-line block ×4, first 2 shown]
	v_add_nc_u32_e32 v174, 0x2380, v173
	v_cmp_gt_i32_e64 s1, s38, v56
	v_lshl_add_u32 v178, v14, 3, v15
	v_add_nc_u32_e32 v181, 0x2180, v173
	v_dual_add_nc_u32 v190, 16, v179 :: v_dual_bitop2_b32 v188, 2, v179 bitop3:0x54
	v_dual_add_nc_u32 v191, 17, v179 :: v_dual_bitop2_b32 v189, 3, v179 bitop3:0x54
	v_dual_add_nc_u32 v192, 18, v179 :: v_dual_add_nc_u32 v193, 19, v179
	v_dual_add_nc_u32 v194, 32, v179 :: v_dual_add_nc_u32 v195, 33, v179
	v_dual_add_nc_u32 v196, 34, v179 :: v_dual_add_nc_u32 v197, 35, v179
	v_dual_add_nc_u32 v198, 48, v179 :: v_dual_ashrrev_i32 v61, 31, v60
	v_dual_add_nc_u32 v200, v175, v15 :: v_dual_add_nc_u32 v202, v8, v9
	v_add_nc_u32_e32 v201, 0x2380, v15
	v_dual_add_nc_u32 v203, v8, v12 :: v_dual_add_nc_u32 v204, v8, v11
	v_dual_add_nc_u32 v205, v184, v13 :: v_dual_lshlrev_b32 v56, 3, v56
	v_dual_add_nc_u32 v206, 49, v179 :: v_dual_add_nc_u32 v207, 50, v179
	v_dual_add_nc_u32 v208, 51, v179 :: v_dual_add_nc_u32 v209, 64, v60
	s_add_nc_u64 s[62:63], s[76:77], s[88:89]
	s_add_nc_u64 s[64:65], s[76:77], s[90:91]
	;; [unrolled: 1-line block ×3, first 2 shown]
	s_sub_nc_u64 s[50:51], 0, s[50:51]
	s_add_co_i32 s98, s28, -2
	s_and_b32 s100, s0, s31
	s_sub_nc_u64 s[52:53], 0, s[38:39]
	s_lshl_b64 s[54:55], s[72:73], 6
	s_lshl_b64 s[58:59], s[44:45], 5
	s_add_nc_u64 s[72:73], s[70:71], s[88:89]
	s_add_nc_u64 s[74:75], s[70:71], s[90:91]
	s_add_nc_u64 s[78:79], s[56:57], s[80:81]
	s_add_nc_u64 s[80:81], s[76:77], s[86:87]
	s_add_nc_u64 s[82:83], s[76:77], s[88:89]
	s_lshl_b64 s[84:85], s[84:85], 3
	s_mov_b64 s[86:87], 0xfffffffffffffef8
	s_add_nc_u64 s[88:89], s[76:77], s[90:91]
	s_lshl_b64 s[26:27], s[26:27], 3
	s_lshl_b64 s[22:23], s[22:23], 3
	s_branch .LBB166_4
.LBB166_2:                              ;   in Loop: Header=BB166_4 Depth=1
	s_wait_xcnt 0x0
	s_or_b32 exec_lo, exec_lo, s92
.LBB166_3:                              ;   in Loop: Header=BB166_4 Depth=1
	s_add_co_i32 s18, s18, 0x10000
	s_delay_alu instid0(SALU_CYCLE_1)
	s_cmp_lt_u32 s18, s33
	s_cbranch_scc0 .LBB166_131
.LBB166_4:                              ; =>This Loop Header: Depth=1
                                        ;     Child Loop BB166_71 Depth 2
	s_and_not1_b32 vcc_lo, exec_lo, s95
	s_cbranch_vccnz .LBB166_3
; %bb.5:                                ;   in Loop: Header=BB166_4 Depth=1
	s_and_b32 vcc_lo, exec_lo, s94
	s_cbranch_vccz .LBB166_7
; %bb.6:                                ;   in Loop: Header=BB166_4 Depth=1
	s_cbranch_execnz .LBB166_3
	s_branch .LBB166_8
.LBB166_7:                              ;   in Loop: Header=BB166_4 Depth=1
.LBB166_8:                              ;   in Loop: Header=BB166_4 Depth=1
	v_mov_b32_e32 v0, s18
	s_clause 0x1
	global_load_b64 v[2:3], v0, s[24:25] scale_offset
	global_load_b64 v[0:1], v0, s[20:21] scale_offset
	s_wait_loadcnt 0x1
	v_add_nc_u64_e32 v[2:3], s[26:27], v[2:3]
	s_delay_alu instid0(VALU_DEP_1)
	v_lshl_add_u64 v[12:13], v[64:65], 3, v[2:3]
	s_wait_xcnt 0x0
	s_and_saveexec_b32 s90, s0
	s_cbranch_execz .LBB166_12
; %bb.9:                                ;   in Loop: Header=BB166_4 Depth=1
	v_mov_b64_e32 v[2:3], 0
	s_and_saveexec_b32 s91, s31
	s_cbranch_execz .LBB166_11
; %bb.10:                               ;   in Loop: Header=BB166_4 Depth=1
	flat_load_b64 v[2:3], v[12:13]
.LBB166_11:                             ;   in Loop: Header=BB166_4 Depth=1
	s_wait_xcnt 0x0
	s_or_b32 exec_lo, exec_lo, s91
	s_wait_loadcnt_dscnt 0x0
	ds_store_b64 v174, v[2:3]
.LBB166_12:                             ;   in Loop: Header=BB166_4 Depth=1
	s_or_b32 exec_lo, exec_lo, s90
	s_wait_loadcnt 0x0
	v_add_nc_u64_e32 v[0:1], s[22:23], v[0:1]
	s_and_b32 vcc_lo, exec_lo, s96
	s_mov_b32 s90, -1
	s_delay_alu instid0(VALU_DEP_1) | instskip(NEXT) | instid1(VALU_DEP_1)
	v_add_nc_u64_e32 v[0:1], s[84:85], v[0:1]
	v_lshl_add_u64 v[0:1], v[62:63], 3, v[0:1]
	s_delay_alu instid0(VALU_DEP_1)
	v_lshl_add_u64 v[2:3], s[36:37], 3, v[0:1]
                                        ; implicit-def: $vgpr0_vgpr1
	s_cbranch_vccz .LBB166_22
; %bb.13:                               ;   in Loop: Header=BB166_4 Depth=1
	s_delay_alu instid0(VALU_DEP_1) | instskip(SKIP_2) | instid1(VALU_DEP_3)
	v_lshl_add_u64 v[0:1], v[58:59], 3, v[2:3]
	v_mov_b64_e32 v[6:7], 0
	v_mov_b64_e32 v[4:5], 0
	v_lshl_add_u64 v[0:1], s[38:39], 3, v[0:1]
	s_delay_alu instid0(VALU_DEP_1) | instskip(NEXT) | instid1(VALU_DEP_1)
	v_add_nc_u64_e32 v[0:1], -8, v[0:1]
	v_dual_cndmask_b32 v1, v1, v3, s1 :: v_dual_cndmask_b32 v0, v0, v2, s1
	s_and_saveexec_b32 s90, s2
	s_cbranch_execz .LBB166_15
; %bb.14:                               ;   in Loop: Header=BB166_4 Depth=1
	flat_load_b64 v[4:5], v[0:1]
.LBB166_15:                             ;   in Loop: Header=BB166_4 Depth=1
	s_wait_xcnt 0x0
	s_or_b32 exec_lo, exec_lo, s90
	s_wait_loadcnt_dscnt 0x0
	ds_store_b64 v202, v[4:5]
	s_and_saveexec_b32 s90, s3
	s_cbranch_execz .LBB166_17
; %bb.16:                               ;   in Loop: Header=BB166_4 Depth=1
	v_lshl_add_u64 v[4:5], s[42:43], 3, v[0:1]
	flat_load_b64 v[6:7], v[4:5]
.LBB166_17:                             ;   in Loop: Header=BB166_4 Depth=1
	s_wait_xcnt 0x0
	s_or_b32 exec_lo, exec_lo, s90
	v_mov_b64_e32 v[4:5], 0
	v_mov_b64_e32 v[8:9], 0
	s_wait_loadcnt_dscnt 0x0
	ds_store_b64 v202, v[6:7] offset:2112
	s_and_saveexec_b32 s90, s4
	s_cbranch_execz .LBB166_19
; %bb.18:                               ;   in Loop: Header=BB166_4 Depth=1
	v_lshl_add_u64 v[6:7], s[44:45], 3, v[0:1]
	flat_load_b64 v[8:9], v[6:7]
.LBB166_19:                             ;   in Loop: Header=BB166_4 Depth=1
	s_wait_xcnt 0x0
	s_or_b32 exec_lo, exec_lo, s90
	s_wait_loadcnt_dscnt 0x0
	ds_store_b64 v202, v[8:9] offset:4224
	s_and_saveexec_b32 s90, s5
	s_cbranch_execz .LBB166_21
; %bb.20:                               ;   in Loop: Header=BB166_4 Depth=1
	v_lshl_add_u64 v[4:5], s[46:47], 3, v[0:1]
	flat_load_b64 v[4:5], v[4:5]
.LBB166_21:                             ;   in Loop: Header=BB166_4 Depth=1
	s_wait_xcnt 0x0
	s_or_b32 exec_lo, exec_lo, s90
	v_add_nc_u64_e32 v[0:1], v[0:1], v[56:57]
	s_mov_b32 s90, 0
	s_wait_loadcnt_dscnt 0x0
	ds_store_b64 v202, v[4:5] offset:6336
	v_lshl_add_u64 v[0:1], s[52:53], 3, v[0:1]
	s_delay_alu instid0(VALU_DEP_1) | instskip(NEXT) | instid1(VALU_DEP_1)
	v_add_nc_u64_e32 v[0:1], 8, v[0:1]
	v_dual_cndmask_b32 v1, v1, v3, s1 :: v_dual_cndmask_b32 v0, v0, v2, s1
.LBB166_22:                             ;   in Loop: Header=BB166_4 Depth=1
	s_and_b32 vcc_lo, exec_lo, s90
	s_cbranch_vccz .LBB166_24
; %bb.23:                               ;   in Loop: Header=BB166_4 Depth=1
	s_delay_alu instid0(VALU_DEP_1) | instskip(NEXT) | instid1(VALU_DEP_1)
	v_lshl_add_u64 v[0:1], s[42:43], 3, v[2:3]
	v_add_nc_u64_e32 v[4:5], s[54:55], v[0:1]
	s_delay_alu instid0(VALU_DEP_1)
	v_add_nc_u64_e32 v[6:7], s[54:55], v[4:5]
	s_clause 0x3
	flat_load_b64 v[8:9], v[2:3]
	flat_load_b64 v[10:11], v[0:1]
	;; [unrolled: 1-line block ×4, first 2 shown]
	s_wait_xcnt 0x2
	v_mov_b64_e32 v[0:1], v[2:3]
	s_wait_loadcnt_dscnt 0x303
	ds_store_b64 v202, v[8:9]
	s_wait_loadcnt_dscnt 0x203
	ds_store_b64 v202, v[10:11] offset:2112
	s_wait_loadcnt_dscnt 0x103
	ds_store_b64 v202, v[4:5] offset:4224
	;; [unrolled: 2-line block ×3, first 2 shown]
.LBB166_24:                             ;   in Loop: Header=BB166_4 Depth=1
	s_wait_dscnt 0x0
	s_barrier_signal -1
	s_barrier_wait -1
	s_wait_xcnt 0x0
	s_and_saveexec_b32 s90, s6
	s_cbranch_execnz .LBB166_125
; %bb.25:                               ;   in Loop: Header=BB166_4 Depth=1
	s_or_b32 exec_lo, exec_lo, s90
	s_and_saveexec_b32 s90, s7
	s_cbranch_execnz .LBB166_126
.LBB166_26:                             ;   in Loop: Header=BB166_4 Depth=1
	s_or_b32 exec_lo, exec_lo, s90
	s_and_saveexec_b32 s90, s8
	s_cbranch_execnz .LBB166_127
.LBB166_27:                             ;   in Loop: Header=BB166_4 Depth=1
	s_or_b32 exec_lo, exec_lo, s90
	s_and_saveexec_b32 s90, s9
	s_cbranch_execz .LBB166_29
.LBB166_28:                             ;   in Loop: Header=BB166_4 Depth=1
	ds_load_b64 v[2:3], v204 offset:528
	s_wait_dscnt 0x0
	ds_store_b64 v176, v[2:3] offset:24
.LBB166_29:                             ;   in Loop: Header=BB166_4 Depth=1
	s_or_b32 exec_lo, exec_lo, s90
	s_wait_dscnt 0x0
	s_barrier_signal -1
	s_barrier_wait -1
	ds_load_b64 v[10:11], v203
	ds_load_b128 v[2:5], v177
	ds_load_b128 v[6:9], v177 offset:16
	ds_load_b64 v[18:19], v204 offset:528
	ds_load_2addr_b64 v[14:17], v204 offset1:33
	v_mov_b64_e32 v[88:89], 0
	s_wait_dscnt 0x0
	s_barrier_signal -1
	s_barrier_wait -1
	v_fma_f64 v[2:3], v[10:11], v[2:3], 0
	s_delay_alu instid0(VALU_DEP_1) | instskip(NEXT) | instid1(VALU_DEP_1)
	v_fmac_f64_e32 v[2:3], v[14:15], v[4:5]
	v_fmac_f64_e32 v[2:3], v[16:17], v[6:7]
	s_delay_alu instid0(VALU_DEP_1)
	v_fmac_f64_e32 v[2:3], v[18:19], v[8:9]
	ds_store_b64 v178, v[2:3]
	s_wait_dscnt 0x0
	s_barrier_signal -1
	s_barrier_wait -1
	s_and_saveexec_b32 s90, s10
	s_cbranch_execz .LBB166_31
; %bb.30:                               ;   in Loop: Header=BB166_4 Depth=1
	ds_load_2addr_b64 v[2:5], v175 offset1:1
	ds_load_2addr_b64 v[6:9], v175 offset0:2 offset1:3
	s_wait_dscnt 0x1
	v_add_f64_e32 v[2:3], v[2:3], v[4:5]
	s_wait_dscnt 0x0
	s_delay_alu instid0(VALU_DEP_1) | instskip(NEXT) | instid1(VALU_DEP_1)
	v_add_f64_e32 v[2:3], v[2:3], v[6:7]
	v_add_f64_e32 v[10:11], v[2:3], v[8:9]
	ds_load_2addr_b64 v[2:5], v175 offset0:4 offset1:5
	ds_load_2addr_b64 v[6:9], v175 offset0:6 offset1:7
	s_wait_dscnt 0x1
	v_add_f64_e32 v[2:3], v[10:11], v[2:3]
	s_delay_alu instid0(VALU_DEP_1) | instskip(SKIP_1) | instid1(VALU_DEP_1)
	v_add_f64_e32 v[2:3], v[2:3], v[4:5]
	s_wait_dscnt 0x0
	v_add_f64_e32 v[2:3], v[2:3], v[6:7]
	s_delay_alu instid0(VALU_DEP_1)
	v_add_f64_e32 v[88:89], v[2:3], v[8:9]
.LBB166_31:                             ;   in Loop: Header=BB166_4 Depth=1
	s_or_b32 exec_lo, exec_lo, s90
	v_lshl_add_u64 v[4:5], s[48:49], 3, v[0:1]
	s_and_b32 vcc_lo, exec_lo, s96
	s_mov_b32 s90, -1
	s_barrier_signal -1
	s_delay_alu instid0(VALU_DEP_1)
	v_add_nc_u64_e32 v[2:3], 0x100, v[4:5]
	s_barrier_wait -1
                                        ; implicit-def: $vgpr0_vgpr1
	s_cbranch_vccz .LBB166_41
; %bb.32:                               ;   in Loop: Header=BB166_4 Depth=1
	v_lshl_add_u64 v[0:1], v[58:59], 3, v[4:5]
	v_mov_b64_e32 v[8:9], 0
	v_mov_b64_e32 v[6:7], 0
	s_delay_alu instid0(VALU_DEP_3) | instskip(NEXT) | instid1(VALU_DEP_1)
	v_lshl_add_u64 v[0:1], s[38:39], 3, v[0:1]
	v_add_nc_u64_e32 v[0:1], -8, v[0:1]
	s_delay_alu instid0(VALU_DEP_1)
	v_dual_cndmask_b32 v1, v1, v3, s11 :: v_dual_cndmask_b32 v0, v0, v2, s11
	s_and_saveexec_b32 s90, s12
	s_cbranch_execz .LBB166_34
; %bb.33:                               ;   in Loop: Header=BB166_4 Depth=1
	flat_load_b64 v[6:7], v[0:1]
.LBB166_34:                             ;   in Loop: Header=BB166_4 Depth=1
	s_wait_xcnt 0x0
	s_or_b32 exec_lo, exec_lo, s90
	s_wait_loadcnt_dscnt 0x0
	ds_store_b64 v202, v[6:7]
	s_and_saveexec_b32 s90, s13
	s_cbranch_execz .LBB166_36
; %bb.35:                               ;   in Loop: Header=BB166_4 Depth=1
	v_lshl_add_u64 v[6:7], s[42:43], 3, v[0:1]
	flat_load_b64 v[8:9], v[6:7]
.LBB166_36:                             ;   in Loop: Header=BB166_4 Depth=1
	s_wait_xcnt 0x0
	s_or_b32 exec_lo, exec_lo, s90
	v_mov_b64_e32 v[6:7], 0
	v_mov_b64_e32 v[10:11], 0
	s_wait_loadcnt_dscnt 0x0
	ds_store_b64 v202, v[8:9] offset:2112
	s_and_saveexec_b32 s90, s14
	s_cbranch_execz .LBB166_38
; %bb.37:                               ;   in Loop: Header=BB166_4 Depth=1
	v_lshl_add_u64 v[8:9], s[44:45], 3, v[0:1]
	flat_load_b64 v[10:11], v[8:9]
.LBB166_38:                             ;   in Loop: Header=BB166_4 Depth=1
	s_wait_xcnt 0x0
	s_or_b32 exec_lo, exec_lo, s90
	s_wait_loadcnt_dscnt 0x0
	ds_store_b64 v202, v[10:11] offset:4224
	s_and_saveexec_b32 s90, s15
	s_cbranch_execz .LBB166_40
; %bb.39:                               ;   in Loop: Header=BB166_4 Depth=1
	v_lshl_add_u64 v[6:7], s[46:47], 3, v[0:1]
	flat_load_b64 v[6:7], v[6:7]
.LBB166_40:                             ;   in Loop: Header=BB166_4 Depth=1
	s_wait_xcnt 0x0
	s_or_b32 exec_lo, exec_lo, s90
	v_add_nc_u64_e32 v[0:1], v[0:1], v[56:57]
	s_mov_b32 s90, 0
	s_wait_loadcnt_dscnt 0x0
	ds_store_b64 v202, v[6:7] offset:6336
	v_lshl_add_u64 v[0:1], s[52:53], 3, v[0:1]
	s_delay_alu instid0(VALU_DEP_1) | instskip(NEXT) | instid1(VALU_DEP_1)
	v_add_nc_u64_e32 v[0:1], 0x108, v[0:1]
	v_dual_cndmask_b32 v1, v1, v3, s11 :: v_dual_cndmask_b32 v0, v0, v2, s11
.LBB166_41:                             ;   in Loop: Header=BB166_4 Depth=1
	s_and_b32 vcc_lo, exec_lo, s90
	s_cbranch_vccz .LBB166_43
; %bb.42:                               ;   in Loop: Header=BB166_4 Depth=1
	v_lshl_add_u64 v[0:1], s[42:43], 3, v[4:5]
	s_delay_alu instid0(VALU_DEP_1) | instskip(NEXT) | instid1(VALU_DEP_1)
	v_add_nc_u64_e32 v[6:7], s[54:55], v[0:1]
	v_add_nc_u64_e32 v[8:9], s[54:55], v[6:7]
	s_clause 0x3
	flat_load_b64 v[4:5], v[4:5] offset:256
	flat_load_b64 v[10:11], v[0:1] offset:256
	;; [unrolled: 1-line block ×4, first 2 shown]
	s_wait_xcnt 0x2
	v_mov_b64_e32 v[0:1], v[2:3]
	s_wait_loadcnt_dscnt 0x303
	ds_store_b64 v202, v[4:5]
	s_wait_loadcnt_dscnt 0x203
	ds_store_b64 v202, v[10:11] offset:2112
	s_wait_loadcnt_dscnt 0x103
	ds_store_b64 v202, v[6:7] offset:4224
	;; [unrolled: 2-line block ×3, first 2 shown]
.LBB166_43:                             ;   in Loop: Header=BB166_4 Depth=1
	s_wait_dscnt 0x0
	s_barrier_signal -1
	s_barrier_wait -1
	s_wait_xcnt 0x0
	s_and_saveexec_b32 s90, s6
	s_cbranch_execnz .LBB166_128
; %bb.44:                               ;   in Loop: Header=BB166_4 Depth=1
	s_or_b32 exec_lo, exec_lo, s90
	s_and_saveexec_b32 s90, s7
	s_cbranch_execnz .LBB166_129
.LBB166_45:                             ;   in Loop: Header=BB166_4 Depth=1
	s_or_b32 exec_lo, exec_lo, s90
	s_and_saveexec_b32 s90, s8
	s_cbranch_execnz .LBB166_130
.LBB166_46:                             ;   in Loop: Header=BB166_4 Depth=1
	s_or_b32 exec_lo, exec_lo, s90
	s_and_saveexec_b32 s90, s9
	s_cbranch_execz .LBB166_48
.LBB166_47:                             ;   in Loop: Header=BB166_4 Depth=1
	ds_load_b64 v[2:3], v204 offset:528
	s_wait_dscnt 0x0
	ds_store_b64 v176, v[2:3] offset:24
.LBB166_48:                             ;   in Loop: Header=BB166_4 Depth=1
	s_or_b32 exec_lo, exec_lo, s90
	s_wait_dscnt 0x0
	s_barrier_signal -1
	s_barrier_wait -1
	ds_load_b64 v[10:11], v203
	ds_load_b128 v[2:5], v177 offset:256
	ds_load_b128 v[6:9], v177 offset:272
	ds_load_b64 v[18:19], v204 offset:528
	ds_load_2addr_b64 v[14:17], v204 offset1:33
	s_wait_dscnt 0x0
	s_barrier_signal -1
	s_barrier_wait -1
	v_fma_f64 v[2:3], v[10:11], v[2:3], 0
	s_delay_alu instid0(VALU_DEP_1) | instskip(NEXT) | instid1(VALU_DEP_1)
	v_fmac_f64_e32 v[2:3], v[14:15], v[4:5]
	v_fmac_f64_e32 v[2:3], v[16:17], v[6:7]
	s_delay_alu instid0(VALU_DEP_1)
	v_fmac_f64_e32 v[2:3], v[18:19], v[8:9]
	ds_store_b64 v178, v[2:3]
	s_wait_dscnt 0x0
	s_barrier_signal -1
	s_barrier_wait -1
	s_and_saveexec_b32 s90, s16
	s_cbranch_execz .LBB166_50
; %bb.49:                               ;   in Loop: Header=BB166_4 Depth=1
	ds_load_2addr_b64 v[2:5], v175 offset1:1
	ds_load_2addr_b64 v[6:9], v175 offset0:2 offset1:3
	s_wait_dscnt 0x1
	v_add_f64_e32 v[2:3], v[2:3], v[4:5]
	s_wait_dscnt 0x0
	s_delay_alu instid0(VALU_DEP_1) | instskip(NEXT) | instid1(VALU_DEP_1)
	v_add_f64_e32 v[2:3], v[2:3], v[6:7]
	v_add_f64_e32 v[10:11], v[2:3], v[8:9]
	ds_load_2addr_b64 v[2:5], v175 offset0:4 offset1:5
	ds_load_2addr_b64 v[6:9], v175 offset0:6 offset1:7
	s_wait_dscnt 0x1
	v_add_f64_e32 v[2:3], v[10:11], v[2:3]
	s_delay_alu instid0(VALU_DEP_1) | instskip(SKIP_1) | instid1(VALU_DEP_1)
	v_add_f64_e32 v[2:3], v[2:3], v[4:5]
	s_wait_dscnt 0x0
	v_add_f64_e32 v[2:3], v[2:3], v[6:7]
	s_delay_alu instid0(VALU_DEP_1)
	v_add_f64_e32 v[88:89], v[2:3], v[8:9]
.LBB166_50:                             ;   in Loop: Header=BB166_4 Depth=1
	s_or_b32 exec_lo, exec_lo, s90
	s_mov_b64 s[90:91], 0xffffffffffffff00
	s_and_b32 vcc_lo, exec_lo, s96
	v_add_nc_u64_e32 v[2:3], s[90:91], v[0:1]
	s_mov_b32 s90, -1
	s_barrier_signal -1
	s_barrier_wait -1
                                        ; implicit-def: $vgpr14_vgpr15
	s_cbranch_vccz .LBB166_60
; %bb.51:                               ;   in Loop: Header=BB166_4 Depth=1
	v_lshl_add_u64 v[4:5], v[58:59], 3, v[0:1]
	v_mov_b64_e32 v[8:9], 0
	v_mov_b64_e32 v[6:7], 0
	s_delay_alu instid0(VALU_DEP_3) | instskip(NEXT) | instid1(VALU_DEP_1)
	v_lshl_add_u64 v[4:5], s[38:39], 3, v[4:5]
	v_add_nc_u64_e32 v[4:5], s[86:87], v[4:5]
	s_delay_alu instid0(VALU_DEP_1)
	v_dual_cndmask_b32 v5, v5, v3, s1 :: v_dual_cndmask_b32 v4, v4, v2, s1
	s_and_saveexec_b32 s90, s12
	s_cbranch_execz .LBB166_53
; %bb.52:                               ;   in Loop: Header=BB166_4 Depth=1
	flat_load_b64 v[6:7], v[4:5]
.LBB166_53:                             ;   in Loop: Header=BB166_4 Depth=1
	s_wait_xcnt 0x0
	s_or_b32 exec_lo, exec_lo, s90
	s_wait_loadcnt_dscnt 0x0
	ds_store_b64 v202, v[6:7]
	s_and_saveexec_b32 s90, s13
	s_cbranch_execz .LBB166_55
; %bb.54:                               ;   in Loop: Header=BB166_4 Depth=1
	v_lshl_add_u64 v[6:7], s[42:43], 3, v[4:5]
	flat_load_b64 v[8:9], v[6:7]
.LBB166_55:                             ;   in Loop: Header=BB166_4 Depth=1
	s_wait_xcnt 0x0
	s_or_b32 exec_lo, exec_lo, s90
	v_mov_b64_e32 v[6:7], 0
	v_mov_b64_e32 v[10:11], 0
	s_wait_loadcnt_dscnt 0x0
	ds_store_b64 v202, v[8:9] offset:2112
	s_and_saveexec_b32 s90, s14
	s_cbranch_execz .LBB166_57
; %bb.56:                               ;   in Loop: Header=BB166_4 Depth=1
	v_lshl_add_u64 v[8:9], s[44:45], 3, v[4:5]
	flat_load_b64 v[10:11], v[8:9]
.LBB166_57:                             ;   in Loop: Header=BB166_4 Depth=1
	s_wait_xcnt 0x0
	s_or_b32 exec_lo, exec_lo, s90
	s_wait_loadcnt_dscnt 0x0
	ds_store_b64 v202, v[10:11] offset:4224
	s_and_saveexec_b32 s90, s15
	s_cbranch_execz .LBB166_59
; %bb.58:                               ;   in Loop: Header=BB166_4 Depth=1
	v_lshl_add_u64 v[6:7], s[46:47], 3, v[4:5]
	flat_load_b64 v[6:7], v[6:7]
.LBB166_59:                             ;   in Loop: Header=BB166_4 Depth=1
	s_wait_xcnt 0x0
	s_or_b32 exec_lo, exec_lo, s90
	v_add_nc_u64_e32 v[4:5], v[4:5], v[56:57]
	s_mov_b32 s90, 0
	s_wait_loadcnt_dscnt 0x0
	ds_store_b64 v202, v[6:7] offset:6336
	v_lshl_add_u64 v[4:5], s[52:53], 3, v[4:5]
	s_delay_alu instid0(VALU_DEP_1) | instskip(NEXT) | instid1(VALU_DEP_1)
	v_add_nc_u64_e32 v[4:5], 8, v[4:5]
	v_dual_cndmask_b32 v15, v5, v3, s1 :: v_dual_cndmask_b32 v14, v4, v2, s1
.LBB166_60:                             ;   in Loop: Header=BB166_4 Depth=1
	s_and_b32 vcc_lo, exec_lo, s90
	s_cbranch_vccz .LBB166_62
; %bb.61:                               ;   in Loop: Header=BB166_4 Depth=1
	v_lshl_add_u64 v[4:5], s[42:43], 3, v[0:1]
	v_mov_b64_e32 v[14:15], v[2:3]
	s_delay_alu instid0(VALU_DEP_2) | instskip(NEXT) | instid1(VALU_DEP_1)
	v_add_nc_u64_e32 v[6:7], s[54:55], v[4:5]
	v_add_nc_u64_e32 v[8:9], s[54:55], v[6:7]
	s_clause 0x3
	flat_load_b64 v[0:1], v[0:1] offset:-256
	flat_load_b64 v[4:5], v[4:5] offset:-256
	;; [unrolled: 1-line block ×4, first 2 shown]
	s_wait_loadcnt_dscnt 0x303
	ds_store_b64 v202, v[0:1]
	s_wait_loadcnt_dscnt 0x203
	ds_store_b64 v202, v[4:5] offset:2112
	s_wait_loadcnt_dscnt 0x103
	ds_store_b64 v202, v[6:7] offset:4224
	;; [unrolled: 2-line block ×3, first 2 shown]
.LBB166_62:                             ;   in Loop: Header=BB166_4 Depth=1
	s_wait_xcnt 0x3
	v_dual_add_nc_u32 v0, v176, v180 :: v_dual_add_nc_u32 v2, v177, v180
	s_wait_dscnt 0x0
	s_barrier_signal -1
	s_barrier_wait -1
	ds_load_b64 v[0:1], v0
	ds_load_b64 v[2:3], v2
	s_wait_xcnt 0x0
	ds_load_b64 v[8:9], v201 offset:192
	s_wait_dscnt 0x1
	v_fma_f64 v[20:21], v[0:1], v[2:3], 0
	ds_load_2addr_b64 v[0:3], v200 offset0:8 offset1:16
	ds_load_2addr_b64 v[4:7], v201 offset0:8 offset1:16
	s_wait_dscnt 0x0
	v_fmac_f64_e32 v[20:21], v[0:1], v[4:5]
	ds_load_b64 v[0:1], v200 offset:192
	v_fmac_f64_e32 v[20:21], v[2:3], v[6:7]
	s_wait_dscnt 0x0
	s_delay_alu instid0(VALU_DEP_1)
	v_fmac_f64_e32 v[20:21], v[0:1], v[8:9]
	ds_load_b128 v[8:11], v177 offset:256
	ds_load_b128 v[0:3], v177 offset:272
	ds_load_2addr_b64 v[4:7], v204 offset1:33
	ds_load_b64 v[18:19], v203
	ds_load_b64 v[16:17], v204 offset:528
	s_wait_dscnt 0x0
	s_barrier_signal -1
	s_barrier_wait -1
	ds_store_b64 v178, v[20:21]
	s_wait_dscnt 0x0
	s_barrier_signal -1
	s_barrier_wait -1
	s_and_saveexec_b32 s90, s16
	s_cbranch_execz .LBB166_64
; %bb.63:                               ;   in Loop: Header=BB166_4 Depth=1
	ds_load_2addr_b64 v[20:23], v175 offset1:1
	ds_load_2addr_b64 v[24:27], v175 offset0:2 offset1:3
	s_wait_dscnt 0x1
	v_add_f64_e32 v[20:21], v[88:89], v[20:21]
	s_delay_alu instid0(VALU_DEP_1) | instskip(SKIP_1) | instid1(VALU_DEP_1)
	v_add_f64_e32 v[20:21], v[20:21], v[22:23]
	s_wait_dscnt 0x0
	v_add_f64_e32 v[20:21], v[20:21], v[24:25]
	s_delay_alu instid0(VALU_DEP_1) | instskip(SKIP_4) | instid1(VALU_DEP_1)
	v_add_f64_e32 v[28:29], v[20:21], v[26:27]
	ds_load_2addr_b64 v[20:23], v175 offset0:4 offset1:5
	ds_load_2addr_b64 v[24:27], v175 offset0:6 offset1:7
	s_wait_dscnt 0x1
	v_add_f64_e32 v[20:21], v[28:29], v[20:21]
	v_add_f64_e32 v[20:21], v[20:21], v[22:23]
	s_wait_dscnt 0x0
	s_delay_alu instid0(VALU_DEP_1) | instskip(NEXT) | instid1(VALU_DEP_1)
	v_add_f64_e32 v[20:21], v[20:21], v[24:25]
	v_add_f64_e32 v[88:89], v[20:21], v[26:27]
.LBB166_64:                             ;   in Loop: Header=BB166_4 Depth=1
	s_or_b32 exec_lo, exec_lo, s90
	v_fma_f64 v[8:9], v[18:19], v[8:9], 0
	s_barrier_signal -1
	s_barrier_wait -1
	s_delay_alu instid0(VALU_DEP_1) | instskip(NEXT) | instid1(VALU_DEP_1)
	v_fmac_f64_e32 v[8:9], v[4:5], v[10:11]
	v_fmac_f64_e32 v[8:9], v[6:7], v[0:1]
	s_delay_alu instid0(VALU_DEP_1)
	v_fmac_f64_e32 v[8:9], v[16:17], v[2:3]
	ds_store_b64 v178, v[8:9]
	s_wait_dscnt 0x0
	s_barrier_signal -1
	s_barrier_wait -1
	s_and_saveexec_b32 s90, s10
	s_cbranch_execz .LBB166_66
; %bb.65:                               ;   in Loop: Header=BB166_4 Depth=1
	ds_load_2addr_b64 v[0:3], v175 offset1:1
	ds_load_2addr_b64 v[4:7], v175 offset0:2 offset1:3
	s_wait_dscnt 0x1
	v_add_f64_e32 v[0:1], v[88:89], v[0:1]
	s_delay_alu instid0(VALU_DEP_1) | instskip(SKIP_1) | instid1(VALU_DEP_1)
	v_add_f64_e32 v[0:1], v[0:1], v[2:3]
	s_wait_dscnt 0x0
	v_add_f64_e32 v[0:1], v[0:1], v[4:5]
	s_delay_alu instid0(VALU_DEP_1) | instskip(SKIP_4) | instid1(VALU_DEP_1)
	v_add_f64_e32 v[8:9], v[0:1], v[6:7]
	ds_load_2addr_b64 v[0:3], v175 offset0:4 offset1:5
	ds_load_2addr_b64 v[4:7], v175 offset0:6 offset1:7
	s_wait_dscnt 0x1
	v_add_f64_e32 v[0:1], v[8:9], v[0:1]
	v_add_f64_e32 v[0:1], v[0:1], v[2:3]
	s_wait_dscnt 0x0
	s_delay_alu instid0(VALU_DEP_1) | instskip(NEXT) | instid1(VALU_DEP_1)
	v_add_f64_e32 v[0:1], v[0:1], v[4:5]
	v_add_f64_e32 v[88:89], v[0:1], v[6:7]
.LBB166_66:                             ;   in Loop: Header=BB166_4 Depth=1
	s_or_b32 exec_lo, exec_lo, s90
	s_mul_u64 s[90:91], s[34:35], s[18:19]
	s_and_not1_b32 vcc_lo, exec_lo, s97
	s_lshl_b64 s[90:91], s[90:91], 3
	s_delay_alu instid0(SALU_CYCLE_1)
	s_add_nc_u64 s[90:91], s[40:41], s[90:91]
	s_barrier_signal -1
	s_barrier_wait -1
	s_cbranch_vccnz .LBB166_123
; %bb.67:                               ;   in Loop: Header=BB166_4 Depth=1
	v_add_nc_u64_e32 v[92:93], s[56:57], v[14:15]
	v_add_nc_u64_e32 v[94:95], v[14:15], v[70:71]
	;; [unrolled: 1-line block ×23, first 2 shown]
	v_lshl_add_u64 v[90:91], s[50:51], 3, v[12:13]
	v_lshl_add_u64 v[138:139], s[48:49], 3, v[14:15]
	v_mov_b32_e32 v210, v209
	s_mov_b32 s92, s101
	s_mov_b32 s102, s30
	s_delay_alu instid0(SALU_CYCLE_1)
	s_cmp_eq_u32 s98, s102
	s_cselect_b32 s103, s29, 0
	s_and_saveexec_b32 s104, s0
	s_cbranch_execz .LBB166_71
.LBB166_68:                             ;   in Loop: Header=BB166_4 Depth=1
	v_cmp_gt_i32_e32 vcc_lo, s103, v172
	v_mov_b64_e32 v[0:1], 0
	s_cmp_eq_u32 s103, 0
	s_cselect_b32 s93, -1, 0
	s_delay_alu instid0(SALU_CYCLE_1) | instskip(NEXT) | instid1(SALU_CYCLE_1)
	s_or_b32 s93, s93, vcc_lo
	s_and_saveexec_b32 vcc_lo, s93
	s_cbranch_execz .LBB166_70
; %bb.69:                               ;   in Loop: Header=BB166_4 Depth=1
	s_ashr_i32 s93, s92, 31
	s_delay_alu instid0(SALU_CYCLE_1)
	v_lshl_add_u64 v[0:1], s[92:93], 3, v[90:91]
	flat_load_b64 v[0:1], v[0:1]
.LBB166_70:                             ;   in Loop: Header=BB166_4 Depth=1
	s_wait_xcnt 0x0
	s_or_b32 exec_lo, exec_lo, vcc_lo
	s_wait_loadcnt_dscnt 0x0
	ds_store_b64 v181, v[0:1]
.LBB166_71:                             ;   Parent Loop BB166_4 Depth=1
                                        ; =>  This Inner Loop Header: Depth=2
	s_or_b32 exec_lo, exec_lo, s104
	s_cmp_eq_u32 s103, 0
	v_add_nc_u64_e32 v[0:1], v[138:139], v[68:69]
	s_cselect_b32 s93, -1, 0
	s_cmp_lg_u32 s103, 0
	s_mov_b32 vcc_hi, -1
	s_cselect_b32 s104, -1, 0
	s_wait_dscnt 0x0
	s_and_b32 vcc_lo, exec_lo, s104
	s_barrier_signal -1
	s_barrier_wait -1
                                        ; implicit-def: $vgpr144_vgpr145
                                        ; implicit-def: $vgpr146_vgpr147
                                        ; implicit-def: $vgpr140_vgpr141
                                        ; implicit-def: $vgpr142_vgpr143
	s_cbranch_vccz .LBB166_81
; %bb.72:                               ;   in Loop: Header=BB166_71 Depth=2
	v_mov_b64_e32 v[140:141], 0
	v_mov_b64_e32 v[142:143], 0
	s_mov_b32 vcc_hi, exec_lo
	v_cmpx_gt_i32_e64 s103, v179
	s_cbranch_execz .LBB166_74
; %bb.73:                               ;   in Loop: Header=BB166_71 Depth=2
	flat_load_b64 v[142:143], v[0:1]
.LBB166_74:                             ;   in Loop: Header=BB166_71 Depth=2
	s_wait_xcnt 0x0
	s_or_b32 exec_lo, exec_lo, vcc_hi
	s_delay_alu instid0(SALU_CYCLE_1)
	s_mov_b32 vcc_hi, exec_lo
	v_cmpx_gt_i32_e64 s103, v187
	s_cbranch_execz .LBB166_76
; %bb.75:                               ;   in Loop: Header=BB166_71 Depth=2
	v_add_nc_u64_e32 v[2:3], v[96:97], v[68:69]
	flat_load_b64 v[140:141], v[2:3]
.LBB166_76:                             ;   in Loop: Header=BB166_71 Depth=2
	s_wait_xcnt 0x0
	s_or_b32 exec_lo, exec_lo, vcc_hi
	v_mov_b64_e32 v[144:145], 0
	v_mov_b64_e32 v[146:147], 0
	s_mov_b32 vcc_hi, exec_lo
	v_cmpx_gt_i32_e64 s103, v188
	s_cbranch_execz .LBB166_78
; %bb.77:                               ;   in Loop: Header=BB166_71 Depth=2
	v_add_nc_u64_e32 v[2:3], v[98:99], v[68:69]
	flat_load_b64 v[146:147], v[2:3]
.LBB166_78:                             ;   in Loop: Header=BB166_71 Depth=2
	s_wait_xcnt 0x0
	s_or_b32 exec_lo, exec_lo, vcc_hi
	s_delay_alu instid0(SALU_CYCLE_1)
	s_mov_b32 vcc_hi, exec_lo
	v_cmpx_gt_i32_e64 s103, v189
	s_cbranch_execz .LBB166_80
; %bb.79:                               ;   in Loop: Header=BB166_71 Depth=2
	v_add_nc_u64_e32 v[2:3], v[100:101], v[68:69]
	flat_load_b64 v[144:145], v[2:3]
.LBB166_80:                             ;   in Loop: Header=BB166_71 Depth=2
	s_wait_xcnt 0x0
	s_or_b32 exec_lo, exec_lo, vcc_hi
	s_mov_b32 vcc_hi, 0
.LBB166_81:                             ;   in Loop: Header=BB166_71 Depth=2
	s_delay_alu instid0(SALU_CYCLE_1)
	s_and_b32 vcc_lo, exec_lo, vcc_hi
	s_cbranch_vccz .LBB166_83
; %bb.82:                               ;   in Loop: Header=BB166_71 Depth=2
	v_add_nc_u64_e32 v[2:3], v[96:97], v[68:69]
	v_add_nc_u64_e32 v[4:5], v[92:93], v[68:69]
	v_add_nc_u64_e32 v[6:7], v[94:95], v[66:67]
	s_wait_loadcnt_dscnt 0x0
	flat_load_b64 v[142:143], v[0:1]
	flat_load_b64 v[140:141], v[2:3]
	;; [unrolled: 1-line block ×4, first 2 shown]
.LBB166_83:                             ;   in Loop: Header=BB166_71 Depth=2
	s_wait_xcnt 0x1
	ds_load_b64 v[4:5], v174
	ds_load_b128 v[0:3], v182
	v_cndmask_b32_e64 v44, 0, 1, s104
	s_and_not1_b32 vcc_lo, exec_lo, s104
	s_mov_b32 s104, -1
                                        ; implicit-def: $vgpr152_vgpr153
                                        ; implicit-def: $vgpr154_vgpr155
                                        ; implicit-def: $vgpr148_vgpr149
                                        ; implicit-def: $vgpr150_vgpr151
	s_wait_loadcnt_dscnt 0x1
	v_mul_f64_e32 v[8:9], v[142:143], v[4:5]
	v_mul_f64_e32 v[10:11], v[140:141], v[4:5]
	;; [unrolled: 1-line block ×4, first 2 shown]
	s_wait_xcnt 0x0
	ds_load_b128 v[4:7], v182 offset:16
	ds_store_2addr_b64 v183, v[8:9], v[10:11] offset1:67
	ds_store_2addr_b64 v183, v[12:13], v[14:15] offset0:134 offset1:201
	s_wait_dscnt 0x0
	s_barrier_signal -1
	s_barrier_wait -1
	ds_load_2addr_b64 v[16:19], v184 offset1:1
	ds_load_2addr_b64 v[8:11], v184 offset0:2 offset1:3
	v_add_nc_u64_e32 v[12:13], v[108:109], v[68:69]
	s_wait_dscnt 0x0
	s_barrier_signal -1
	s_barrier_wait -1
	s_cbranch_vccnz .LBB166_93
; %bb.84:                               ;   in Loop: Header=BB166_71 Depth=2
	v_mov_b64_e32 v[148:149], 0
	v_mov_b64_e32 v[150:151], 0
	s_mov_b32 s104, exec_lo
	v_cmpx_gt_i32_e64 s103, v190
	s_cbranch_execz .LBB166_86
; %bb.85:                               ;   in Loop: Header=BB166_71 Depth=2
	flat_load_b64 v[150:151], v[12:13]
.LBB166_86:                             ;   in Loop: Header=BB166_71 Depth=2
	s_wait_xcnt 0x0
	s_or_b32 exec_lo, exec_lo, s104
	s_delay_alu instid0(SALU_CYCLE_1)
	s_mov_b32 s104, exec_lo
	v_cmpx_gt_i32_e64 s103, v191
	s_cbranch_execz .LBB166_88
; %bb.87:                               ;   in Loop: Header=BB166_71 Depth=2
	v_add_nc_u64_e32 v[14:15], v[106:107], v[68:69]
	flat_load_b64 v[148:149], v[14:15]
.LBB166_88:                             ;   in Loop: Header=BB166_71 Depth=2
	s_wait_xcnt 0x0
	s_or_b32 exec_lo, exec_lo, s104
	v_mov_b64_e32 v[152:153], 0
	v_mov_b64_e32 v[154:155], 0
	s_mov_b32 s104, exec_lo
	v_cmpx_gt_i32_e64 s103, v192
	s_cbranch_execz .LBB166_90
; %bb.89:                               ;   in Loop: Header=BB166_71 Depth=2
	v_add_nc_u64_e32 v[14:15], v[110:111], v[68:69]
	flat_load_b64 v[154:155], v[14:15]
.LBB166_90:                             ;   in Loop: Header=BB166_71 Depth=2
	s_wait_xcnt 0x0
	s_or_b32 exec_lo, exec_lo, s104
	s_delay_alu instid0(SALU_CYCLE_1)
	s_mov_b32 s104, exec_lo
	v_cmpx_gt_i32_e64 s103, v193
	s_cbranch_execz .LBB166_92
; %bb.91:                               ;   in Loop: Header=BB166_71 Depth=2
	v_add_nc_u64_e32 v[14:15], v[112:113], v[68:69]
	flat_load_b64 v[152:153], v[14:15]
.LBB166_92:                             ;   in Loop: Header=BB166_71 Depth=2
	s_wait_xcnt 0x0
	s_or_b32 exec_lo, exec_lo, s104
	s_mov_b32 s104, 0
.LBB166_93:                             ;   in Loop: Header=BB166_71 Depth=2
	s_delay_alu instid0(SALU_CYCLE_1)
	s_and_b32 vcc_lo, exec_lo, s104
	s_cbranch_vccz .LBB166_95
; %bb.94:                               ;   in Loop: Header=BB166_71 Depth=2
	v_add_nc_u64_e32 v[14:15], v[106:107], v[68:69]
	v_add_nc_u64_e32 v[20:21], v[102:103], v[68:69]
	;; [unrolled: 1-line block ×3, first 2 shown]
	s_wait_loadcnt_dscnt 0x0
	flat_load_b64 v[150:151], v[12:13]
	flat_load_b64 v[148:149], v[14:15]
	;; [unrolled: 1-line block ×4, first 2 shown]
.LBB166_95:                             ;   in Loop: Header=BB166_71 Depth=2
	s_wait_xcnt 0x1
	ds_load_b64 v[20:21], v174
	ds_load_b128 v[12:15], v182 offset:128
	v_cmp_ne_u32_e32 vcc_lo, 1, v44
	s_mov_b32 s104, -1
                                        ; implicit-def: $vgpr160_vgpr161
                                        ; implicit-def: $vgpr162_vgpr163
                                        ; implicit-def: $vgpr156_vgpr157
                                        ; implicit-def: $vgpr158_vgpr159
	s_and_b32 vcc_lo, exec_lo, vcc_lo
	s_wait_loadcnt_dscnt 0x1
	v_mul_f64_e32 v[24:25], v[150:151], v[20:21]
	v_mul_f64_e32 v[26:27], v[148:149], v[20:21]
	;; [unrolled: 1-line block ×4, first 2 shown]
	s_wait_xcnt 0x0
	ds_load_b128 v[20:23], v182 offset:144
	ds_store_2addr_b64 v183, v[24:25], v[26:27] offset1:67
	ds_store_2addr_b64 v183, v[28:29], v[30:31] offset0:134 offset1:201
	s_wait_dscnt 0x0
	s_barrier_signal -1
	s_barrier_wait -1
	ds_load_2addr_b64 v[36:39], v184 offset1:1
	ds_load_2addr_b64 v[32:35], v184 offset0:2 offset1:3
	v_add_nc_u64_e32 v[24:25], v[120:121], v[68:69]
	s_wait_dscnt 0x0
	s_barrier_signal -1
	s_barrier_wait -1
	s_cbranch_vccnz .LBB166_105
; %bb.96:                               ;   in Loop: Header=BB166_71 Depth=2
	v_mov_b64_e32 v[156:157], 0
	v_mov_b64_e32 v[158:159], 0
	s_mov_b32 s104, exec_lo
	v_cmpx_gt_i32_e64 s103, v194
	s_cbranch_execz .LBB166_98
; %bb.97:                               ;   in Loop: Header=BB166_71 Depth=2
	flat_load_b64 v[158:159], v[24:25]
.LBB166_98:                             ;   in Loop: Header=BB166_71 Depth=2
	s_wait_xcnt 0x0
	s_or_b32 exec_lo, exec_lo, s104
	s_delay_alu instid0(SALU_CYCLE_1)
	s_mov_b32 s104, exec_lo
	v_cmpx_gt_i32_e64 s103, v195
	s_cbranch_execz .LBB166_100
; %bb.99:                               ;   in Loop: Header=BB166_71 Depth=2
	v_add_nc_u64_e32 v[26:27], v[118:119], v[68:69]
	flat_load_b64 v[156:157], v[26:27]
.LBB166_100:                            ;   in Loop: Header=BB166_71 Depth=2
	s_wait_xcnt 0x0
	s_or_b32 exec_lo, exec_lo, s104
	v_mov_b64_e32 v[160:161], 0
	v_mov_b64_e32 v[162:163], 0
	s_mov_b32 s104, exec_lo
	v_cmpx_gt_i32_e64 s103, v196
	s_cbranch_execz .LBB166_102
; %bb.101:                              ;   in Loop: Header=BB166_71 Depth=2
	v_add_nc_u64_e32 v[26:27], v[122:123], v[68:69]
	flat_load_b64 v[162:163], v[26:27]
.LBB166_102:                            ;   in Loop: Header=BB166_71 Depth=2
	s_wait_xcnt 0x0
	s_or_b32 exec_lo, exec_lo, s104
	s_delay_alu instid0(SALU_CYCLE_1)
	s_mov_b32 s104, exec_lo
	v_cmpx_gt_i32_e64 s103, v197
	s_cbranch_execz .LBB166_104
; %bb.103:                              ;   in Loop: Header=BB166_71 Depth=2
	v_add_nc_u64_e32 v[26:27], v[124:125], v[68:69]
	flat_load_b64 v[160:161], v[26:27]
.LBB166_104:                            ;   in Loop: Header=BB166_71 Depth=2
	s_wait_xcnt 0x0
	s_or_b32 exec_lo, exec_lo, s104
	s_mov_b32 s104, 0
.LBB166_105:                            ;   in Loop: Header=BB166_71 Depth=2
	s_delay_alu instid0(SALU_CYCLE_1)
	s_and_b32 vcc_lo, exec_lo, s104
	s_cbranch_vccz .LBB166_107
; %bb.106:                              ;   in Loop: Header=BB166_71 Depth=2
	v_add_nc_u64_e32 v[26:27], v[118:119], v[68:69]
	v_add_nc_u64_e32 v[28:29], v[114:115], v[68:69]
	;; [unrolled: 1-line block ×3, first 2 shown]
	s_wait_loadcnt_dscnt 0x0
	flat_load_b64 v[158:159], v[24:25]
	flat_load_b64 v[156:157], v[26:27]
	;; [unrolled: 1-line block ×4, first 2 shown]
.LBB166_107:                            ;   in Loop: Header=BB166_71 Depth=2
	s_wait_xcnt 0x1
	ds_load_b64 v[28:29], v174
	ds_load_b128 v[24:27], v182 offset:256
	v_cmp_ne_u32_e32 vcc_lo, 1, v44
	v_add_nc_u64_e32 v[44:45], v[132:133], v[66:67]
	s_mov_b32 s104, -1
                                        ; implicit-def: $vgpr168_vgpr169
                                        ; implicit-def: $vgpr170_vgpr171
                                        ; implicit-def: $vgpr164_vgpr165
                                        ; implicit-def: $vgpr166_vgpr167
	s_and_b32 vcc_lo, exec_lo, vcc_lo
	s_wait_loadcnt_dscnt 0x1
	v_mul_f64_e32 v[40:41], v[158:159], v[28:29]
	v_mul_f64_e32 v[42:43], v[156:157], v[28:29]
	;; [unrolled: 1-line block ×4, first 2 shown]
	s_wait_xcnt 0x0
	ds_load_b128 v[28:31], v182 offset:272
	ds_store_2addr_b64 v183, v[40:41], v[42:43] offset1:67
	ds_store_2addr_b64 v183, v[46:47], v[48:49] offset0:134 offset1:201
	s_wait_dscnt 0x0
	s_barrier_signal -1
	s_barrier_wait -1
	ds_load_2addr_b64 v[52:55], v184 offset1:1
	ds_load_2addr_b64 v[40:43], v184 offset0:2 offset1:3
	s_wait_dscnt 0x0
	s_barrier_signal -1
	s_barrier_wait -1
	s_cbranch_vccnz .LBB166_117
; %bb.108:                              ;   in Loop: Header=BB166_71 Depth=2
	v_mov_b64_e32 v[164:165], 0
	v_mov_b64_e32 v[166:167], 0
	s_mov_b32 s104, exec_lo
	v_cmpx_gt_i32_e64 s103, v198
	s_cbranch_execz .LBB166_110
; %bb.109:                              ;   in Loop: Header=BB166_71 Depth=2
	flat_load_b64 v[166:167], v[44:45]
.LBB166_110:                            ;   in Loop: Header=BB166_71 Depth=2
	s_wait_xcnt 0x0
	s_or_b32 exec_lo, exec_lo, s104
	s_delay_alu instid0(SALU_CYCLE_1)
	s_mov_b32 s104, exec_lo
	v_cmpx_gt_i32_e64 s103, v206
	s_cbranch_execz .LBB166_112
; %bb.111:                              ;   in Loop: Header=BB166_71 Depth=2
	v_add_nc_u64_e32 v[46:47], v[130:131], v[66:67]
	flat_load_b64 v[164:165], v[46:47]
.LBB166_112:                            ;   in Loop: Header=BB166_71 Depth=2
	s_wait_xcnt 0x0
	s_or_b32 exec_lo, exec_lo, s104
	v_mov_b64_e32 v[168:169], 0
	v_mov_b64_e32 v[170:171], 0
	s_mov_b32 s104, exec_lo
	v_cmpx_gt_i32_e64 s103, v207
	s_cbranch_execz .LBB166_114
; %bb.113:                              ;   in Loop: Header=BB166_71 Depth=2
	v_add_nc_u64_e32 v[46:47], v[134:135], v[66:67]
	flat_load_b64 v[170:171], v[46:47]
.LBB166_114:                            ;   in Loop: Header=BB166_71 Depth=2
	s_wait_xcnt 0x0
	s_or_b32 exec_lo, exec_lo, s104
	s_delay_alu instid0(SALU_CYCLE_1)
	s_mov_b32 s104, exec_lo
	v_cmpx_gt_i32_e64 s103, v208
	s_cbranch_execz .LBB166_116
; %bb.115:                              ;   in Loop: Header=BB166_71 Depth=2
	v_add_nc_u64_e32 v[46:47], v[136:137], v[66:67]
	flat_load_b64 v[168:169], v[46:47]
.LBB166_116:                            ;   in Loop: Header=BB166_71 Depth=2
	s_wait_xcnt 0x0
	s_or_b32 exec_lo, exec_lo, s104
	s_mov_b32 s104, 0
.LBB166_117:                            ;   in Loop: Header=BB166_71 Depth=2
	s_delay_alu instid0(SALU_CYCLE_1)
	s_and_b32 vcc_lo, exec_lo, s104
	s_cbranch_vccz .LBB166_119
; %bb.118:                              ;   in Loop: Header=BB166_71 Depth=2
	v_add_nc_u64_e32 v[46:47], v[130:131], v[66:67]
	v_add_nc_u64_e32 v[48:49], v[126:127], v[66:67]
	v_add_nc_u64_e32 v[50:51], v[128:129], v[66:67]
	s_wait_loadcnt_dscnt 0x0
	flat_load_b64 v[166:167], v[44:45]
	flat_load_b64 v[164:165], v[46:47]
	;; [unrolled: 1-line block ×4, first 2 shown]
.LBB166_119:                            ;   in Loop: Header=BB166_71 Depth=2
	s_wait_xcnt 0x1
	ds_load_b64 v[48:49], v174
	ds_load_b128 v[44:47], v182 offset:384
	v_add_f64_e32 v[36:37], 0, v[36:37]
	v_add_f64_e32 v[16:17], 0, v[16:17]
	;; [unrolled: 1-line block ×3, first 2 shown]
	v_cmp_gt_i32_e32 vcc_lo, s103, v172
	s_or_b32 s93, s93, vcc_lo
	s_wait_xcnt 0x0
	s_and_b32 s103, s17, s93
	s_wait_loadcnt_dscnt 0x1
	v_mul_f64_e32 v[212:213], v[166:167], v[48:49]
	v_mul_f64_e32 v[214:215], v[164:165], v[48:49]
	;; [unrolled: 1-line block ×4, first 2 shown]
	ds_load_b128 v[48:51], v182 offset:400
	ds_store_2addr_b64 v183, v[212:213], v[214:215] offset1:67
	ds_store_2addr_b64 v183, v[216:217], v[218:219] offset0:134 offset1:201
	s_wait_dscnt 0x0
	s_barrier_signal -1
	s_barrier_wait -1
	ds_load_2addr_b64 v[212:215], v184 offset1:1
	ds_load_2addr_b64 v[216:219], v184 offset0:2 offset1:3
	v_add_f64_e32 v[36:37], v[36:37], v[38:39]
	v_add_f64_e32 v[16:17], v[16:17], v[18:19]
	;; [unrolled: 1-line block ×3, first 2 shown]
	s_wait_dscnt 0x0
	s_barrier_signal -1
	s_barrier_wait -1
	v_add_f64_e32 v[212:213], 0, v[212:213]
	s_delay_alu instid0(VALU_DEP_4) | instskip(NEXT) | instid1(VALU_DEP_4)
	v_add_f64_e32 v[32:33], v[36:37], v[32:33]
	v_add_f64_e32 v[8:9], v[16:17], v[8:9]
	s_delay_alu instid0(VALU_DEP_4) | instskip(NEXT) | instid1(VALU_DEP_4)
	v_add_f64_e32 v[38:39], v[52:53], v[40:41]
	;; [unrolled: 3-line block ×3, first 2 shown]
	v_add_f64_e32 v[8:9], v[8:9], v[10:11]
	s_delay_alu instid0(VALU_DEP_3) | instskip(SKIP_1) | instid1(VALU_DEP_2)
	v_add_f64_e32 v[16:17], v[18:19], v[216:217]
	v_add_f64_e32 v[18:19], v[38:39], v[42:43]
	;; [unrolled: 1-line block ×3, first 2 shown]
	ds_store_2addr_b64 v205, v[8:9], v[32:33] offset1:16
	ds_store_2addr_b64 v205, v[18:19], v[10:11] offset0:32 offset1:48
	s_wait_dscnt 0x0
	s_barrier_signal -1
	s_barrier_wait -1
	s_and_saveexec_b32 s93, s103
	s_cbranch_execz .LBB166_121
; %bb.120:                              ;   in Loop: Header=BB166_71 Depth=2
	ds_load_2addr_b64 v[8:11], v185 offset1:1
	ds_load_2addr_b64 v[16:19], v185 offset0:2 offset1:3
	s_wait_dscnt 0x1
	v_add_f64_e32 v[8:9], v[8:9], v[10:11]
	s_wait_dscnt 0x0
	s_delay_alu instid0(VALU_DEP_1) | instskip(NEXT) | instid1(VALU_DEP_1)
	v_add_f64_e32 v[8:9], v[8:9], v[16:17]
	v_add_f64_e32 v[32:33], v[8:9], v[18:19]
	ds_load_2addr_b64 v[8:11], v185 offset0:4 offset1:5
	ds_load_2addr_b64 v[16:19], v185 offset0:6 offset1:7
	s_wait_dscnt 0x1
	v_add_f64_e32 v[8:9], v[32:33], v[8:9]
	s_delay_alu instid0(VALU_DEP_1) | instskip(SKIP_1) | instid1(VALU_DEP_1)
	v_add_f64_e32 v[8:9], v[8:9], v[10:11]
	s_wait_dscnt 0x0
	v_add_f64_e32 v[8:9], v[8:9], v[16:17]
	s_delay_alu instid0(VALU_DEP_1) | instskip(SKIP_4) | instid1(VALU_DEP_1)
	v_add_f64_e32 v[32:33], v[8:9], v[18:19]
	ds_load_2addr_b64 v[8:11], v185 offset0:8 offset1:9
	ds_load_2addr_b64 v[16:19], v185 offset0:10 offset1:11
	s_wait_dscnt 0x1
	v_add_f64_e32 v[8:9], v[32:33], v[8:9]
	v_add_f64_e32 v[8:9], v[8:9], v[10:11]
	s_wait_dscnt 0x0
	s_delay_alu instid0(VALU_DEP_1) | instskip(NEXT) | instid1(VALU_DEP_1)
	v_add_f64_e32 v[8:9], v[8:9], v[16:17]
	v_add_f64_e32 v[16:17], v[8:9], v[18:19]
	ds_load_2addr_b64 v[8:11], v185 offset0:12 offset1:13
	ds_load_b64 v[18:19], v185 offset:112
	s_wait_dscnt 0x1
	v_add_f64_e32 v[8:9], v[16:17], v[8:9]
	s_delay_alu instid0(VALU_DEP_1) | instskip(SKIP_4) | instid1(VALU_DEP_1)
	v_add_f64_e32 v[8:9], v[8:9], v[10:11]
	ds_load_b64 v[10:11], v186
	s_wait_dscnt 0x1
	v_add_f64_e32 v[8:9], v[8:9], v[18:19]
	s_wait_dscnt 0x0
	v_add_f64_e32 v[8:9], v[8:9], v[10:11]
	global_store_b64 v210, v[8:9], s[90:91] scale_offset
.LBB166_121:                            ;   in Loop: Header=BB166_71 Depth=2
	s_wait_xcnt 0x0
	s_or_b32 exec_lo, exec_lo, s93
	v_fmac_f64_e32 v[88:89], v[142:143], v[0:1]
	v_add_nc_u64_e32 v[92:93], s[58:59], v[92:93]
	v_add_nc_u64_e32 v[94:95], s[58:59], v[94:95]
	;; [unrolled: 1-line block ×24, first 2 shown]
	v_add_nc_u32_e32 v210, 64, v210
	s_add_co_i32 s93, s102, 1
	s_add_co_i32 s102, s102, 2
	;; [unrolled: 1-line block ×3, first 2 shown]
	s_cmp_ge_u32 s102, s28
	s_wait_storecnt 0x0
	s_barrier_signal -1
	v_fmac_f64_e32 v[88:89], v[140:141], v[2:3]
	s_barrier_wait -1
	s_delay_alu instid0(VALU_DEP_1) | instskip(NEXT) | instid1(VALU_DEP_1)
	v_fmac_f64_e32 v[88:89], v[146:147], v[4:5]
	v_fmac_f64_e32 v[88:89], v[144:145], v[6:7]
	s_delay_alu instid0(VALU_DEP_1) | instskip(NEXT) | instid1(VALU_DEP_1)
	v_fmac_f64_e32 v[88:89], v[150:151], v[12:13]
	v_fmac_f64_e32 v[88:89], v[148:149], v[14:15]
	s_delay_alu instid0(VALU_DEP_1) | instskip(NEXT) | instid1(VALU_DEP_1)
	v_fmac_f64_e32 v[88:89], v[154:155], v[20:21]
	v_fmac_f64_e32 v[88:89], v[152:153], v[22:23]
	s_delay_alu instid0(VALU_DEP_1) | instskip(NEXT) | instid1(VALU_DEP_1)
	v_fmac_f64_e32 v[88:89], v[158:159], v[24:25]
	v_fmac_f64_e32 v[88:89], v[156:157], v[26:27]
	s_delay_alu instid0(VALU_DEP_1) | instskip(NEXT) | instid1(VALU_DEP_1)
	v_fmac_f64_e32 v[88:89], v[162:163], v[28:29]
	v_fmac_f64_e32 v[88:89], v[160:161], v[30:31]
	s_delay_alu instid0(VALU_DEP_1) | instskip(NEXT) | instid1(VALU_DEP_1)
	v_fmac_f64_e32 v[88:89], v[166:167], v[44:45]
	v_fmac_f64_e32 v[88:89], v[164:165], v[46:47]
	s_delay_alu instid0(VALU_DEP_1) | instskip(NEXT) | instid1(VALU_DEP_1)
	v_fmac_f64_e32 v[88:89], v[170:171], v[48:49]
	v_fmac_f64_e32 v[88:89], v[168:169], v[50:51]
	s_cbranch_scc1 .LBB166_123
; %bb.122:                              ;   in Loop: Header=BB166_71 Depth=2
	s_mov_b32 s102, s93
	s_delay_alu instid0(SALU_CYCLE_1)
	s_cmp_eq_u32 s98, s102
	s_cselect_b32 s103, s29, 0
	s_and_saveexec_b32 s104, s0
	s_cbranch_execnz .LBB166_68
	s_branch .LBB166_71
.LBB166_123:                            ;   in Loop: Header=BB166_4 Depth=1
	ds_store_b64 v199, v[88:89]
	s_wait_dscnt 0x0
	s_barrier_signal -1
	s_barrier_wait -1
	s_and_saveexec_b32 s92, s100
	s_cbranch_execz .LBB166_2
; %bb.124:                              ;   in Loop: Header=BB166_4 Depth=1
	ds_load_2addr_b64 v[0:3], v173 offset1:67
	s_wait_dscnt 0x0
	v_add_f64_e32 v[4:5], v[0:1], v[2:3]
	ds_load_2addr_b64 v[0:3], v173 offset0:134 offset1:201
	s_wait_dscnt 0x0
	v_add_f64_e32 v[0:1], v[4:5], v[0:1]
	s_delay_alu instid0(VALU_DEP_1)
	v_add_f64_e32 v[0:1], v[0:1], v[2:3]
	v_lshl_add_u64 v[2:3], v[60:61], 3, s[90:91]
	global_store_b64 v[2:3], v[0:1], off
	s_branch .LBB166_2
.LBB166_125:                            ;   in Loop: Header=BB166_4 Depth=1
	ds_load_b64 v[2:3], v203
	s_wait_dscnt 0x0
	ds_store_b64 v176, v[2:3]
	s_or_b32 exec_lo, exec_lo, s90
	s_and_saveexec_b32 s90, s7
	s_cbranch_execz .LBB166_26
.LBB166_126:                            ;   in Loop: Header=BB166_4 Depth=1
	ds_load_b64 v[2:3], v204
	s_wait_dscnt 0x0
	ds_store_b64 v176, v[2:3] offset:8
	s_or_b32 exec_lo, exec_lo, s90
	s_and_saveexec_b32 s90, s8
	s_cbranch_execz .LBB166_27
.LBB166_127:                            ;   in Loop: Header=BB166_4 Depth=1
	ds_load_b64 v[2:3], v204 offset:264
	s_wait_dscnt 0x0
	ds_store_b64 v176, v[2:3] offset:16
	s_or_b32 exec_lo, exec_lo, s90
	s_and_saveexec_b32 s90, s9
	s_cbranch_execnz .LBB166_28
	s_branch .LBB166_29
.LBB166_128:                            ;   in Loop: Header=BB166_4 Depth=1
	ds_load_b64 v[2:3], v203
	s_wait_dscnt 0x0
	ds_store_b64 v176, v[2:3]
	s_or_b32 exec_lo, exec_lo, s90
	s_and_saveexec_b32 s90, s7
	s_cbranch_execz .LBB166_45
.LBB166_129:                            ;   in Loop: Header=BB166_4 Depth=1
	ds_load_b64 v[2:3], v204
	s_wait_dscnt 0x0
	ds_store_b64 v176, v[2:3] offset:8
	s_or_b32 exec_lo, exec_lo, s90
	s_and_saveexec_b32 s90, s8
	s_cbranch_execz .LBB166_46
.LBB166_130:                            ;   in Loop: Header=BB166_4 Depth=1
	ds_load_b64 v[2:3], v204 offset:264
	s_wait_dscnt 0x0
	ds_store_b64 v176, v[2:3] offset:16
	s_or_b32 exec_lo, exec_lo, s90
	s_and_saveexec_b32 s90, s9
	s_cbranch_execnz .LBB166_47
	s_branch .LBB166_48
.LBB166_131:
	s_sendmsg sendmsg(MSG_DEALLOC_VGPRS)
	s_endpgm
	.section	.rodata,"a",@progbits
	.p2align	6, 0x0
	.amdhsa_kernel _ZL26rocblas_hemvn_kernel_upperILb0ELi64ELi4ELi33ELi32ELi16EidPKPKdPdEviT6_lT7_lT5_lS6_lS7_lS5_lT8_i
		.amdhsa_group_segment_fixed_size 9600
		.amdhsa_private_segment_fixed_size 0
		.amdhsa_kernarg_size 376
		.amdhsa_user_sgpr_count 2
		.amdhsa_user_sgpr_dispatch_ptr 0
		.amdhsa_user_sgpr_queue_ptr 0
		.amdhsa_user_sgpr_kernarg_segment_ptr 1
		.amdhsa_user_sgpr_dispatch_id 0
		.amdhsa_user_sgpr_kernarg_preload_length 0
		.amdhsa_user_sgpr_kernarg_preload_offset 0
		.amdhsa_user_sgpr_private_segment_size 0
		.amdhsa_wavefront_size32 1
		.amdhsa_uses_dynamic_stack 0
		.amdhsa_enable_private_segment 0
		.amdhsa_system_sgpr_workgroup_id_x 1
		.amdhsa_system_sgpr_workgroup_id_y 0
		.amdhsa_system_sgpr_workgroup_id_z 1
		.amdhsa_system_sgpr_workgroup_info 0
		.amdhsa_system_vgpr_workitem_id 1
		.amdhsa_next_free_vgpr 220
		.amdhsa_next_free_sgpr 105
		.amdhsa_named_barrier_count 0
		.amdhsa_reserve_vcc 1
		.amdhsa_float_round_mode_32 0
		.amdhsa_float_round_mode_16_64 0
		.amdhsa_float_denorm_mode_32 3
		.amdhsa_float_denorm_mode_16_64 3
		.amdhsa_fp16_overflow 0
		.amdhsa_memory_ordered 1
		.amdhsa_forward_progress 1
		.amdhsa_inst_pref_size 53
		.amdhsa_round_robin_scheduling 0
		.amdhsa_exception_fp_ieee_invalid_op 0
		.amdhsa_exception_fp_denorm_src 0
		.amdhsa_exception_fp_ieee_div_zero 0
		.amdhsa_exception_fp_ieee_overflow 0
		.amdhsa_exception_fp_ieee_underflow 0
		.amdhsa_exception_fp_ieee_inexact 0
		.amdhsa_exception_int_div_zero 0
	.end_amdhsa_kernel
	.section	.text._ZL26rocblas_hemvn_kernel_upperILb0ELi64ELi4ELi33ELi32ELi16EidPKPKdPdEviT6_lT7_lT5_lS6_lS7_lS5_lT8_i,"axG",@progbits,_ZL26rocblas_hemvn_kernel_upperILb0ELi64ELi4ELi33ELi32ELi16EidPKPKdPdEviT6_lT7_lT5_lS6_lS7_lS5_lT8_i,comdat
.Lfunc_end166:
	.size	_ZL26rocblas_hemvn_kernel_upperILb0ELi64ELi4ELi33ELi32ELi16EidPKPKdPdEviT6_lT7_lT5_lS6_lS7_lS5_lT8_i, .Lfunc_end166-_ZL26rocblas_hemvn_kernel_upperILb0ELi64ELi4ELi33ELi32ELi16EidPKPKdPdEviT6_lT7_lT5_lS6_lS7_lS5_lT8_i
                                        ; -- End function
	.set _ZL26rocblas_hemvn_kernel_upperILb0ELi64ELi4ELi33ELi32ELi16EidPKPKdPdEviT6_lT7_lT5_lS6_lS7_lS5_lT8_i.num_vgpr, 220
	.set _ZL26rocblas_hemvn_kernel_upperILb0ELi64ELi4ELi33ELi32ELi16EidPKPKdPdEviT6_lT7_lT5_lS6_lS7_lS5_lT8_i.num_agpr, 0
	.set _ZL26rocblas_hemvn_kernel_upperILb0ELi64ELi4ELi33ELi32ELi16EidPKPKdPdEviT6_lT7_lT5_lS6_lS7_lS5_lT8_i.numbered_sgpr, 105
	.set _ZL26rocblas_hemvn_kernel_upperILb0ELi64ELi4ELi33ELi32ELi16EidPKPKdPdEviT6_lT7_lT5_lS6_lS7_lS5_lT8_i.num_named_barrier, 0
	.set _ZL26rocblas_hemvn_kernel_upperILb0ELi64ELi4ELi33ELi32ELi16EidPKPKdPdEviT6_lT7_lT5_lS6_lS7_lS5_lT8_i.private_seg_size, 0
	.set _ZL26rocblas_hemvn_kernel_upperILb0ELi64ELi4ELi33ELi32ELi16EidPKPKdPdEviT6_lT7_lT5_lS6_lS7_lS5_lT8_i.uses_vcc, 1
	.set _ZL26rocblas_hemvn_kernel_upperILb0ELi64ELi4ELi33ELi32ELi16EidPKPKdPdEviT6_lT7_lT5_lS6_lS7_lS5_lT8_i.uses_flat_scratch, 1
	.set _ZL26rocblas_hemvn_kernel_upperILb0ELi64ELi4ELi33ELi32ELi16EidPKPKdPdEviT6_lT7_lT5_lS6_lS7_lS5_lT8_i.has_dyn_sized_stack, 0
	.set _ZL26rocblas_hemvn_kernel_upperILb0ELi64ELi4ELi33ELi32ELi16EidPKPKdPdEviT6_lT7_lT5_lS6_lS7_lS5_lT8_i.has_recursion, 0
	.set _ZL26rocblas_hemvn_kernel_upperILb0ELi64ELi4ELi33ELi32ELi16EidPKPKdPdEviT6_lT7_lT5_lS6_lS7_lS5_lT8_i.has_indirect_call, 0
	.section	.AMDGPU.csdata,"",@progbits
; Kernel info:
; codeLenInByte = 6668
; TotalNumSgprs: 107
; NumVgprs: 220
; ScratchSize: 0
; MemoryBound: 0
; FloatMode: 240
; IeeeMode: 1
; LDSByteSize: 9600 bytes/workgroup (compile time only)
; SGPRBlocks: 0
; VGPRBlocks: 13
; NumSGPRsForWavesPerEU: 107
; NumVGPRsForWavesPerEU: 220
; NamedBarCnt: 0
; Occupancy: 4
; WaveLimiterHint : 1
; COMPUTE_PGM_RSRC2:SCRATCH_EN: 0
; COMPUTE_PGM_RSRC2:USER_SGPR: 2
; COMPUTE_PGM_RSRC2:TRAP_HANDLER: 0
; COMPUTE_PGM_RSRC2:TGID_X_EN: 1
; COMPUTE_PGM_RSRC2:TGID_Y_EN: 0
; COMPUTE_PGM_RSRC2:TGID_Z_EN: 1
; COMPUTE_PGM_RSRC2:TIDIG_COMP_CNT: 1
	.section	.text._ZL36rocblas_hemvn_kernel_upper_block_sumILi64EidPKPddEviT1_lS3_lT2_lT0_lPT3_i,"axG",@progbits,_ZL36rocblas_hemvn_kernel_upper_block_sumILi64EidPKPddEviT1_lS3_lT2_lT0_lPT3_i,comdat
	.globl	_ZL36rocblas_hemvn_kernel_upper_block_sumILi64EidPKPddEviT1_lS3_lT2_lT0_lPT3_i ; -- Begin function _ZL36rocblas_hemvn_kernel_upper_block_sumILi64EidPKPddEviT1_lS3_lT2_lT0_lPT3_i
	.p2align	8
	.type	_ZL36rocblas_hemvn_kernel_upper_block_sumILi64EidPKPddEviT1_lS3_lT2_lT0_lPT3_i,@function
_ZL36rocblas_hemvn_kernel_upper_block_sumILi64EidPKPddEviT1_lS3_lT2_lT0_lPT3_i: ; @_ZL36rocblas_hemvn_kernel_upper_block_sumILi64EidPKPddEviT1_lS3_lT2_lT0_lPT3_i
; %bb.0:
	s_load_b32 s18, s[0:1], 0x50
	s_bfe_u32 s2, ttmp6, 0x40014
	s_lshr_b32 s3, ttmp7, 16
	s_add_co_i32 s2, s2, 1
	s_bfe_u32 s5, ttmp6, 0x40008
	s_mul_i32 s2, s3, s2
	s_getreg_b32 s4, hwreg(HW_REG_IB_STS2, 6, 4)
	s_add_co_i32 s5, s5, s2
	s_cmp_eq_u32 s4, 0
	s_cselect_b32 s2, s3, s5
	s_mov_b32 s3, 0
	s_wait_kmcnt 0x0
	s_cmp_ge_u32 s2, s18
	s_cbranch_scc1 .LBB167_25
; %bb.1:
	s_clause 0x1
	s_load_b64 s[8:9], s[0:1], 0x8
	s_load_b64 s[10:11], s[0:1], 0x18
	s_bfe_u32 s7, ttmp6, 0x4000c
	s_and_b32 s12, ttmp6, 15
	s_add_co_i32 s7, s7, 1
	s_clause 0x1
	s_load_b32 s15, s[0:1], 0x38
	s_load_b32 s14, s[0:1], 0x0
	s_mul_i32 s7, ttmp9, s7
	s_load_b64 s[16:17], s[0:1], 0x48
	s_add_co_i32 s12, s12, s7
	s_wait_kmcnt 0x0
	v_cmp_neq_f64_e64 s5, s[8:9], 0
	v_cmp_neq_f64_e64 s6, s[10:11], 1.0
	v_cmp_eq_f64_e64 s19, s[10:11], 0
	v_cmp_neq_f64_e64 s21, s[10:11], 0
	s_or_b32 s20, s5, s6
	s_cmp_eq_u32 s4, 0
	s_load_b128 s[4:7], s[0:1], 0x28
	s_cselect_b32 s23, ttmp9, s12
	s_add_nc_u64 s[12:13], s[0:1], 0x58
	s_wait_xcnt 0x0
	v_cmp_eq_f64_e64 s1, s[8:9], 0
	v_lshl_or_b32 v2, s23, 6, v0
	s_delay_alu instid0(VALU_DEP_1)
	v_mul_lo_u32 v0, s15, v2
	v_ashrrev_i32_e32 v3, 31, v2
	s_ashr_i32 s15, s14, 31
	v_cmp_gt_i32_e64 s0, s14, v2
	s_cmp_gt_i32 s23, -1
	s_cselect_b32 s22, -1, 0
	s_add_co_i32 s23, s23, 1
	s_lshl_b64 s[14:15], s[14:15], 3
	v_ashrrev_i32_e32 v1, 31, v0
	v_lshl_add_u64 v[2:3], v[2:3], 3, s[16:17]
	s_wait_kmcnt 0x0
	s_lshl_b64 s[6:7], s[6:7], 3
	s_branch .LBB167_4
.LBB167_2:                              ;   in Loop: Header=BB167_4 Depth=1
	s_wait_xcnt 0x0
	s_or_b32 exec_lo, exec_lo, s25
.LBB167_3:                              ;   in Loop: Header=BB167_4 Depth=1
	s_add_co_i32 s2, s2, 0x10000
	s_delay_alu instid0(SALU_CYCLE_1)
	s_cmp_lt_u32 s2, s18
	s_cbranch_scc0 .LBB167_25
.LBB167_4:                              ; =>This Loop Header: Depth=1
                                        ;     Child Loop BB167_16 Depth 2
	s_and_not1_b32 vcc_lo, exec_lo, s20
	s_cbranch_vccnz .LBB167_3
; %bb.5:                                ;   in Loop: Header=BB167_4 Depth=1
	s_lshl_b64 s[16:17], s[2:3], 3
	s_and_not1_b32 vcc_lo, exec_lo, s1
	s_add_nc_u64 s[16:17], s[4:5], s[16:17]
	s_load_b64 s[16:17], s[16:17], 0x0
	s_wait_kmcnt 0x0
	s_wait_xcnt 0x0
	s_add_nc_u64 s[16:17], s[16:17], s[6:7]
	s_cbranch_vccnz .LBB167_9
; %bb.6:                                ;   in Loop: Header=BB167_4 Depth=1
	s_mov_b32 s25, 0
	s_mov_b32 s24, 0
                                        ; implicit-def: $vgpr4_vgpr5
	s_and_saveexec_b32 s26, s0
	s_cbranch_execz .LBB167_10
; %bb.7:                                ;   in Loop: Header=BB167_4 Depth=1
	s_and_not1_b32 vcc_lo, exec_lo, s21
	s_cbranch_vccnz .LBB167_11
; %bb.8:                                ;   in Loop: Header=BB167_4 Depth=1
	v_lshl_add_u64 v[4:5], v[0:1], 3, s[16:17]
	flat_load_b64 v[4:5], v[4:5]
	s_wait_loadcnt_dscnt 0x0
	s_wait_xcnt 0x0
	v_mul_f64_e32 v[4:5], s[10:11], v[4:5]
	s_branch .LBB167_12
.LBB167_9:                              ;   in Loop: Header=BB167_4 Depth=1
	s_mov_b32 s24, 0
                                        ; implicit-def: $vgpr4_vgpr5
	s_cbranch_execnz .LBB167_13
	s_branch .LBB167_23
.LBB167_10:                             ;   in Loop: Header=BB167_4 Depth=1
	s_or_b32 exec_lo, exec_lo, s26
	s_delay_alu instid0(SALU_CYCLE_1)
	s_and_b32 vcc_lo, exec_lo, s25
	s_cbranch_vccnz .LBB167_13
	s_branch .LBB167_23
.LBB167_11:                             ;   in Loop: Header=BB167_4 Depth=1
	v_mov_b64_e32 v[4:5], 0
.LBB167_12:                             ;   in Loop: Header=BB167_4 Depth=1
	s_mov_b32 s24, exec_lo
	s_or_b32 exec_lo, exec_lo, s26
	s_delay_alu instid0(SALU_CYCLE_1)
	s_and_b32 vcc_lo, exec_lo, s25
	s_cbranch_vccz .LBB167_23
.LBB167_13:                             ;   in Loop: Header=BB167_4 Depth=1
                                        ; implicit-def: $vgpr4_vgpr5
	s_and_saveexec_b32 s25, s0
	s_cbranch_execz .LBB167_22
; %bb.14:                               ;   in Loop: Header=BB167_4 Depth=1
	v_mov_b64_e32 v[6:7], 0
	s_and_not1_b32 vcc_lo, exec_lo, s22
	s_cbranch_vccnz .LBB167_17
; %bb.15:                               ;   in Loop: Header=BB167_4 Depth=1
	s_load_b32 s26, s[12:13], 0x0
	s_mov_b32 s27, s3
	v_mov_b64_e32 v[6:7], 0
	s_wait_kmcnt 0x0
	s_mul_u64 s[26:27], s[14:15], s[26:27]
	s_delay_alu instid0(SALU_CYCLE_1) | instskip(SKIP_1) | instid1(VALU_DEP_1)
	v_mad_nc_u64_u32 v[4:5], s26, s2, v[2:3]
	s_mov_b32 s26, s23
	v_mad_u32 v5, s27, s2, v5
.LBB167_16:                             ;   Parent Loop BB167_4 Depth=1
                                        ; =>  This Inner Loop Header: Depth=2
	global_load_b64 v[8:9], v[4:5], off
	s_wait_xcnt 0x0
	v_add_nc_u64_e32 v[4:5], s[14:15], v[4:5]
	s_add_co_i32 s26, s26, -1
	s_delay_alu instid0(SALU_CYCLE_1)
	s_cmp_eq_u32 s26, 0
	s_wait_loadcnt 0x0
	v_add_f64_e32 v[6:7], v[6:7], v[8:9]
	s_cbranch_scc0 .LBB167_16
.LBB167_17:                             ;   in Loop: Header=BB167_4 Depth=1
	s_and_b32 vcc_lo, exec_lo, s19
	s_mov_b32 s26, -1
                                        ; implicit-def: $vgpr4_vgpr5
	s_cbranch_vccz .LBB167_19
; %bb.18:                               ;   in Loop: Header=BB167_4 Depth=1
	s_delay_alu instid0(VALU_DEP_1)
	v_mul_f64_e32 v[4:5], s[8:9], v[6:7]
	s_mov_b32 s26, 0
.LBB167_19:                             ;   in Loop: Header=BB167_4 Depth=1
	s_delay_alu instid0(SALU_CYCLE_1)
	s_and_not1_b32 vcc_lo, exec_lo, s26
	s_cbranch_vccnz .LBB167_21
; %bb.20:                               ;   in Loop: Header=BB167_4 Depth=1
	v_lshl_add_u64 v[4:5], v[0:1], 3, s[16:17]
	flat_load_b64 v[4:5], v[4:5]
	s_wait_loadcnt_dscnt 0x0
	s_wait_xcnt 0x0
	v_mul_f64_e32 v[4:5], s[10:11], v[4:5]
	s_delay_alu instid0(VALU_DEP_1)
	v_fmac_f64_e32 v[4:5], s[8:9], v[6:7]
.LBB167_21:                             ;   in Loop: Header=BB167_4 Depth=1
	s_or_b32 s24, s24, exec_lo
.LBB167_22:                             ;   in Loop: Header=BB167_4 Depth=1
	s_or_b32 exec_lo, exec_lo, s25
.LBB167_23:                             ;   in Loop: Header=BB167_4 Depth=1
	s_and_saveexec_b32 s25, s24
	s_cbranch_execz .LBB167_2
; %bb.24:                               ;   in Loop: Header=BB167_4 Depth=1
	v_lshl_add_u64 v[6:7], v[0:1], 3, s[16:17]
	flat_store_b64 v[6:7], v[4:5]
	s_branch .LBB167_2
.LBB167_25:
	s_endpgm
	.section	.rodata,"a",@progbits
	.p2align	6, 0x0
	.amdhsa_kernel _ZL36rocblas_hemvn_kernel_upper_block_sumILi64EidPKPddEviT1_lS3_lT2_lT0_lPT3_i
		.amdhsa_group_segment_fixed_size 0
		.amdhsa_private_segment_fixed_size 0
		.amdhsa_kernarg_size 344
		.amdhsa_user_sgpr_count 2
		.amdhsa_user_sgpr_dispatch_ptr 0
		.amdhsa_user_sgpr_queue_ptr 0
		.amdhsa_user_sgpr_kernarg_segment_ptr 1
		.amdhsa_user_sgpr_dispatch_id 0
		.amdhsa_user_sgpr_kernarg_preload_length 0
		.amdhsa_user_sgpr_kernarg_preload_offset 0
		.amdhsa_user_sgpr_private_segment_size 0
		.amdhsa_wavefront_size32 1
		.amdhsa_uses_dynamic_stack 0
		.amdhsa_enable_private_segment 0
		.amdhsa_system_sgpr_workgroup_id_x 1
		.amdhsa_system_sgpr_workgroup_id_y 0
		.amdhsa_system_sgpr_workgroup_id_z 1
		.amdhsa_system_sgpr_workgroup_info 0
		.amdhsa_system_vgpr_workitem_id 0
		.amdhsa_next_free_vgpr 10
		.amdhsa_next_free_sgpr 28
		.amdhsa_named_barrier_count 0
		.amdhsa_reserve_vcc 1
		.amdhsa_float_round_mode_32 0
		.amdhsa_float_round_mode_16_64 0
		.amdhsa_float_denorm_mode_32 3
		.amdhsa_float_denorm_mode_16_64 3
		.amdhsa_fp16_overflow 0
		.amdhsa_memory_ordered 1
		.amdhsa_forward_progress 1
		.amdhsa_inst_pref_size 6
		.amdhsa_round_robin_scheduling 0
		.amdhsa_exception_fp_ieee_invalid_op 0
		.amdhsa_exception_fp_denorm_src 0
		.amdhsa_exception_fp_ieee_div_zero 0
		.amdhsa_exception_fp_ieee_overflow 0
		.amdhsa_exception_fp_ieee_underflow 0
		.amdhsa_exception_fp_ieee_inexact 0
		.amdhsa_exception_int_div_zero 0
	.end_amdhsa_kernel
	.section	.text._ZL36rocblas_hemvn_kernel_upper_block_sumILi64EidPKPddEviT1_lS3_lT2_lT0_lPT3_i,"axG",@progbits,_ZL36rocblas_hemvn_kernel_upper_block_sumILi64EidPKPddEviT1_lS3_lT2_lT0_lPT3_i,comdat
.Lfunc_end167:
	.size	_ZL36rocblas_hemvn_kernel_upper_block_sumILi64EidPKPddEviT1_lS3_lT2_lT0_lPT3_i, .Lfunc_end167-_ZL36rocblas_hemvn_kernel_upper_block_sumILi64EidPKPddEviT1_lS3_lT2_lT0_lPT3_i
                                        ; -- End function
	.set _ZL36rocblas_hemvn_kernel_upper_block_sumILi64EidPKPddEviT1_lS3_lT2_lT0_lPT3_i.num_vgpr, 10
	.set _ZL36rocblas_hemvn_kernel_upper_block_sumILi64EidPKPddEviT1_lS3_lT2_lT0_lPT3_i.num_agpr, 0
	.set _ZL36rocblas_hemvn_kernel_upper_block_sumILi64EidPKPddEviT1_lS3_lT2_lT0_lPT3_i.numbered_sgpr, 28
	.set _ZL36rocblas_hemvn_kernel_upper_block_sumILi64EidPKPddEviT1_lS3_lT2_lT0_lPT3_i.num_named_barrier, 0
	.set _ZL36rocblas_hemvn_kernel_upper_block_sumILi64EidPKPddEviT1_lS3_lT2_lT0_lPT3_i.private_seg_size, 0
	.set _ZL36rocblas_hemvn_kernel_upper_block_sumILi64EidPKPddEviT1_lS3_lT2_lT0_lPT3_i.uses_vcc, 1
	.set _ZL36rocblas_hemvn_kernel_upper_block_sumILi64EidPKPddEviT1_lS3_lT2_lT0_lPT3_i.uses_flat_scratch, 0
	.set _ZL36rocblas_hemvn_kernel_upper_block_sumILi64EidPKPddEviT1_lS3_lT2_lT0_lPT3_i.has_dyn_sized_stack, 0
	.set _ZL36rocblas_hemvn_kernel_upper_block_sumILi64EidPKPddEviT1_lS3_lT2_lT0_lPT3_i.has_recursion, 0
	.set _ZL36rocblas_hemvn_kernel_upper_block_sumILi64EidPKPddEviT1_lS3_lT2_lT0_lPT3_i.has_indirect_call, 0
	.section	.AMDGPU.csdata,"",@progbits
; Kernel info:
; codeLenInByte = 712
; TotalNumSgprs: 30
; NumVgprs: 10
; ScratchSize: 0
; MemoryBound: 0
; FloatMode: 240
; IeeeMode: 1
; LDSByteSize: 0 bytes/workgroup (compile time only)
; SGPRBlocks: 0
; VGPRBlocks: 0
; NumSGPRsForWavesPerEU: 30
; NumVGPRsForWavesPerEU: 10
; NamedBarCnt: 0
; Occupancy: 16
; WaveLimiterHint : 1
; COMPUTE_PGM_RSRC2:SCRATCH_EN: 0
; COMPUTE_PGM_RSRC2:USER_SGPR: 2
; COMPUTE_PGM_RSRC2:TRAP_HANDLER: 0
; COMPUTE_PGM_RSRC2:TGID_X_EN: 1
; COMPUTE_PGM_RSRC2:TGID_Y_EN: 0
; COMPUTE_PGM_RSRC2:TGID_Z_EN: 1
; COMPUTE_PGM_RSRC2:TIDIG_COMP_CNT: 0
	.section	.text._ZL50rocblas_symv_kernel_lower_double_buffered_diagonalILi32ELi4E24rocblas_internal_val_ptrIdEPKPKdPKPdEvbiT1_lT2_lllSA_lllS9_lT3_llli,"axG",@progbits,_ZL50rocblas_symv_kernel_lower_double_buffered_diagonalILi32ELi4E24rocblas_internal_val_ptrIdEPKPKdPKPdEvbiT1_lT2_lllSA_lllS9_lT3_llli,comdat
	.globl	_ZL50rocblas_symv_kernel_lower_double_buffered_diagonalILi32ELi4E24rocblas_internal_val_ptrIdEPKPKdPKPdEvbiT1_lT2_lllSA_lllS9_lT3_llli ; -- Begin function _ZL50rocblas_symv_kernel_lower_double_buffered_diagonalILi32ELi4E24rocblas_internal_val_ptrIdEPKPKdPKPdEvbiT1_lT2_lllSA_lllS9_lT3_llli
	.p2align	8
	.type	_ZL50rocblas_symv_kernel_lower_double_buffered_diagonalILi32ELi4E24rocblas_internal_val_ptrIdEPKPKdPKPdEvbiT1_lT2_lllSA_lllS9_lT3_llli,@function
_ZL50rocblas_symv_kernel_lower_double_buffered_diagonalILi32ELi4E24rocblas_internal_val_ptrIdEPKPKdPKPdEvbiT1_lT2_lllSA_lllS9_lT3_llli: ; @_ZL50rocblas_symv_kernel_lower_double_buffered_diagonalILi32ELi4E24rocblas_internal_val_ptrIdEPKPKdPKPdEvbiT1_lT2_lllSA_lllS9_lT3_llli
; %bb.0:
	s_load_b64 s[4:5], s[0:1], 0x4
	s_clause 0x1
	s_load_b256 s[8:15], s[2:3], 0x8
	s_load_b128 s[16:19], s[2:3], 0x58
	v_bfe_u32 v8, v0, 10, 10
	s_load_b32 s33, s[2:3], 0x88
	v_and_b32_e32 v2, 0x3ff, v0
	v_bfe_u32 v0, v0, 20, 10
	s_wait_xcnt 0x0
	s_bfe_u32 s1, ttmp6, 0x40014
	s_lshr_b32 s0, ttmp7, 16
	s_add_co_i32 s1, s1, 1
	s_wait_kmcnt 0x0
	v_mul_u32_u24_e32 v1, s5, v8
	s_lshr_b32 s4, s4, 16
	v_dual_mov_b32 v4, s8 :: v_dual_mov_b32 v5, s9
	s_mul_i32 s4, s4, s5
	s_bfe_u32 s5, ttmp6, 0x40008
	v_mad_u32_u24 v1, s4, v2, v1
	s_mul_i32 s4, s0, s1
	s_getreg_b32 s1, hwreg(HW_REG_IB_STS2, 6, 4)
	s_add_co_i32 s5, s5, s4
	s_cmp_eq_u32 s1, 0
	v_add_lshl_u32 v0, v1, v0, 3
	v_dual_mov_b32 v6, s16 :: v_dual_mov_b32 v7, s17
	s_cselect_b32 s16, s0, s5
	s_mov_b32 s17, 0
	s_delay_alu instid0(VALU_DEP_2)
	v_add_nc_u32_e32 v1, 0x100, v0
	s_cmp_ge_u32 s16, s33
	ds_store_2addr_stride64_b64 v1, v[6:7], v[4:5] offset0:20 offset1:22
	s_cbranch_scc1 .LBB168_48
; %bb.1:
	s_clause 0x5
	s_load_b32 s6, s[2:3], 0x0
	s_load_b64 s[38:39], s[2:3], 0x28
	s_load_b128 s[20:23], s[2:3], 0x38
	s_load_b64 s[4:5], s[2:3], 0x48
	s_load_b64 s[28:29], s[2:3], 0x68
	s_load_b128 s[24:27], s[2:3], 0x70
	v_dual_mov_b32 v3, 0 :: v_dual_add_nc_u32 v20, 0x2d00, v0
	v_dual_lshlrev_b32 v11, 3, v2 :: v_dual_lshlrev_b32 v12, 8, v8
	v_add_nc_u32_e32 v21, 0x2900, v0
	v_sub_co_u32 v13, s40, v2, v8
	s_delay_alu instid0(VALU_DEP_3) | instskip(SKIP_1) | instid1(VALU_DEP_3)
	v_dual_mov_b32 v9, v3 :: v_dual_add_nc_u32 v22, 0x2800, v11
	v_lshl_add_u32 v10, v8, 5, v2
	v_sub_nc_u32_e32 v15, 0, v13
	v_cmp_eq_u32_e64 s0, 0, v8
	v_mul_u32_u24_e32 v16, 0xf8, v2
	v_add_nc_u32_e32 v14, 0x400, v12
	v_lshl_add_u32 v26, v10, 3, 0x2000
	v_or_b32_e32 v27, 0x2000, v11
	v_add_nc_u32_e32 v23, v11, v12
	s_wait_kmcnt 0x0
	v_mul_u64_e32 v[6:7], s[4:5], v[2:3]
	v_mul_u64_e32 v[4:5], s[38:39], v[8:9]
	;; [unrolled: 1-line block ×3, first 2 shown]
	s_bitcmp1_b32 s6, 0
	v_lshlrev_b32_e32 v8, 3, v8
	s_cselect_b32 s2, -1, 0
	s_bfe_u32 s3, ttmp6, 0x4000c
	s_and_b32 s6, ttmp6, 15
	s_add_co_i32 s3, s3, 1
	s_xor_b32 s41, s2, -1
	s_mul_i32 s3, ttmp9, s3
	v_max_i32_e32 v13, v13, v15
	s_add_co_i32 s6, s6, s3
	s_cmp_eq_u32 s1, 0
	s_add_nc_u64 s[2:3], s[38:39], 1
	s_cselect_b32 s1, ttmp9, s6
	v_add_nc_u32_e32 v9, 0x800, v12
	s_lshl_b32 s6, s1, 5
	v_add_nc_u32_e32 v15, 0xc00, v12
	s_ashr_i32 s7, s6, 31
	v_add3_u32 v24, v11, v16, v8
	s_mul_u64 s[26:27], s[26:27], s[6:7]
	s_mul_u64 s[30:31], s[2:3], s[6:7]
	;; [unrolled: 1-line block ×3, first 2 shown]
	v_cmp_gt_u32_e64 s2, 4, v13
	v_cmp_gt_u32_e64 s3, 8, v13
	;; [unrolled: 1-line block ×7, first 2 shown]
	v_add_nc_u32_e32 v13, 0x1c00, v12
	v_add_nc_u32_e32 v25, 0x2800, v8
	;; [unrolled: 1-line block ×5, first 2 shown]
	v_cmp_lt_u32_e64 s1, 15, v2
	v_dual_lshlrev_b32 v2, 3, v2 :: v_dual_add_nc_u32 v29, v11, v9
	v_dual_add_nc_u32 v28, v11, v14 :: v_dual_add_nc_u32 v30, v11, v15
	v_dual_add_nc_u32 v31, v11, v13 :: v_dual_add_nc_u32 v32, v11, v8
	v_add_nc_u32_e32 v33, v11, v16
	v_add_nc_u32_e32 v34, v11, v12
	s_lshl_b64 s[36:37], s[38:39], 2
	s_lshl_b64 s[38:39], s[38:39], 5
	;; [unrolled: 1-line block ×3, first 2 shown]
	s_branch .LBB168_4
.LBB168_2:                              ;   in Loop: Header=BB168_4 Depth=1
	s_wait_xcnt 0x0
	s_or_b32 exec_lo, exec_lo, s9
.LBB168_3:                              ;   in Loop: Header=BB168_4 Depth=1
	s_delay_alu instid0(SALU_CYCLE_1) | instskip(SKIP_1) | instid1(SALU_CYCLE_1)
	s_or_b32 exec_lo, exec_lo, s42
	s_add_co_i32 s16, s16, 0x10000
	s_cmp_lt_u32 s16, s33
	s_cbranch_scc0 .LBB168_48
.LBB168_4:                              ; =>This Inner Loop Header: Depth=1
	s_and_b32 vcc_lo, exec_lo, s41
	s_mov_b32 s9, -1
                                        ; implicit-def: $vgpr8_vgpr9
	s_cbranch_vccnz .LBB168_38
; %bb.5:                                ;   in Loop: Header=BB168_4 Depth=1
	s_and_not1_b32 vcc_lo, exec_lo, s9
	s_cbranch_vccz .LBB168_39
.LBB168_6:                              ;   in Loop: Header=BB168_4 Depth=1
	s_and_b32 vcc_lo, exec_lo, s41
	s_mov_b32 s9, -1
                                        ; implicit-def: $vgpr10_vgpr11
	s_cbranch_vccnz .LBB168_40
.LBB168_7:                              ;   in Loop: Header=BB168_4 Depth=1
	s_and_not1_b32 vcc_lo, exec_lo, s9
	s_cbranch_vccnz .LBB168_9
.LBB168_8:                              ;   in Loop: Header=BB168_4 Depth=1
	s_wait_loadcnt_dscnt 0x0
	s_wait_xcnt 0x0
	ds_load_b64 v[10:11], v21
.LBB168_9:                              ;   in Loop: Header=BB168_4 Depth=1
	s_wait_loadcnt_dscnt 0x0
	v_cmp_neq_f64_e32 vcc_lo, 0, v[8:9]
	v_cmp_neq_f64_e64 s9, 1.0, v[10:11]
	s_or_b32 s9, vcc_lo, s9
	s_wait_xcnt 0x0
	s_and_saveexec_b32 s42, s9
	s_cbranch_execz .LBB168_3
; %bb.10:                               ;   in Loop: Header=BB168_4 Depth=1
	v_cmp_neq_f64_e64 s9, 0, v[8:9]
	v_cmp_eq_f64_e32 vcc_lo, 0, v[8:9]
	v_mov_b64_e32 v[12:13], s[16:17]
	s_and_saveexec_b32 s43, vcc_lo
	s_delay_alu instid0(SALU_CYCLE_1)
	s_xor_b32 s43, exec_lo, s43
; %bb.11:                               ;   in Loop: Header=BB168_4 Depth=1
	v_mov_b64_e32 v[12:13], s[16:17]
; %bb.12:                               ;   in Loop: Header=BB168_4 Depth=1
	s_or_saveexec_b32 s43, s43
	v_mov_b64_e32 v[18:19], 0
	v_mov_b64_e32 v[16:17], 0
	s_xor_b32 exec_lo, exec_lo, s43
	s_cbranch_execz .LBB168_14
; %bb.13:                               ;   in Loop: Header=BB168_4 Depth=1
	s_lshl_b64 s[44:45], s[16:17], 3
	s_delay_alu instid0(SALU_CYCLE_1)
	s_add_nc_u64 s[44:45], s[12:13], s[44:45]
	global_load_b64 v[14:15], v3, s[44:45]
	s_wait_loadcnt 0x0
	v_add_nc_u64_e32 v[16:17], s[14:15], v[14:15]
.LBB168_14:                             ;   in Loop: Header=BB168_4 Depth=1
	s_wait_xcnt 0x0
	s_or_b32 exec_lo, exec_lo, s43
	s_and_saveexec_b32 s43, s9
	s_cbranch_execz .LBB168_16
; %bb.15:                               ;   in Loop: Header=BB168_4 Depth=1
	v_lshl_add_u64 v[14:15], v[12:13], 3, s[20:21]
	global_load_b64 v[14:15], v[14:15], off
	s_wait_loadcnt 0x0
	v_lshl_add_u64 v[18:19], s[22:23], 3, v[14:15]
.LBB168_16:                             ;   in Loop: Header=BB168_4 Depth=1
	s_wait_xcnt 0x0
	s_or_b32 exec_lo, exec_lo, s43
	v_lshl_add_u64 v[12:13], v[12:13], 3, s[28:29]
	global_load_b64 v[12:13], v[12:13], off
	s_wait_loadcnt 0x0
	s_wait_xcnt 0x0
	v_lshl_add_u64 v[12:13], s[24:25], 3, v[12:13]
	s_delay_alu instid0(VALU_DEP_1) | instskip(SKIP_1) | instid1(SALU_CYCLE_1)
	v_lshl_add_u64 v[12:13], s[26:27], 3, v[12:13]
	s_and_saveexec_b32 s9, vcc_lo
	s_xor_b32 s9, exec_lo, s9
	s_cbranch_execz .LBB168_20
; %bb.17:                               ;   in Loop: Header=BB168_4 Depth=1
	s_and_saveexec_b32 s43, s0
	s_cbranch_execz .LBB168_19
; %bb.18:                               ;   in Loop: Header=BB168_4 Depth=1
	v_lshl_add_u64 v[8:9], v[0:1], 3, v[12:13]
	flat_load_b64 v[12:13], v[8:9]
	s_wait_loadcnt_dscnt 0x0
	v_mul_f64_e32 v[10:11], v[10:11], v[12:13]
	flat_store_b64 v[8:9], v[10:11]
.LBB168_19:                             ;   in Loop: Header=BB168_4 Depth=1
	s_wait_xcnt 0x0
	s_or_b32 exec_lo, exec_lo, s43
                                        ; implicit-def: $vgpr8_vgpr9
                                        ; implicit-def: $vgpr10_vgpr11
                                        ; implicit-def: $vgpr12_vgpr13
                                        ; implicit-def: $vgpr16_vgpr17
                                        ; implicit-def: $vgpr18_vgpr19
.LBB168_20:                             ;   in Loop: Header=BB168_4 Depth=1
	s_and_not1_saveexec_b32 s9, s9
	s_cbranch_execz .LBB168_3
; %bb.21:                               ;   in Loop: Header=BB168_4 Depth=1
	v_mov_b64_e32 v[14:15], 0
	s_and_saveexec_b32 s9, s0
	s_cbranch_execz .LBB168_25
; %bb.22:                               ;   in Loop: Header=BB168_4 Depth=1
	v_mov_b64_e32 v[14:15], 0
	s_mov_b32 s43, exec_lo
	v_cmpx_neq_f64_e32 0, v[10:11]
	s_cbranch_execz .LBB168_24
; %bb.23:                               ;   in Loop: Header=BB168_4 Depth=1
	v_lshl_add_u64 v[14:15], v[0:1], 3, v[12:13]
	flat_load_b64 v[14:15], v[14:15]
	s_wait_loadcnt_dscnt 0x0
	v_mul_f64_e32 v[14:15], v[10:11], v[14:15]
.LBB168_24:                             ;   in Loop: Header=BB168_4 Depth=1
	s_or_b32 exec_lo, exec_lo, s43
	v_lshl_add_u64 v[18:19], s[34:35], 3, v[18:19]
	s_delay_alu instid0(VALU_DEP_1)
	v_lshl_add_u64 v[18:19], v[6:7], 3, v[18:19]
	flat_load_b64 v[18:19], v[18:19]
	s_wait_loadcnt_dscnt 0x0
	ds_store_b64 v22, v[18:19]
.LBB168_25:                             ;   in Loop: Header=BB168_4 Depth=1
	s_wait_xcnt 0x0
	s_or_b32 exec_lo, exec_lo, s9
	v_lshl_add_u64 v[16:17], s[30:31], 3, v[16:17]
	s_delay_alu instid0(VALU_DEP_1) | instskip(NEXT) | instid1(VALU_DEP_1)
	v_lshl_add_u64 v[16:17], v[4:5], 3, v[16:17]
	v_add_nc_u64_e32 v[18:19], v[16:17], v[2:3]
	s_delay_alu instid0(VALU_DEP_1) | instskip(NEXT) | instid1(VALU_DEP_1)
	v_lshl_add_u64 v[36:37], s[36:37], 3, v[18:19]
	v_add_nc_u64_e32 v[38:39], s[38:39], v[36:37]
	s_delay_alu instid0(VALU_DEP_1)
	v_add_nc_u64_e32 v[16:17], s[38:39], v[38:39]
	s_clause 0x3
	flat_load_b64 v[40:41], v[18:19]
	flat_load_b64 v[42:43], v[36:37]
	;; [unrolled: 1-line block ×4, first 2 shown]
	s_wait_loadcnt_dscnt 0x303
	ds_store_b64 v23, v[40:41]
	s_wait_loadcnt_dscnt 0x203
	ds_store_b64 v28, v[42:43]
	;; [unrolled: 2-line block ×4, first 2 shown]
	s_wait_xcnt 0x0
	s_and_saveexec_b32 s9, s1
	s_cbranch_execz .LBB168_27
; %bb.26:                               ;   in Loop: Header=BB168_4 Depth=1
	v_add_nc_u64_e32 v[16:17], s[38:39], v[16:17]
	s_delay_alu instid0(VALU_DEP_1) | instskip(NEXT) | instid1(VALU_DEP_1)
	v_lshl_add_u64 v[18:19], s[36:37], 3, v[16:17]
	v_add_nc_u64_e32 v[36:37], s[38:39], v[18:19]
	s_delay_alu instid0(VALU_DEP_1)
	v_add_nc_u64_e32 v[38:39], s[38:39], v[36:37]
	s_clause 0x3
	flat_load_b64 v[40:41], v[16:17]
	flat_load_b64 v[42:43], v[18:19]
	;; [unrolled: 1-line block ×4, first 2 shown]
	s_wait_loadcnt_dscnt 0x202
	ds_store_2addr_stride64_b64 v23, v[40:41], v[42:43] offset0:8 offset1:10
	s_wait_loadcnt_dscnt 0x1
	ds_store_2addr_stride64_b64 v23, v[44:45], v[46:47] offset0:12 offset1:14
.LBB168_27:                             ;   in Loop: Header=BB168_4 Depth=1
	s_wait_xcnt 0x0
	s_or_b32 exec_lo, exec_lo, s9
	s_wait_storecnt_dscnt 0x0
	s_barrier_signal -1
	s_barrier_wait -1
	s_and_saveexec_b32 s9, s40
	s_cbranch_execnz .LBB168_41
; %bb.28:                               ;   in Loop: Header=BB168_4 Depth=1
	s_or_b32 exec_lo, exec_lo, s9
	s_and_saveexec_b32 s9, s2
	s_cbranch_execnz .LBB168_42
.LBB168_29:                             ;   in Loop: Header=BB168_4 Depth=1
	s_or_b32 exec_lo, exec_lo, s9
	s_and_saveexec_b32 s9, s3
	s_cbranch_execnz .LBB168_43
.LBB168_30:                             ;   in Loop: Header=BB168_4 Depth=1
	s_or_b32 exec_lo, exec_lo, s9
	s_and_saveexec_b32 s9, s4
	s_cbranch_execnz .LBB168_44
.LBB168_31:                             ;   in Loop: Header=BB168_4 Depth=1
	s_or_b32 exec_lo, exec_lo, s9
	s_and_saveexec_b32 s9, s5
	s_cbranch_execnz .LBB168_45
.LBB168_32:                             ;   in Loop: Header=BB168_4 Depth=1
	s_or_b32 exec_lo, exec_lo, s9
	s_and_saveexec_b32 s9, s6
	s_cbranch_execnz .LBB168_46
.LBB168_33:                             ;   in Loop: Header=BB168_4 Depth=1
	s_or_b32 exec_lo, exec_lo, s9
	s_and_saveexec_b32 s9, s7
	s_cbranch_execnz .LBB168_47
.LBB168_34:                             ;   in Loop: Header=BB168_4 Depth=1
	s_or_b32 exec_lo, exec_lo, s9
	s_and_saveexec_b32 s9, s8
	s_cbranch_execz .LBB168_36
.LBB168_35:                             ;   in Loop: Header=BB168_4 Depth=1
	ds_load_b64 v[16:17], v24 offset:224
	s_wait_dscnt 0x0
	ds_store_b64 v31, v[16:17]
.LBB168_36:                             ;   in Loop: Header=BB168_4 Depth=1
	s_or_b32 exec_lo, exec_lo, s9
	s_wait_dscnt 0x0
	s_barrier_signal -1
	s_barrier_wait -1
	ds_load_2addr_b64 v[16:19], v25 offset1:4
	ds_load_b64 v[36:37], v23
	ds_load_b64 v[38:39], v28
	;; [unrolled: 1-line block ×4, first 2 shown]
	s_wait_dscnt 0x3
	v_fma_f64 v[36:37], v[36:37], v[16:17], 0
	s_wait_dscnt 0x2
	s_delay_alu instid0(VALU_DEP_1) | instskip(SKIP_3) | instid1(VALU_DEP_1)
	v_fmac_f64_e32 v[36:37], v[38:39], v[18:19]
	ds_load_2addr_b64 v[16:19], v25 offset0:8 offset1:12
	s_wait_dscnt 0x0
	v_fmac_f64_e32 v[36:37], v[40:41], v[16:17]
	v_fmac_f64_e32 v[36:37], v[42:43], v[18:19]
	ds_load_2addr_b64 v[16:19], v25 offset0:16 offset1:20
	ds_load_b64 v[38:39], v32
	ds_load_b64 v[40:41], v33
	;; [unrolled: 1-line block ×4, first 2 shown]
	s_wait_dscnt 0x3
	v_fmac_f64_e32 v[36:37], v[38:39], v[16:17]
	s_wait_dscnt 0x2
	s_delay_alu instid0(VALU_DEP_1) | instskip(SKIP_3) | instid1(VALU_DEP_1)
	v_fmac_f64_e32 v[36:37], v[40:41], v[18:19]
	ds_load_2addr_b64 v[16:19], v25 offset0:24 offset1:28
	s_wait_dscnt 0x0
	v_fmac_f64_e32 v[36:37], v[42:43], v[16:17]
	v_fmac_f64_e32 v[36:37], v[44:45], v[18:19]
	ds_store_b64 v26, v[36:37]
	s_wait_dscnt 0x0
	s_barrier_signal -1
	s_barrier_wait -1
	s_and_saveexec_b32 s9, s0
	s_cbranch_execz .LBB168_2
; %bb.37:                               ;   in Loop: Header=BB168_4 Depth=1
	ds_load_2addr_b64 v[16:19], v27 offset1:32
	v_cmp_neq_f64_e32 vcc_lo, 0, v[10:11]
	v_lshl_add_u64 v[10:11], v[0:1], 3, v[12:13]
	s_wait_dscnt 0x0
	v_add_f64_e32 v[16:17], 0, v[16:17]
	s_delay_alu instid0(VALU_DEP_1) | instskip(SKIP_3) | instid1(VALU_DEP_1)
	v_add_f64_e32 v[36:37], v[16:17], v[18:19]
	ds_load_2addr_b64 v[16:19], v27 offset0:64 offset1:96
	s_wait_dscnt 0x0
	v_add_f64_e32 v[16:17], v[36:37], v[16:17]
	v_add_f64_e32 v[16:17], v[16:17], v[18:19]
	s_delay_alu instid0(VALU_DEP_1) | instskip(SKIP_1) | instid1(VALU_DEP_1)
	v_mul_f64_e32 v[18:19], v[8:9], v[16:17]
	v_fmac_f64_e32 v[14:15], v[8:9], v[16:17]
	v_dual_cndmask_b32 v9, v19, v15 :: v_dual_cndmask_b32 v8, v18, v14
	flat_store_b64 v[10:11], v[8:9]
	s_branch .LBB168_2
.LBB168_38:                             ;   in Loop: Header=BB168_4 Depth=1
	ds_load_b64 v[8:9], v20
	s_mul_u64 s[42:43], s[10:11], s[16:17]
	s_wait_dscnt 0x0
	v_lshl_add_u64 v[8:9], s[42:43], 3, v[8:9]
	flat_load_b64 v[8:9], v[8:9]
	s_cbranch_execnz .LBB168_6
.LBB168_39:                             ;   in Loop: Header=BB168_4 Depth=1
	s_wait_loadcnt_dscnt 0x0
	s_wait_xcnt 0x0
	ds_load_b64 v[8:9], v20
	s_and_b32 vcc_lo, exec_lo, s41
	s_mov_b32 s9, -1
                                        ; implicit-def: $vgpr10_vgpr11
	s_cbranch_vccz .LBB168_7
.LBB168_40:                             ;   in Loop: Header=BB168_4 Depth=1
	ds_load_b64 v[10:11], v21
	s_mul_u64 s[42:43], s[18:19], s[16:17]
	s_wait_dscnt 0x0
	v_lshl_add_u64 v[10:11], s[42:43], 3, v[10:11]
	flat_load_b64 v[10:11], v[10:11]
	s_cbranch_execz .LBB168_8
	s_branch .LBB168_9
.LBB168_41:                             ;   in Loop: Header=BB168_4 Depth=1
	ds_load_b64 v[16:17], v24
	s_wait_dscnt 0x0
	ds_store_b64 v23, v[16:17]
	s_or_b32 exec_lo, exec_lo, s9
	s_and_saveexec_b32 s9, s2
	s_cbranch_execz .LBB168_29
.LBB168_42:                             ;   in Loop: Header=BB168_4 Depth=1
	ds_load_b64 v[16:17], v24 offset:32
	s_wait_dscnt 0x0
	ds_store_b64 v28, v[16:17]
	s_or_b32 exec_lo, exec_lo, s9
	s_and_saveexec_b32 s9, s3
	s_cbranch_execz .LBB168_30
.LBB168_43:                             ;   in Loop: Header=BB168_4 Depth=1
	ds_load_b64 v[16:17], v24 offset:64
	s_wait_dscnt 0x0
	ds_store_b64 v29, v[16:17]
	s_or_b32 exec_lo, exec_lo, s9
	s_and_saveexec_b32 s9, s4
	s_cbranch_execz .LBB168_31
.LBB168_44:                             ;   in Loop: Header=BB168_4 Depth=1
	ds_load_b64 v[16:17], v24 offset:96
	s_wait_dscnt 0x0
	ds_store_b64 v30, v[16:17]
	s_or_b32 exec_lo, exec_lo, s9
	s_and_saveexec_b32 s9, s5
	s_cbranch_execz .LBB168_32
.LBB168_45:                             ;   in Loop: Header=BB168_4 Depth=1
	ds_load_b64 v[16:17], v24 offset:128
	s_wait_dscnt 0x0
	ds_store_b64 v23, v[16:17] offset:4096
	s_or_b32 exec_lo, exec_lo, s9
	s_and_saveexec_b32 s9, s6
	s_cbranch_execz .LBB168_33
.LBB168_46:                             ;   in Loop: Header=BB168_4 Depth=1
	ds_load_b64 v[16:17], v24 offset:160
	s_wait_dscnt 0x0
	ds_store_b64 v23, v[16:17] offset:5120
	s_or_b32 exec_lo, exec_lo, s9
	s_and_saveexec_b32 s9, s7
	s_cbranch_execz .LBB168_34
.LBB168_47:                             ;   in Loop: Header=BB168_4 Depth=1
	ds_load_b64 v[16:17], v24 offset:192
	s_wait_dscnt 0x0
	ds_store_b64 v23, v[16:17] offset:6144
	s_or_b32 exec_lo, exec_lo, s9
	s_and_saveexec_b32 s9, s8
	s_cbranch_execnz .LBB168_35
	s_branch .LBB168_36
.LBB168_48:
	s_endpgm
	.section	.rodata,"a",@progbits
	.p2align	6, 0x0
	.amdhsa_kernel _ZL50rocblas_symv_kernel_lower_double_buffered_diagonalILi32ELi4E24rocblas_internal_val_ptrIdEPKPKdPKPdEvbiT1_lT2_lllSA_lllS9_lT3_llli
		.amdhsa_group_segment_fixed_size 12544
		.amdhsa_private_segment_fixed_size 0
		.amdhsa_kernarg_size 140
		.amdhsa_user_sgpr_count 4
		.amdhsa_user_sgpr_dispatch_ptr 1
		.amdhsa_user_sgpr_queue_ptr 0
		.amdhsa_user_sgpr_kernarg_segment_ptr 1
		.amdhsa_user_sgpr_dispatch_id 0
		.amdhsa_user_sgpr_kernarg_preload_length 0
		.amdhsa_user_sgpr_kernarg_preload_offset 0
		.amdhsa_user_sgpr_private_segment_size 0
		.amdhsa_wavefront_size32 1
		.amdhsa_uses_dynamic_stack 0
		.amdhsa_enable_private_segment 0
		.amdhsa_system_sgpr_workgroup_id_x 1
		.amdhsa_system_sgpr_workgroup_id_y 0
		.amdhsa_system_sgpr_workgroup_id_z 1
		.amdhsa_system_sgpr_workgroup_info 0
		.amdhsa_system_vgpr_workitem_id 2
		.amdhsa_next_free_vgpr 48
		.amdhsa_next_free_sgpr 46
		.amdhsa_named_barrier_count 0
		.amdhsa_reserve_vcc 1
		.amdhsa_float_round_mode_32 0
		.amdhsa_float_round_mode_16_64 0
		.amdhsa_float_denorm_mode_32 3
		.amdhsa_float_denorm_mode_16_64 3
		.amdhsa_fp16_overflow 0
		.amdhsa_memory_ordered 1
		.amdhsa_forward_progress 1
		.amdhsa_inst_pref_size 17
		.amdhsa_round_robin_scheduling 0
		.amdhsa_exception_fp_ieee_invalid_op 0
		.amdhsa_exception_fp_denorm_src 0
		.amdhsa_exception_fp_ieee_div_zero 0
		.amdhsa_exception_fp_ieee_overflow 0
		.amdhsa_exception_fp_ieee_underflow 0
		.amdhsa_exception_fp_ieee_inexact 0
		.amdhsa_exception_int_div_zero 0
	.end_amdhsa_kernel
	.section	.text._ZL50rocblas_symv_kernel_lower_double_buffered_diagonalILi32ELi4E24rocblas_internal_val_ptrIdEPKPKdPKPdEvbiT1_lT2_lllSA_lllS9_lT3_llli,"axG",@progbits,_ZL50rocblas_symv_kernel_lower_double_buffered_diagonalILi32ELi4E24rocblas_internal_val_ptrIdEPKPKdPKPdEvbiT1_lT2_lllSA_lllS9_lT3_llli,comdat
.Lfunc_end168:
	.size	_ZL50rocblas_symv_kernel_lower_double_buffered_diagonalILi32ELi4E24rocblas_internal_val_ptrIdEPKPKdPKPdEvbiT1_lT2_lllSA_lllS9_lT3_llli, .Lfunc_end168-_ZL50rocblas_symv_kernel_lower_double_buffered_diagonalILi32ELi4E24rocblas_internal_val_ptrIdEPKPKdPKPdEvbiT1_lT2_lllSA_lllS9_lT3_llli
                                        ; -- End function
	.set _ZL50rocblas_symv_kernel_lower_double_buffered_diagonalILi32ELi4E24rocblas_internal_val_ptrIdEPKPKdPKPdEvbiT1_lT2_lllSA_lllS9_lT3_llli.num_vgpr, 48
	.set _ZL50rocblas_symv_kernel_lower_double_buffered_diagonalILi32ELi4E24rocblas_internal_val_ptrIdEPKPKdPKPdEvbiT1_lT2_lllSA_lllS9_lT3_llli.num_agpr, 0
	.set _ZL50rocblas_symv_kernel_lower_double_buffered_diagonalILi32ELi4E24rocblas_internal_val_ptrIdEPKPKdPKPdEvbiT1_lT2_lllSA_lllS9_lT3_llli.numbered_sgpr, 46
	.set _ZL50rocblas_symv_kernel_lower_double_buffered_diagonalILi32ELi4E24rocblas_internal_val_ptrIdEPKPKdPKPdEvbiT1_lT2_lllSA_lllS9_lT3_llli.num_named_barrier, 0
	.set _ZL50rocblas_symv_kernel_lower_double_buffered_diagonalILi32ELi4E24rocblas_internal_val_ptrIdEPKPKdPKPdEvbiT1_lT2_lllSA_lllS9_lT3_llli.private_seg_size, 0
	.set _ZL50rocblas_symv_kernel_lower_double_buffered_diagonalILi32ELi4E24rocblas_internal_val_ptrIdEPKPKdPKPdEvbiT1_lT2_lllSA_lllS9_lT3_llli.uses_vcc, 1
	.set _ZL50rocblas_symv_kernel_lower_double_buffered_diagonalILi32ELi4E24rocblas_internal_val_ptrIdEPKPKdPKPdEvbiT1_lT2_lllSA_lllS9_lT3_llli.uses_flat_scratch, 1
	.set _ZL50rocblas_symv_kernel_lower_double_buffered_diagonalILi32ELi4E24rocblas_internal_val_ptrIdEPKPKdPKPdEvbiT1_lT2_lllSA_lllS9_lT3_llli.has_dyn_sized_stack, 0
	.set _ZL50rocblas_symv_kernel_lower_double_buffered_diagonalILi32ELi4E24rocblas_internal_val_ptrIdEPKPKdPKPdEvbiT1_lT2_lllSA_lllS9_lT3_llli.has_recursion, 0
	.set _ZL50rocblas_symv_kernel_lower_double_buffered_diagonalILi32ELi4E24rocblas_internal_val_ptrIdEPKPKdPKPdEvbiT1_lT2_lllSA_lllS9_lT3_llli.has_indirect_call, 0
	.section	.AMDGPU.csdata,"",@progbits
; Kernel info:
; codeLenInByte = 2172
; TotalNumSgprs: 48
; NumVgprs: 48
; ScratchSize: 0
; MemoryBound: 0
; FloatMode: 240
; IeeeMode: 1
; LDSByteSize: 12544 bytes/workgroup (compile time only)
; SGPRBlocks: 0
; VGPRBlocks: 2
; NumSGPRsForWavesPerEU: 48
; NumVGPRsForWavesPerEU: 48
; NamedBarCnt: 0
; Occupancy: 16
; WaveLimiterHint : 1
; COMPUTE_PGM_RSRC2:SCRATCH_EN: 0
; COMPUTE_PGM_RSRC2:USER_SGPR: 4
; COMPUTE_PGM_RSRC2:TRAP_HANDLER: 0
; COMPUTE_PGM_RSRC2:TGID_X_EN: 1
; COMPUTE_PGM_RSRC2:TGID_Y_EN: 0
; COMPUTE_PGM_RSRC2:TGID_Z_EN: 1
; COMPUTE_PGM_RSRC2:TIDIG_COMP_CNT: 2
	.section	.text._ZL54rocblas_symv_kernel_lower_double_buffered_non_diagonalILi32ELi4ELi4E24rocblas_internal_val_ptrIdEPKPKdPKPdEvbiT2_lT3_lllSA_lllT4_llli,"axG",@progbits,_ZL54rocblas_symv_kernel_lower_double_buffered_non_diagonalILi32ELi4ELi4E24rocblas_internal_val_ptrIdEPKPKdPKPdEvbiT2_lT3_lllSA_lllT4_llli,comdat
	.globl	_ZL54rocblas_symv_kernel_lower_double_buffered_non_diagonalILi32ELi4ELi4E24rocblas_internal_val_ptrIdEPKPKdPKPdEvbiT2_lT3_lllSA_lllT4_llli ; -- Begin function _ZL54rocblas_symv_kernel_lower_double_buffered_non_diagonalILi32ELi4ELi4E24rocblas_internal_val_ptrIdEPKPKdPKPdEvbiT2_lT3_lllSA_lllT4_llli
	.p2align	8
	.type	_ZL54rocblas_symv_kernel_lower_double_buffered_non_diagonalILi32ELi4ELi4E24rocblas_internal_val_ptrIdEPKPKdPKPdEvbiT2_lT3_lllSA_lllT4_llli,@function
_ZL54rocblas_symv_kernel_lower_double_buffered_non_diagonalILi32ELi4ELi4E24rocblas_internal_val_ptrIdEPKPKdPKPdEvbiT2_lT3_lllSA_lllT4_llli: ; @_ZL54rocblas_symv_kernel_lower_double_buffered_non_diagonalILi32ELi4ELi4E24rocblas_internal_val_ptrIdEPKPKdPKPdEvbiT2_lT3_lllSA_lllT4_llli
; %bb.0:
	s_load_b64 s[12:13], s[0:1], 0x4
	s_load_b256 s[4:11], s[2:3], 0x8
	v_bfe_u32 v2, v0, 10, 10
	s_wait_xcnt 0x0
	s_load_b32 s1, s[2:3], 0x78
	v_and_b32_e32 v10, 0x3ff, v0
	s_bfe_u32 s0, ttmp6, 0x40014
	s_lshr_b32 s14, ttmp7, 16
	s_add_co_i32 s0, s0, 1
	v_bfe_u32 v0, v0, 20, 10
	s_wait_kmcnt 0x0
	v_mul_u32_u24_e32 v1, s13, v2
	s_lshr_b32 s12, s12, 16
	v_dual_mov_b32 v4, s4 :: v_dual_mov_b32 v5, s5
	s_mul_i32 s12, s12, s13
	s_mul_i32 s4, s14, s0
	v_mad_u32_u24 v1, s12, v10, v1
	s_bfe_u32 s5, ttmp6, 0x40008
	s_getreg_b32 s0, hwreg(HW_REG_IB_STS2, 6, 4)
	s_add_co_i32 s5, s5, s4
	s_cmp_eq_u32 s0, 0
	v_add_lshl_u32 v0, v1, v0, 3
	s_cselect_b32 s4, s14, s5
	s_mov_b32 s5, 0
	s_cmp_ge_u32 s4, s1
	ds_store_b64 v0, v[4:5] offset:6400
	s_cbranch_scc1 .LBB169_29
; %bb.1:
	s_clause 0x1
	s_load_b32 s26, s[2:3], 0x0
	s_load_b64 s[20:21], s[2:3], 0x28
	v_dual_mov_b32 v11, 0 :: v_dual_add_nc_u32 v68, 0x1900, v0
	v_lshl_add_u32 v0, v2, 5, v10
	v_dual_add_nc_u32 v13, 1, v10 :: v_dual_bitop2_b32 v4, 15, v10 bitop3:0x40
	v_dual_add_nc_u32 v15, 2, v10 :: v_dual_lshlrev_b32 v8, 3, v10
	s_delay_alu instid0(VALU_DEP_3) | instskip(NEXT) | instid1(VALU_DEP_3)
	v_dual_mov_b32 v5, v11 :: v_dual_lshrrev_b32 v12, 4, v0
	v_dual_lshlrev_b32 v20, 7, v10 :: v_dual_bitop2_b32 v13, 15, v13 bitop3:0x40
	v_dual_mov_b32 v7, v11 :: v_dual_add_nc_u32 v16, 3, v10
	s_delay_alu instid0(VALU_DEP_3) | instskip(SKIP_1) | instid1(VALU_DEP_4)
	v_dual_lshlrev_b32 v6, 2, v12 :: v_dual_lshlrev_b32 v24, 9, v12
	v_dual_add_nc_u32 v17, 4, v10 :: v_dual_bitop2_b32 v15, 15, v15 bitop3:0x40
	v_lshl_or_b32 v75, v13, 3, v20
	v_add_nc_u32_e32 v13, 5, v10
	s_wait_kmcnt 0x0
	v_mad_nc_u64_u32 v[0:1], s20, v6, v[4:5]
	s_clause 0x3
	s_load_b128 s[12:15], s[2:3], 0x38
	s_load_b64 s[22:23], s[2:3], 0x48
	s_load_b64 s[24:25], s[2:3], 0x58
	s_load_b128 s[16:19], s[2:3], 0x60
	v_lshlrev_b32_e32 v22, 3, v4
	v_lshl_or_b32 v76, v15, 3, v20
	v_and_b32_e32 v15, 15, v16
	v_dual_add_nc_u32 v17, 6, v10 :: v_dual_bitop2_b32 v16, 15, v17 bitop3:0x40
	v_dual_add_nc_u32 v18, 7, v10 :: v_dual_bitop2_b32 v13, 15, v13 bitop3:0x40
	s_bitcmp1_b32 s26, 0
	v_mad_u32 v1, s21, v6, v1
	s_cselect_b32 s26, -1, 0
	s_bfe_u32 s28, ttmp6, 0x40010
	s_bfe_u32 s31, ttmp6, 0x4000c
	v_or_b32_e32 v6, 16, v4
	v_or_b32_e32 v74, v20, v22
	v_lshl_or_b32 v78, v16, 3, v20
	v_dual_mov_b32 v23, v11 :: v_dual_bitop2_b32 v16, 15, v18 bitop3:0x40
	v_lshl_or_b32 v79, v13, 3, v20
	v_mov_b32_e32 v13, v11
	s_and_b32 s27, ttmp7, 0xffff
	s_add_co_i32 s28, s28, 1
	s_add_co_i32 s31, s31, 1
	s_bfe_u32 s29, ttmp6, 0x40004
	s_and_b32 s30, ttmp6, 15
	s_xor_b32 s33, s26, -1
	s_mul_i32 s26, s27, s28
	s_mul_i32 s28, ttmp9, s31
	s_add_co_i32 s29, s29, s26
	s_add_co_i32 s30, s30, s28
	v_lshl_or_b32 v77, v15, 3, v20
	v_dual_add_nc_u32 v18, 9, v10 :: v_dual_bitop2_b32 v15, 15, v17 bitop3:0x40
	v_lshl_or_b32 v81, v16, 3, v20
	v_mul_u64_e32 v[16:17], s[20:21], v[12:13]
	s_cmp_eq_u32 s0, 0
	v_dual_lshlrev_b32 v14, 5, v12 :: v_dual_lshlrev_b32 v72, 8, v12
	s_cselect_b32 s54, ttmp9, s30
	s_cselect_b32 s55, s27, s29
	s_lshl_b32 s30, s54, 5
	s_add_nc_u64 s[26:27], s[20:21], 1
	s_ashr_i32 s31, s30, 31
	v_lshl_or_b32 v80, v15, 3, v20
	s_mul_u64 s[40:41], s[26:27], s[30:31]
	s_wait_kmcnt 0x0
	s_mul_u64 s[36:37], s[22:23], s[30:31]
	s_mul_u64 s[38:39], s[18:19], s[30:31]
	v_bitop3_b32 v15, v10, 8, 15 bitop3:0x6c
	v_add_nc_u32_e32 v13, 10, v10
	s_lshl_b64 s[30:31], s[30:31], 3
	v_and_b32_e32 v12, 15, v18
	v_dual_add_nc_u32 v18, 11, v10 :: v_dual_add_nc_u32 v19, 12, v10
	v_cmp_eq_u32_e64 s0, 0, v2
	v_mul_u64_e32 v[2:3], s[22:23], v[10:11]
	v_add_nc_u32_e32 v69, 0x1800, v8
	v_mul_u64_e32 v[4:5], s[22:23], v[4:5]
	v_mul_u64_e32 v[6:7], s[22:23], v[6:7]
	v_add_nc_u32_e32 v73, 0x1000, v8
	v_mul_u64_e32 v[8:9], s[18:19], v[10:11]
	v_lshl_or_b32 v82, v15, 3, v20
	v_dual_add_nc_u32 v19, 14, v10 :: v_dual_bitop2_b32 v15, 15, v19 bitop3:0x40
	v_or_b32_e32 v25, 16, v14
	v_or_b32_e32 v26, 24, v14
	v_or_b32_e32 v27, 8, v14
	v_add_nc_u32_e32 v71, 0x1800, v14
	v_dual_mov_b32 v19, s31 :: v_dual_bitop2_b32 v21, 15, v19 bitop3:0x40
	v_lshl_or_b32 v83, v12, 3, v20
	v_and_b32_e32 v12, 15, v13
	v_dual_add_nc_u32 v90, v22, v24 :: v_dual_bitop2_b32 v13, 15, v18 bitop3:0x40
	v_dual_add_nc_u32 v18, 13, v10 :: v_dual_add_nc_u32 v10, -1, v10
	s_delay_alu instid0(VALU_DEP_3) | instskip(NEXT) | instid1(VALU_DEP_3)
	v_lshl_or_b32 v84, v12, 3, v20
	v_lshl_or_b32 v85, v13, 3, v20
	;; [unrolled: 1-line block ×3, first 2 shown]
	v_mad_nc_u64_u32 v[12:13], s20, v26, v[22:23]
	v_and_b32_e32 v28, 15, v10
	v_mad_nc_u64_u32 v[10:11], s20, v25, v[22:23]
	v_mad_nc_u64_u32 v[14:15], s20, v27, v[22:23]
	v_and_b32_e32 v18, 15, v18
	v_lshl_or_b32 v88, v21, 3, v20
	v_lshl_or_b32 v89, v28, 3, v20
	v_or_b32_e32 v70, 0x1000, v22
	s_add_nc_u64 s[2:3], s[2:3], 0x80
	v_lshl_or_b32 v87, v18, 3, v20
	v_lshlrev_b64_e32 v[20:21], 5, v[16:17]
	v_or_b32_e32 v18, s30, v22
	v_mad_u32 v13, s21, v26, v13
	v_mad_u32 v11, s21, v25, v11
	;; [unrolled: 1-line block ×3, first 2 shown]
	s_not_b32 s56, s54
	v_add_nc_u64_e32 v[16:17], 0x180, v[18:19]
	v_add_nc_u64_e32 v[18:19], 0x100, v[18:19]
	;; [unrolled: 1-line block ×3, first 2 shown]
	s_lshl_b32 s57, s55, 5
	s_lshl_b64 s[26:27], s[22:23], 8
	s_lshl_b64 s[28:29], s[18:19], 8
	;; [unrolled: 1-line block ×9, first 2 shown]
	s_branch .LBB169_3
.LBB169_2:                              ;   in Loop: Header=BB169_3 Depth=1
	s_wait_xcnt 0x0
	s_or_b32 exec_lo, exec_lo, s58
	s_add_co_i32 s4, s4, 0x10000
	s_delay_alu instid0(SALU_CYCLE_1)
	s_cmp_lt_u32 s4, s1
	s_cbranch_scc0 .LBB169_29
.LBB169_3:                              ; =>This Loop Header: Depth=1
                                        ;     Child Loop BB169_17 Depth 2
	s_and_b32 vcc_lo, exec_lo, s33
	s_mov_b32 s42, -1
                                        ; implicit-def: $vgpr22_vgpr23
	s_cbranch_vccz .LBB169_5
; %bb.4:                                ;   in Loop: Header=BB169_3 Depth=1
	ds_load_b64 v[22:23], v68
	s_mul_u64 s[42:43], s[6:7], s[4:5]
	s_wait_dscnt 0x0
	v_lshl_add_u64 v[22:23], s[42:43], 3, v[22:23]
	s_mov_b32 s42, 0
	flat_load_b64 v[22:23], v[22:23]
.LBB169_5:                              ;   in Loop: Header=BB169_3 Depth=1
	s_and_not1_b32 vcc_lo, exec_lo, s42
	s_cbranch_vccnz .LBB169_7
; %bb.6:                                ;   in Loop: Header=BB169_3 Depth=1
	s_wait_loadcnt_dscnt 0x0
	s_wait_xcnt 0x0
	ds_load_b64 v[22:23], v68
.LBB169_7:                              ;   in Loop: Header=BB169_3 Depth=1
	s_mov_b32 s58, exec_lo
	s_wait_loadcnt_dscnt 0x0
	s_wait_xcnt 0x0
	v_cmpx_neq_f64_e32 0, v[22:23]
	s_cbranch_execz .LBB169_2
; %bb.8:                                ;   in Loop: Header=BB169_3 Depth=1
	s_load_b64 s[42:43], s[2:3], 0x0
	s_wait_kmcnt 0x0
	s_add_co_i32 s44, s42, -1
	s_delay_alu instid0(SALU_CYCLE_1)
	s_cmp_eq_u32 s54, s44
	s_cbranch_scc1 .LBB169_2
; %bb.9:                                ;   in Loop: Header=BB169_3 Depth=1
	v_mov_b32_e32 v28, s4
	s_clause 0x1
	global_load_b64 v[26:27], v28, s[12:13] scale_offset
	global_load_b64 v[24:25], v28, s[8:9] scale_offset
	s_wait_loadcnt 0x1
	v_readfirstlane_b32 s44, v26
	v_readfirstlane_b32 s45, v27
	s_add_nc_u64 s[44:45], s[44:45], s[14:15]
	s_delay_alu instid0(SALU_CYCLE_1)
	s_add_nc_u64 s[46:47], s[44:45], s[36:37]
	s_wait_xcnt 0x0
	s_and_saveexec_b32 s48, s0
	s_cbranch_execz .LBB169_11
; %bb.10:                               ;   in Loop: Header=BB169_3 Depth=1
	v_lshl_add_u64 v[26:27], v[2:3], 3, s[46:47]
	flat_load_b64 v[26:27], v[26:27]
	s_wait_loadcnt_dscnt 0x0
	ds_store_b64 v69, v[26:27]
.LBB169_11:                             ;   in Loop: Header=BB169_3 Depth=1
	s_wait_xcnt 0x0
	s_or_b32 exec_lo, exec_lo, s48
	s_cvt_f32_u32 s48, s43
	s_sub_co_i32 s49, 0, s43
	s_add_co_i32 s42, s42, s56
	s_delay_alu instid0(SALU_CYCLE_1) | instskip(SKIP_1) | instid1(TRANS32_DEP_1)
	v_rcp_iflag_f32_e32 v26, s48
	v_nop
	v_readfirstlane_b32 s48, v26
	s_mul_f32 s48, s48, 0x4f7ffffe
	s_delay_alu instid0(SALU_CYCLE_3) | instskip(NEXT) | instid1(SALU_CYCLE_3)
	s_cvt_u32_f32 s48, s48
	s_mul_i32 s49, s49, s48
	s_delay_alu instid0(SALU_CYCLE_1) | instskip(NEXT) | instid1(SALU_CYCLE_1)
	s_mul_hi_u32 s49, s48, s49
	s_add_co_i32 s50, s48, s49
	s_load_b64 s[48:49], s[24:25], s4 offset:0x0 scale_offset
	s_mul_hi_u32 s50, s42, s50
	s_delay_alu instid0(SALU_CYCLE_1) | instskip(SKIP_2) | instid1(SALU_CYCLE_1)
	s_mul_i32 s51, s50, s43
	s_add_co_i32 s52, s50, 1
	s_sub_co_i32 s51, s42, s51
	s_sub_co_i32 s53, s51, s43
	s_cmp_ge_u32 s51, s43
	s_cselect_b32 s50, s52, s50
	s_cselect_b32 s51, s53, s51
	s_add_co_i32 s52, s50, 1
	s_cmp_ge_u32 s51, s43
	s_cselect_b32 s50, s52, s50
	s_add_co_i32 s51, s43, -1
	s_mov_b32 s59, s50
	s_cmp_lg_u32 s55, s51
	s_cbranch_scc1 .LBB169_13
; %bb.12:                               ;   in Loop: Header=BB169_3 Depth=1
	s_mul_i32 s43, s50, s43
	s_delay_alu instid0(SALU_CYCLE_1) | instskip(NEXT) | instid1(SALU_CYCLE_1)
	s_sub_co_i32 s42, s42, s43
	s_add_co_i32 s59, s42, s50
.LBB169_13:                             ;   in Loop: Header=BB169_3 Depth=1
	s_delay_alu instid0(SALU_CYCLE_1)
	s_cmp_eq_u32 s59, 0
	s_cbranch_scc1 .LBB169_2
; %bb.14:                               ;   in Loop: Header=BB169_3 Depth=1
	s_wait_kmcnt 0x0
	s_add_nc_u64 s[42:43], s[48:49], s[16:17]
	s_cmp_lt_i32 s59, 1
	s_add_nc_u64 s[42:43], s[42:43], s[38:39]
	s_wait_loadcnt_dscnt 0x0
	s_barrier_signal -1
	s_barrier_wait -1
	s_cbranch_scc1 .LBB169_21
; %bb.15:                               ;   in Loop: Header=BB169_3 Depth=1
	v_add_nc_u64_e32 v[24:25], s[10:11], v[24:25]
	s_mul_i32 s50, s57, s50
	s_delay_alu instid0(SALU_CYCLE_1) | instskip(NEXT) | instid1(SALU_CYCLE_1)
	s_ashr_i32 s51, s50, 31
	s_lshl_b64 s[48:49], s[50:51], 3
	s_mul_u64 s[52:53], s[18:19], s[50:51]
	s_delay_alu instid0(VALU_DEP_1) | instskip(SKIP_3) | instid1(VALU_DEP_1)
	v_add_nc_u64_e32 v[24:25], s[40:41], v[24:25]
	s_lshl_b64 s[52:53], s[52:53], 3
	s_cmp_eq_u32 s59, 1
	s_add_nc_u64 s[52:53], s[42:43], s[52:53]
	v_add_nc_u64_e32 v[42:43], s[48:49], v[24:25]
	s_delay_alu instid0(VALU_DEP_1) | instskip(NEXT) | instid1(VALU_DEP_1)
	v_lshl_add_u64 v[24:25], v[0:1], 3, v[42:43]
	v_lshl_add_u64 v[26:27], s[20:21], 3, v[24:25]
	s_delay_alu instid0(VALU_DEP_1) | instskip(NEXT) | instid1(VALU_DEP_1)
	v_add_nc_u64_e32 v[28:29], s[34:35], v[26:27]
	v_add_nc_u64_e32 v[30:31], s[34:35], v[28:29]
	s_clause 0x3
	flat_load_b64 v[40:41], v[24:25] offset:256
	flat_load_b64 v[38:39], v[26:27] offset:256
	;; [unrolled: 1-line block ×4, first 2 shown]
	s_cbranch_scc1 .LBB169_22
; %bb.16:                               ;   in Loop: Header=BB169_3 Depth=1
	s_wait_xcnt 0x3
	v_add_nc_u64_e32 v[24:25], s[48:49], v[16:17]
	s_wait_xcnt 0x2
	v_add_nc_u64_e32 v[26:27], s[48:49], v[18:19]
	s_wait_xcnt 0x0
	v_mov_b64_e32 v[30:31], 0
	v_mov_b64_e32 v[28:29], 0
	;; [unrolled: 1-line block ×3, first 2 shown]
	s_add_nc_u64 s[46:47], s[30:31], s[48:49]
	s_add_co_i32 s48, s59, -1
	v_mul_u64_e32 v[44:45], s[22:23], v[24:25]
	v_mul_u64_e32 v[46:47], s[22:23], v[26:27]
	v_mov_b64_e32 v[26:27], 0
	v_mov_b64_e32 v[24:25], 0
	s_mul_u64 s[46:47], s[22:23], s[46:47]
.LBB169_17:                             ;   Parent Loop BB169_3 Depth=1
                                        ; =>  This Inner Loop Header: Depth=2
	v_add_nc_u64_e32 v[58:59], v[42:43], v[20:21]
	v_add_nc_u64_e32 v[48:49], v[42:43], v[14:15]
	;; [unrolled: 1-line block ×6, first 2 shown]
	v_add_nc_u32_e32 v91, v70, v72
	s_clause 0x3
	flat_load_b64 v[50:51], v[58:59] offset:384
	flat_load_b64 v[54:55], v[62:63] offset:384
	;; [unrolled: 1-line block ×4, first 2 shown]
	s_clause 0x1
	flat_load_b64 v[66:67], v[64:65]
	flat_load_b64 v[64:65], v[92:93]
	s_clause 0x3
	flat_load_b64 v[48:49], v[48:49] offset:512
	flat_load_b64 v[58:59], v[58:59] offset:512
	;; [unrolled: 1-line block ×4, first 2 shown]
	s_wait_xcnt 0x4
	ds_load_b128 v[92:95], v71
	ds_load_b128 v[96:99], v71 offset:16
	s_wait_loadcnt_dscnt 0x0
	s_barrier_signal -1
	s_barrier_wait -1
	v_fma_f64 v[100:101], v[40:41], v[92:93], 0
	s_delay_alu instid0(VALU_DEP_1) | instskip(NEXT) | instid1(VALU_DEP_1)
	v_fmac_f64_e32 v[100:101], v[38:39], v[94:95]
	v_fmac_f64_e32 v[100:101], v[34:35], v[96:97]
	s_delay_alu instid0(VALU_DEP_1) | instskip(SKIP_1) | instid1(VALU_DEP_1)
	v_fmac_f64_e32 v[100:101], v[32:33], v[98:99]
	v_fma_f64 v[92:93], v[50:51], v[92:93], 0
	v_fmac_f64_e32 v[92:93], v[52:53], v[94:95]
	s_delay_alu instid0(VALU_DEP_1) | instskip(NEXT) | instid1(VALU_DEP_1)
	v_fmac_f64_e32 v[92:93], v[54:55], v[96:97]
	v_fmac_f64_e32 v[92:93], v[56:57], v[98:99]
	ds_store_2addr_b64 v91, v[100:101], v[92:93] offset1:16
	s_wait_dscnt 0x0
	s_barrier_signal -1
	s_barrier_wait -1
	s_wait_xcnt 0x0
	s_and_saveexec_b32 s49, s0
	s_cbranch_execz .LBB169_19
; %bb.18:                               ;   in Loop: Header=BB169_17 Depth=2
	ds_load_2addr_b64 v[92:95], v73 offset1:32
	v_add_nc_u64_e32 v[36:37], s[28:29], v[36:37]
	s_wait_dscnt 0x0
	v_add_f64_e32 v[92:93], 0, v[92:93]
	s_delay_alu instid0(VALU_DEP_1) | instskip(SKIP_3) | instid1(VALU_DEP_1)
	v_add_f64_e32 v[96:97], v[92:93], v[94:95]
	ds_load_2addr_b64 v[92:95], v73 offset0:64 offset1:96
	s_wait_dscnt 0x0
	v_add_f64_e32 v[92:93], v[96:97], v[92:93]
	v_add_f64_e32 v[96:97], v[92:93], v[94:95]
	ds_load_2addr_b64 v[92:95], v73 offset0:128 offset1:160
	s_wait_dscnt 0x0
	v_add_f64_e32 v[92:93], v[96:97], v[92:93]
	s_delay_alu instid0(VALU_DEP_1) | instskip(SKIP_3) | instid1(VALU_DEP_1)
	v_add_f64_e32 v[96:97], v[92:93], v[94:95]
	ds_load_2addr_b64 v[92:95], v73 offset0:192 offset1:224
	s_wait_dscnt 0x0
	v_add_f64_e32 v[92:93], v[96:97], v[92:93]
	v_add_f64_e32 v[92:93], v[92:93], v[94:95]
	v_lshl_add_u64 v[94:95], v[8:9], 3, v[36:37]
	s_delay_alu instid0(VALU_DEP_2)
	v_mul_f64_e32 v[92:93], v[22:23], v[92:93]
	flat_atomic_add_f64 v[94:95], v[92:93] scope:SCOPE_DEV
.LBB169_19:                             ;   in Loop: Header=BB169_17 Depth=2
	s_wait_xcnt 0x0
	s_or_b32 exec_lo, exec_lo, s49
	v_fmac_f64_e32 v[26:27], v[66:67], v[40:41]
	v_fmac_f64_e32 v[30:31], v[66:67], v[38:39]
	;; [unrolled: 1-line block ×4, first 2 shown]
	v_add_nc_u64_e32 v[42:43], 0x100, v[42:43]
	s_add_co_i32 s48, s48, -1
	s_add_nc_u64 s[44:45], s[44:45], s[26:27]
	s_cmp_eq_u32 s48, 0
	v_fmac_f64_e32 v[26:27], v[64:65], v[50:51]
	v_fmac_f64_e32 v[30:31], v[64:65], v[52:53]
	;; [unrolled: 1-line block ×4, first 2 shown]
	s_cbranch_scc1 .LBB169_23
; %bb.20:                               ;   in Loop: Header=BB169_17 Depth=2
	v_mov_b64_e32 v[40:41], v[58:59]
	v_mov_b64_e32 v[38:39], v[48:49]
	;; [unrolled: 1-line block ×4, first 2 shown]
	s_branch .LBB169_17
.LBB169_21:                             ;   in Loop: Header=BB169_3 Depth=1
	v_mov_b64_e32 v[24:25], 0
	v_mov_b64_e32 v[28:29], 0
	v_mov_b64_e32 v[30:31], 0
	v_mov_b64_e32 v[26:27], 0
	s_branch .LBB169_27
.LBB169_22:                             ;   in Loop: Header=BB169_3 Depth=1
	v_mov_b64_e32 v[36:37], s[52:53]
	s_wait_xcnt 0x3
	v_mov_b64_e32 v[24:25], 0
	s_wait_xcnt 0x1
	;; [unrolled: 2-line block ×3, first 2 shown]
	v_mov_b64_e32 v[30:31], 0
	v_mov_b64_e32 v[26:27], 0
	s_mul_u64 s[44:45], s[22:23], s[50:51]
	s_delay_alu instid0(SALU_CYCLE_1) | instskip(NEXT) | instid1(SALU_CYCLE_1)
	s_lshl_b64 s[44:45], s[44:45], 3
	s_add_nc_u64 s[44:45], s[46:47], s[44:45]
	s_branch .LBB169_24
.LBB169_23:                             ;   in Loop: Header=BB169_3 Depth=1
	v_mov_b64_e32 v[32:33], v[60:61]
	v_mov_b64_e32 v[34:35], v[62:63]
	;; [unrolled: 1-line block ×4, first 2 shown]
	s_add_nc_u64 s[44:45], s[44:45], s[46:47]
.LBB169_24:                             ;   in Loop: Header=BB169_3 Depth=1
	v_lshl_add_u64 v[44:45], v[0:1], 3, v[42:43]
	s_add_nc_u64 s[44:45], s[44:45], s[26:27]
	s_delay_alu instid0(SALU_CYCLE_1)
	v_lshl_add_u64 v[54:55], v[4:5], 3, s[44:45]
	v_lshl_add_u64 v[56:57], v[6:7], 3, s[44:45]
	flat_load_b64 v[42:43], v[44:45] offset:384
	v_lshl_add_u64 v[46:47], s[20:21], 3, v[44:45]
	flat_load_b64 v[44:45], v[46:47] offset:384
	v_add_nc_u64_e32 v[48:49], s[34:35], v[46:47]
	flat_load_b64 v[46:47], v[48:49] offset:384
	s_wait_xcnt 0x0
	v_add_nc_u64_e32 v[48:49], s[34:35], v[48:49]
	flat_load_b64 v[48:49], v[48:49] offset:384
	s_clause 0x1
	flat_load_b64 v[52:53], v[54:55]
	flat_load_b64 v[50:51], v[56:57]
	s_wait_xcnt 0x0
	ds_load_b128 v[54:57], v71
	ds_load_b128 v[58:61], v71 offset:16
	s_wait_storecnt 0x0
	s_wait_loadcnt_dscnt 0x0
	s_barrier_signal -1
	s_barrier_wait -1
	v_fma_f64 v[62:63], v[40:41], v[54:55], 0
	s_delay_alu instid0(VALU_DEP_1) | instskip(NEXT) | instid1(VALU_DEP_1)
	v_fmac_f64_e32 v[62:63], v[38:39], v[56:57]
	v_fmac_f64_e32 v[62:63], v[34:35], v[58:59]
	s_delay_alu instid0(VALU_DEP_1) | instskip(SKIP_1) | instid1(VALU_DEP_1)
	v_fmac_f64_e32 v[62:63], v[32:33], v[60:61]
	v_fma_f64 v[54:55], v[42:43], v[54:55], 0
	v_fmac_f64_e32 v[54:55], v[44:45], v[56:57]
	v_add_nc_u32_e32 v56, v70, v72
	s_delay_alu instid0(VALU_DEP_2) | instskip(NEXT) | instid1(VALU_DEP_1)
	v_fmac_f64_e32 v[54:55], v[46:47], v[58:59]
	v_fmac_f64_e32 v[54:55], v[48:49], v[60:61]
	ds_store_2addr_b64 v56, v[62:63], v[54:55] offset1:16
	s_wait_dscnt 0x0
	s_barrier_signal -1
	s_barrier_wait -1
	s_and_saveexec_b32 s44, s0
	s_cbranch_execz .LBB169_26
; %bb.25:                               ;   in Loop: Header=BB169_3 Depth=1
	ds_load_2addr_b64 v[54:57], v73 offset1:32
	v_add_nc_u64_e32 v[36:37], s[28:29], v[36:37]
	s_delay_alu instid0(VALU_DEP_1) | instskip(SKIP_2) | instid1(VALU_DEP_1)
	v_lshl_add_u64 v[36:37], v[8:9], 3, v[36:37]
	s_wait_dscnt 0x0
	v_add_f64_e32 v[54:55], 0, v[54:55]
	v_add_f64_e32 v[58:59], v[54:55], v[56:57]
	ds_load_2addr_b64 v[54:57], v73 offset0:64 offset1:96
	s_wait_dscnt 0x0
	v_add_f64_e32 v[54:55], v[58:59], v[54:55]
	s_delay_alu instid0(VALU_DEP_1) | instskip(SKIP_3) | instid1(VALU_DEP_1)
	v_add_f64_e32 v[58:59], v[54:55], v[56:57]
	ds_load_2addr_b64 v[54:57], v73 offset0:128 offset1:160
	s_wait_dscnt 0x0
	v_add_f64_e32 v[54:55], v[58:59], v[54:55]
	v_add_f64_e32 v[58:59], v[54:55], v[56:57]
	ds_load_2addr_b64 v[54:57], v73 offset0:192 offset1:224
	s_wait_dscnt 0x0
	v_add_f64_e32 v[54:55], v[58:59], v[54:55]
	s_delay_alu instid0(VALU_DEP_1) | instskip(NEXT) | instid1(VALU_DEP_1)
	v_add_f64_e32 v[54:55], v[54:55], v[56:57]
	v_mul_f64_e32 v[54:55], v[22:23], v[54:55]
	flat_atomic_add_f64 v[36:37], v[54:55] scope:SCOPE_DEV
.LBB169_26:                             ;   in Loop: Header=BB169_3 Depth=1
	s_wait_xcnt 0x0
	s_or_b32 exec_lo, exec_lo, s44
	v_fmac_f64_e32 v[26:27], v[52:53], v[40:41]
	v_fmac_f64_e32 v[30:31], v[52:53], v[38:39]
	;; [unrolled: 1-line block ×4, first 2 shown]
	s_delay_alu instid0(VALU_DEP_4) | instskip(NEXT) | instid1(VALU_DEP_4)
	v_fmac_f64_e32 v[26:27], v[50:51], v[42:43]
	v_fmac_f64_e32 v[30:31], v[50:51], v[44:45]
	s_delay_alu instid0(VALU_DEP_4) | instskip(NEXT) | instid1(VALU_DEP_4)
	v_fmac_f64_e32 v[28:29], v[50:51], v[46:47]
	v_fmac_f64_e32 v[24:25], v[50:51], v[48:49]
.LBB169_27:                             ;   in Loop: Header=BB169_3 Depth=1
	ds_store_2addr_b64 v90, v[26:27], v[30:31] offset1:16
	ds_store_2addr_b64 v90, v[28:29], v[24:25] offset0:32 offset1:48
	s_wait_storecnt_dscnt 0x0
	s_barrier_signal -1
	s_barrier_wait -1
	s_and_b32 exec_lo, exec_lo, s0
	s_cbranch_execz .LBB169_2
; %bb.28:                               ;   in Loop: Header=BB169_3 Depth=1
	ds_load_b64 v[24:25], v74
	ds_load_b64 v[26:27], v75
	ds_load_b64 v[28:29], v76
	ds_load_b64 v[30:31], v77
	s_wait_dscnt 0x3
	v_add_f64_e32 v[24:25], 0, v[24:25]
	s_wait_dscnt 0x2
	s_delay_alu instid0(VALU_DEP_1) | instskip(SKIP_1) | instid1(VALU_DEP_1)
	v_add_f64_e32 v[24:25], v[24:25], v[26:27]
	s_wait_dscnt 0x1
	v_add_f64_e32 v[24:25], v[24:25], v[28:29]
	s_wait_dscnt 0x0
	s_delay_alu instid0(VALU_DEP_1)
	v_add_f64_e32 v[24:25], v[24:25], v[30:31]
	ds_load_b64 v[26:27], v78
	ds_load_b64 v[28:29], v79
	ds_load_b64 v[30:31], v80
	ds_load_b64 v[32:33], v81
	s_wait_dscnt 0x3
	v_add_f64_e32 v[24:25], v[24:25], v[26:27]
	s_wait_dscnt 0x2
	s_delay_alu instid0(VALU_DEP_1) | instskip(SKIP_1) | instid1(VALU_DEP_1)
	v_add_f64_e32 v[24:25], v[24:25], v[28:29]
	s_wait_dscnt 0x1
	v_add_f64_e32 v[24:25], v[24:25], v[30:31]
	s_wait_dscnt 0x0
	s_delay_alu instid0(VALU_DEP_1)
	v_add_f64_e32 v[24:25], v[24:25], v[32:33]
	;; [unrolled: 14-line block ×3, first 2 shown]
	ds_load_b64 v[26:27], v86
	ds_load_b64 v[28:29], v87
	;; [unrolled: 1-line block ×4, first 2 shown]
	s_wait_dscnt 0x3
	v_add_f64_e32 v[24:25], v[24:25], v[26:27]
	s_wait_dscnt 0x2
	s_delay_alu instid0(VALU_DEP_1) | instskip(SKIP_1) | instid1(VALU_DEP_1)
	v_add_f64_e32 v[24:25], v[24:25], v[28:29]
	s_wait_dscnt 0x1
	v_add_f64_e32 v[24:25], v[24:25], v[30:31]
	s_wait_dscnt 0x0
	s_delay_alu instid0(VALU_DEP_1) | instskip(NEXT) | instid1(VALU_DEP_1)
	v_add_f64_e32 v[24:25], v[24:25], v[32:33]
	v_mul_f64_e32 v[22:23], v[22:23], v[24:25]
	v_lshl_add_u64 v[24:25], v[8:9], 3, s[42:43]
	flat_atomic_add_f64 v[24:25], v[22:23] scope:SCOPE_DEV
	s_branch .LBB169_2
.LBB169_29:
	s_sendmsg sendmsg(MSG_DEALLOC_VGPRS)
	s_endpgm
	.section	.rodata,"a",@progbits
	.p2align	6, 0x0
	.amdhsa_kernel _ZL54rocblas_symv_kernel_lower_double_buffered_non_diagonalILi32ELi4ELi4E24rocblas_internal_val_ptrIdEPKPKdPKPdEvbiT2_lT3_lllSA_lllT4_llli
		.amdhsa_group_segment_fixed_size 7424
		.amdhsa_private_segment_fixed_size 0
		.amdhsa_kernarg_size 384
		.amdhsa_user_sgpr_count 4
		.amdhsa_user_sgpr_dispatch_ptr 1
		.amdhsa_user_sgpr_queue_ptr 0
		.amdhsa_user_sgpr_kernarg_segment_ptr 1
		.amdhsa_user_sgpr_dispatch_id 0
		.amdhsa_user_sgpr_kernarg_preload_length 0
		.amdhsa_user_sgpr_kernarg_preload_offset 0
		.amdhsa_user_sgpr_private_segment_size 0
		.amdhsa_wavefront_size32 1
		.amdhsa_uses_dynamic_stack 0
		.amdhsa_enable_private_segment 0
		.amdhsa_system_sgpr_workgroup_id_x 1
		.amdhsa_system_sgpr_workgroup_id_y 1
		.amdhsa_system_sgpr_workgroup_id_z 1
		.amdhsa_system_sgpr_workgroup_info 0
		.amdhsa_system_vgpr_workitem_id 2
		.amdhsa_next_free_vgpr 102
		.amdhsa_next_free_sgpr 60
		.amdhsa_named_barrier_count 0
		.amdhsa_reserve_vcc 1
		.amdhsa_float_round_mode_32 0
		.amdhsa_float_round_mode_16_64 0
		.amdhsa_float_denorm_mode_32 3
		.amdhsa_float_denorm_mode_16_64 3
		.amdhsa_fp16_overflow 0
		.amdhsa_memory_ordered 1
		.amdhsa_forward_progress 1
		.amdhsa_inst_pref_size 24
		.amdhsa_round_robin_scheduling 0
		.amdhsa_exception_fp_ieee_invalid_op 0
		.amdhsa_exception_fp_denorm_src 0
		.amdhsa_exception_fp_ieee_div_zero 0
		.amdhsa_exception_fp_ieee_overflow 0
		.amdhsa_exception_fp_ieee_underflow 0
		.amdhsa_exception_fp_ieee_inexact 0
		.amdhsa_exception_int_div_zero 0
	.end_amdhsa_kernel
	.section	.text._ZL54rocblas_symv_kernel_lower_double_buffered_non_diagonalILi32ELi4ELi4E24rocblas_internal_val_ptrIdEPKPKdPKPdEvbiT2_lT3_lllSA_lllT4_llli,"axG",@progbits,_ZL54rocblas_symv_kernel_lower_double_buffered_non_diagonalILi32ELi4ELi4E24rocblas_internal_val_ptrIdEPKPKdPKPdEvbiT2_lT3_lllSA_lllT4_llli,comdat
.Lfunc_end169:
	.size	_ZL54rocblas_symv_kernel_lower_double_buffered_non_diagonalILi32ELi4ELi4E24rocblas_internal_val_ptrIdEPKPKdPKPdEvbiT2_lT3_lllSA_lllT4_llli, .Lfunc_end169-_ZL54rocblas_symv_kernel_lower_double_buffered_non_diagonalILi32ELi4ELi4E24rocblas_internal_val_ptrIdEPKPKdPKPdEvbiT2_lT3_lllSA_lllT4_llli
                                        ; -- End function
	.set _ZL54rocblas_symv_kernel_lower_double_buffered_non_diagonalILi32ELi4ELi4E24rocblas_internal_val_ptrIdEPKPKdPKPdEvbiT2_lT3_lllSA_lllT4_llli.num_vgpr, 102
	.set _ZL54rocblas_symv_kernel_lower_double_buffered_non_diagonalILi32ELi4ELi4E24rocblas_internal_val_ptrIdEPKPKdPKPdEvbiT2_lT3_lllSA_lllT4_llli.num_agpr, 0
	.set _ZL54rocblas_symv_kernel_lower_double_buffered_non_diagonalILi32ELi4ELi4E24rocblas_internal_val_ptrIdEPKPKdPKPdEvbiT2_lT3_lllSA_lllT4_llli.numbered_sgpr, 60
	.set _ZL54rocblas_symv_kernel_lower_double_buffered_non_diagonalILi32ELi4ELi4E24rocblas_internal_val_ptrIdEPKPKdPKPdEvbiT2_lT3_lllSA_lllT4_llli.num_named_barrier, 0
	.set _ZL54rocblas_symv_kernel_lower_double_buffered_non_diagonalILi32ELi4ELi4E24rocblas_internal_val_ptrIdEPKPKdPKPdEvbiT2_lT3_lllSA_lllT4_llli.private_seg_size, 0
	.set _ZL54rocblas_symv_kernel_lower_double_buffered_non_diagonalILi32ELi4ELi4E24rocblas_internal_val_ptrIdEPKPKdPKPdEvbiT2_lT3_lllSA_lllT4_llli.uses_vcc, 1
	.set _ZL54rocblas_symv_kernel_lower_double_buffered_non_diagonalILi32ELi4ELi4E24rocblas_internal_val_ptrIdEPKPKdPKPdEvbiT2_lT3_lllSA_lllT4_llli.uses_flat_scratch, 1
	.set _ZL54rocblas_symv_kernel_lower_double_buffered_non_diagonalILi32ELi4ELi4E24rocblas_internal_val_ptrIdEPKPKdPKPdEvbiT2_lT3_lllSA_lllT4_llli.has_dyn_sized_stack, 0
	.set _ZL54rocblas_symv_kernel_lower_double_buffered_non_diagonalILi32ELi4ELi4E24rocblas_internal_val_ptrIdEPKPKdPKPdEvbiT2_lT3_lllSA_lllT4_llli.has_recursion, 0
	.set _ZL54rocblas_symv_kernel_lower_double_buffered_non_diagonalILi32ELi4ELi4E24rocblas_internal_val_ptrIdEPKPKdPKPdEvbiT2_lT3_lllSA_lllT4_llli.has_indirect_call, 0
	.section	.AMDGPU.csdata,"",@progbits
; Kernel info:
; codeLenInByte = 2948
; TotalNumSgprs: 62
; NumVgprs: 102
; ScratchSize: 0
; MemoryBound: 0
; FloatMode: 240
; IeeeMode: 1
; LDSByteSize: 7424 bytes/workgroup (compile time only)
; SGPRBlocks: 0
; VGPRBlocks: 6
; NumSGPRsForWavesPerEU: 62
; NumVGPRsForWavesPerEU: 102
; NamedBarCnt: 0
; Occupancy: 9
; WaveLimiterHint : 1
; COMPUTE_PGM_RSRC2:SCRATCH_EN: 0
; COMPUTE_PGM_RSRC2:USER_SGPR: 4
; COMPUTE_PGM_RSRC2:TRAP_HANDLER: 0
; COMPUTE_PGM_RSRC2:TGID_X_EN: 1
; COMPUTE_PGM_RSRC2:TGID_Y_EN: 1
; COMPUTE_PGM_RSRC2:TGID_Z_EN: 1
; COMPUTE_PGM_RSRC2:TIDIG_COMP_CNT: 2
	.section	.text._ZL58rocblas_symv_kernel_lower_double_buffered_diagonal_genericILi32ELi4E24rocblas_internal_val_ptrIdEPKPKdPKPdEvbiT1_lT2_lllSA_lllS9_lT3_lllii,"axG",@progbits,_ZL58rocblas_symv_kernel_lower_double_buffered_diagonal_genericILi32ELi4E24rocblas_internal_val_ptrIdEPKPKdPKPdEvbiT1_lT2_lllSA_lllS9_lT3_lllii,comdat
	.globl	_ZL58rocblas_symv_kernel_lower_double_buffered_diagonal_genericILi32ELi4E24rocblas_internal_val_ptrIdEPKPKdPKPdEvbiT1_lT2_lllSA_lllS9_lT3_lllii ; -- Begin function _ZL58rocblas_symv_kernel_lower_double_buffered_diagonal_genericILi32ELi4E24rocblas_internal_val_ptrIdEPKPKdPKPdEvbiT1_lT2_lllSA_lllS9_lT3_lllii
	.p2align	8
	.type	_ZL58rocblas_symv_kernel_lower_double_buffered_diagonal_genericILi32ELi4E24rocblas_internal_val_ptrIdEPKPKdPKPdEvbiT1_lT2_lllSA_lllS9_lT3_lllii,@function
_ZL58rocblas_symv_kernel_lower_double_buffered_diagonal_genericILi32ELi4E24rocblas_internal_val_ptrIdEPKPKdPKPdEvbiT1_lT2_lllSA_lllS9_lT3_lllii: ; @_ZL58rocblas_symv_kernel_lower_double_buffered_diagonal_genericILi32ELi4E24rocblas_internal_val_ptrIdEPKPKdPKPdEvbiT1_lT2_lllSA_lllS9_lT3_lllii
; %bb.0:
	s_load_b64 s[4:5], s[0:1], 0x4
	s_clause 0x1
	s_load_b256 s[12:19], s[2:3], 0x8
	s_load_b128 s[20:23], s[2:3], 0x58
	v_bfe_u32 v8, v0, 10, 10
	s_load_b64 s[34:35], s[2:3], 0x88
	v_and_b32_e32 v2, 0x3ff, v0
	v_bfe_u32 v0, v0, 20, 10
	s_wait_xcnt 0x0
	s_bfe_u32 s1, ttmp6, 0x40014
	s_lshr_b32 s0, ttmp7, 16
	s_add_co_i32 s1, s1, 1
	s_delay_alu instid0(SALU_CYCLE_1)
	s_mul_i32 s1, s0, s1
	s_wait_kmcnt 0x0
	v_mul_u32_u24_e32 v1, s5, v8
	s_lshr_b32 s4, s4, 16
	v_dual_mov_b32 v4, s12 :: v_dual_mov_b32 v5, s13
	s_mul_i32 s4, s4, s5
	s_bfe_u32 s5, ttmp6, 0x40008
	v_mad_u32_u24 v1, s4, v2, v1
	s_getreg_b32 s4, hwreg(HW_REG_IB_STS2, 6, 4)
	s_add_co_i32 s5, s5, s1
	s_cmp_eq_u32 s4, 0
	v_dual_mov_b32 v6, s20 :: v_dual_mov_b32 v7, s21
	v_add_lshl_u32 v0, v1, v0, 3
	s_cselect_b32 s12, s0, s5
	s_mov_b32 s13, 0
	s_cmp_ge_u32 s12, s35
	s_delay_alu instid0(VALU_DEP_1)
	v_add_nc_u32_e32 v1, 0x100, v0
	ds_store_2addr_stride64_b64 v1, v[6:7], v[4:5] offset0:20 offset1:22
	s_cbranch_scc1 .LBB170_75
; %bb.1:
	s_clause 0x3
	s_load_b32 s5, s[2:3], 0x0
	s_load_b128 s[24:27], s[2:3], 0x70
	s_load_b64 s[20:21], s[2:3], 0x28
	s_load_b64 s[36:37], s[2:3], 0x68
	v_dual_mov_b32 v3, 0 :: v_dual_add_nc_u32 v24, 0x2d00, v0
	v_lshlrev_b32_e32 v12, 3, v2
	s_clause 0x1
	s_load_b128 s[28:31], s[2:3], 0x38
	s_load_b64 s[44:45], s[2:3], 0x48
	v_add_nc_u32_e32 v25, 0x2900, v0
	v_sub_co_u32 v11, s46, v2, v8
	v_mov_b32_e32 v9, v3
	v_lshl_add_u32 v10, v8, 5, v2
	v_cmp_eq_u32_e64 s0, 0, v8
	v_mul_u32_u24_e32 v13, 0xf8, v2
	v_add_nc_u32_e32 v26, 0x2800, v12
	v_cmp_gt_i32_e64 s33, s34, v2
	v_lshl_add_u32 v30, v10, 3, 0x2000
	v_cmp_le_i32_e64 s1, s34, v2
	v_or_b32_e32 v31, 0x2000, v12
	s_wait_kmcnt 0x0
	s_bitcmp1_b32 s5, 0
	v_mul_u64_e32 v[0:1], s[26:27], v[2:3]
	v_mul_u64_e32 v[4:5], s[20:21], v[8:9]
	s_cselect_b32 s5, -1, 0
	s_bfe_u32 s6, ttmp6, 0x4000c
	s_and_b32 s7, ttmp6, 15
	s_add_co_i32 s6, s6, 1
	v_mul_u64_e32 v[6:7], s[44:45], v[2:3]
	s_mul_i32 s6, ttmp9, s6
	s_xor_b32 s47, s5, -1
	s_add_co_i32 s7, s7, s6
	s_cmp_eq_u32 s4, 0
	v_dual_sub_nc_u32 v9, 0, v11 :: v_dual_lshlrev_b32 v14, 8, v8
	s_cselect_b32 s48, ttmp9, s7
	s_lshl_b64 s[38:39], s[20:21], 5
	s_lshl_b32 s52, s48, 5
	s_lshr_b32 s49, s34, 2
	s_ashr_i32 s53, s52, 31
	s_add_nc_u64 s[4:5], s[20:21], 1
	s_cmp_gt_u32 s34, 3
	s_mul_u64 s[40:41], s[4:5], s[52:53]
	s_cselect_b32 s50, -1, 0
	s_and_b32 s4, s34, 3
	v_dual_lshlrev_b32 v15, 3, v8 :: v_dual_max_i32 v11, v11, v9
	v_cmp_gt_u32_e64 s4, s4, v8
	v_add_nc_u32_e32 v18, 0xc00, v14
	v_add_nc_u32_e32 v16, 0x400, v14
	s_delay_alu instid0(VALU_DEP_4)
	v_add3_u32 v28, v12, v13, v15
	v_cmp_gt_u32_e64 s5, 4, v11
	v_cmp_gt_u32_e64 s6, 8, v11
	;; [unrolled: 1-line block ×4, first 2 shown]
	v_lshlrev_b64_e32 v[8:9], 3, v[4:5]
	v_cmp_gt_u32_e64 s9, 20, v11
	v_cmp_gt_u32_e64 s10, 24, v11
	;; [unrolled: 1-line block ×3, first 2 shown]
	v_add_nc_u32_e32 v11, 0x1c00, v14
	v_dual_mov_b32 v13, v3 :: v_dual_add_nc_u32 v27, v12, v14
	v_add_nc_u32_e32 v32, v12, v16
	v_lshl_add_u64 v[8:9], s[40:41], 3, v[8:9]
	v_add_nc_u32_e32 v17, 0x800, v14
	v_add_nc_u32_e32 v29, 0x2800, v15
	;; [unrolled: 1-line block ×5, first 2 shown]
	v_add_nc_u64_e32 v[8:9], v[8:9], v[12:13]
	v_dual_add_nc_u32 v34, v12, v18 :: v_dual_add_nc_u32 v35, v12, v11
	v_mov_b64_e32 v[10:11], 0
	v_dual_lshlrev_b32 v2, 3, v2 :: v_dual_add_nc_u32 v33, v12, v17
	v_dual_add_nc_u32 v36, v12, v15 :: v_dual_add_nc_u32 v38, v12, v14
	v_add_nc_u32_e32 v37, v12, v19
	s_mul_u64 s[26:27], s[26:27], s[52:53]
	s_add_nc_u64 s[42:43], s[2:3], 0x90
	s_mul_u64 s[44:45], s[44:45], s[52:53]
	s_lshl_b64 s[18:19], s[18:19], 3
	s_branch .LBB170_4
.LBB170_2:                              ;   in Loop: Header=BB170_4 Depth=1
	s_wait_xcnt 0x0
	s_or_b32 exec_lo, exec_lo, s34
.LBB170_3:                              ;   in Loop: Header=BB170_4 Depth=1
	s_delay_alu instid0(SALU_CYCLE_1) | instskip(SKIP_1) | instid1(SALU_CYCLE_1)
	s_or_b32 exec_lo, exec_lo, s3
	s_add_co_i32 s12, s12, 0x10000
	s_cmp_lt_u32 s12, s35
	s_cbranch_scc0 .LBB170_75
.LBB170_4:                              ; =>This Loop Header: Depth=1
                                        ;     Child Loop BB170_46 Depth 2
	s_and_b32 vcc_lo, exec_lo, s47
	s_mov_b32 s2, -1
                                        ; implicit-def: $vgpr12_vgpr13
	s_cbranch_vccnz .LBB170_65
; %bb.5:                                ;   in Loop: Header=BB170_4 Depth=1
	s_and_not1_b32 vcc_lo, exec_lo, s2
	s_cbranch_vccz .LBB170_66
.LBB170_6:                              ;   in Loop: Header=BB170_4 Depth=1
	s_and_b32 vcc_lo, exec_lo, s47
	s_mov_b32 s2, -1
                                        ; implicit-def: $vgpr14_vgpr15
	s_cbranch_vccnz .LBB170_67
.LBB170_7:                              ;   in Loop: Header=BB170_4 Depth=1
	s_and_not1_b32 vcc_lo, exec_lo, s2
	s_cbranch_vccnz .LBB170_9
.LBB170_8:                              ;   in Loop: Header=BB170_4 Depth=1
	s_wait_loadcnt_dscnt 0x0
	s_wait_xcnt 0x0
	ds_load_b64 v[14:15], v25
.LBB170_9:                              ;   in Loop: Header=BB170_4 Depth=1
	s_wait_loadcnt_dscnt 0x0
	v_cmp_neq_f64_e32 vcc_lo, 0, v[12:13]
	v_cmp_neq_f64_e64 s2, 1.0, v[14:15]
	s_or_b32 s2, vcc_lo, s2
	s_wait_xcnt 0x0
	s_and_saveexec_b32 s3, s2
	s_cbranch_execz .LBB170_3
; %bb.10:                               ;   in Loop: Header=BB170_4 Depth=1
	v_cmp_neq_f64_e64 s2, 0, v[12:13]
	v_cmp_eq_f64_e32 vcc_lo, 0, v[12:13]
	v_mov_b64_e32 v[16:17], s[12:13]
	s_and_saveexec_b32 s34, vcc_lo
	s_delay_alu instid0(SALU_CYCLE_1)
	s_xor_b32 s34, exec_lo, s34
; %bb.11:                               ;   in Loop: Header=BB170_4 Depth=1
	v_mov_b64_e32 v[16:17], s[12:13]
; %bb.12:                               ;   in Loop: Header=BB170_4 Depth=1
	s_or_saveexec_b32 s34, s34
	v_mov_b64_e32 v[18:19], 0
	v_mov_b64_e32 v[20:21], 0
	s_xor_b32 exec_lo, exec_lo, s34
	s_cbranch_execz .LBB170_14
; %bb.13:                               ;   in Loop: Header=BB170_4 Depth=1
	s_lshl_b64 s[52:53], s[12:13], 3
	s_delay_alu instid0(SALU_CYCLE_1)
	s_add_nc_u64 s[52:53], s[16:17], s[52:53]
	global_load_b64 v[20:21], v3, s[52:53]
	s_wait_loadcnt 0x0
	v_add_nc_u64_e32 v[20:21], s[18:19], v[20:21]
.LBB170_14:                             ;   in Loop: Header=BB170_4 Depth=1
	s_wait_xcnt 0x0
	s_or_b32 exec_lo, exec_lo, s34
	s_and_saveexec_b32 s34, s2
	s_cbranch_execz .LBB170_16
; %bb.15:                               ;   in Loop: Header=BB170_4 Depth=1
	v_lshl_add_u64 v[18:19], v[16:17], 3, s[28:29]
	global_load_b64 v[18:19], v[18:19], off
	s_wait_loadcnt 0x0
	s_wait_xcnt 0x0
	v_lshl_add_u64 v[18:19], s[30:31], 3, v[18:19]
.LBB170_16:                             ;   in Loop: Header=BB170_4 Depth=1
	s_or_b32 exec_lo, exec_lo, s34
	v_lshl_add_u64 v[16:17], v[16:17], 3, s[36:37]
	global_load_b64 v[16:17], v[16:17], off
	s_wait_loadcnt 0x0
	s_wait_xcnt 0x0
	v_lshl_add_u64 v[16:17], s[24:25], 3, v[16:17]
	s_delay_alu instid0(VALU_DEP_1) | instskip(SKIP_1) | instid1(SALU_CYCLE_1)
	v_lshl_add_u64 v[16:17], s[26:27], 3, v[16:17]
	s_and_saveexec_b32 s2, vcc_lo
	s_xor_b32 s2, exec_lo, s2
	s_cbranch_execz .LBB170_23
; %bb.17:                               ;   in Loop: Header=BB170_4 Depth=1
	s_and_saveexec_b32 s34, s0
	s_cbranch_execz .LBB170_22
; %bb.18:                               ;   in Loop: Header=BB170_4 Depth=1
	s_mov_b32 s52, s33
	s_and_saveexec_b32 s51, s1
	s_cbranch_execz .LBB170_20
; %bb.19:                               ;   in Loop: Header=BB170_4 Depth=1
	s_load_b32 s52, s[42:43], 0x0
	s_wait_kmcnt 0x0
	s_add_co_i32 s52, s52, -1
	s_delay_alu instid0(SALU_CYCLE_1) | instskip(SKIP_3) | instid1(SALU_CYCLE_1)
	s_cmp_lt_u32 s48, s52
	s_cselect_b32 s52, -1, 0
	s_and_not1_b32 s53, s33, exec_lo
	s_and_b32 s52, s52, exec_lo
	s_or_b32 s52, s53, s52
.LBB170_20:                             ;   in Loop: Header=BB170_4 Depth=1
	s_or_b32 exec_lo, exec_lo, s51
	s_delay_alu instid0(SALU_CYCLE_1)
	s_and_b32 exec_lo, exec_lo, s52
	s_cbranch_execz .LBB170_22
; %bb.21:                               ;   in Loop: Header=BB170_4 Depth=1
	v_lshl_add_u64 v[12:13], v[0:1], 3, v[16:17]
	flat_load_b64 v[16:17], v[12:13]
	s_wait_loadcnt_dscnt 0x0
	v_mul_f64_e32 v[14:15], v[14:15], v[16:17]
	flat_store_b64 v[12:13], v[14:15]
.LBB170_22:                             ;   in Loop: Header=BB170_4 Depth=1
	s_wait_xcnt 0x0
	s_or_b32 exec_lo, exec_lo, s34
                                        ; implicit-def: $vgpr12_vgpr13
                                        ; implicit-def: $vgpr14_vgpr15
                                        ; implicit-def: $vgpr16_vgpr17
                                        ; implicit-def: $vgpr20_vgpr21
                                        ; implicit-def: $vgpr18_vgpr19
.LBB170_23:                             ;   in Loop: Header=BB170_4 Depth=1
	s_and_not1_saveexec_b32 s2, s2
	s_cbranch_execz .LBB170_3
; %bb.24:                               ;   in Loop: Header=BB170_4 Depth=1
	s_load_b32 s2, s[42:43], 0x0
	v_lshl_add_u64 v[22:23], s[44:45], 3, v[18:19]
	s_mov_b32 s34, -1
                                        ; implicit-def: $vgpr18_vgpr19
	s_wait_kmcnt 0x0
	s_add_co_i32 s2, s2, -1
	s_delay_alu instid0(SALU_CYCLE_1) | instskip(SKIP_1) | instid1(SALU_CYCLE_1)
	s_cmp_lg_u32 s48, s2
	s_cselect_b32 s2, -1, 0
	s_and_b32 vcc_lo, exec_lo, s2
	s_cbranch_vccz .LBB170_30
; %bb.25:                               ;   in Loop: Header=BB170_4 Depth=1
	v_mov_b64_e32 v[18:19], 0
	s_and_saveexec_b32 s34, s0
	s_cbranch_execz .LBB170_29
; %bb.26:                               ;   in Loop: Header=BB170_4 Depth=1
	v_lshl_add_u64 v[18:19], v[6:7], 3, v[22:23]
	s_mov_b32 s51, exec_lo
	flat_load_b64 v[40:41], v[18:19]
	s_wait_xcnt 0x0
	v_mov_b64_e32 v[18:19], 0
	s_wait_loadcnt_dscnt 0x0
	ds_store_b64 v26, v[40:41]
	v_cmpx_neq_f64_e32 0, v[14:15]
	s_cbranch_execz .LBB170_28
; %bb.27:                               ;   in Loop: Header=BB170_4 Depth=1
	v_lshl_add_u64 v[18:19], v[0:1], 3, v[16:17]
	flat_load_b64 v[18:19], v[18:19]
	s_wait_loadcnt_dscnt 0x0
	v_mul_f64_e32 v[18:19], v[14:15], v[18:19]
.LBB170_28:                             ;   in Loop: Header=BB170_4 Depth=1
	s_or_b32 exec_lo, exec_lo, s51
.LBB170_29:                             ;   in Loop: Header=BB170_4 Depth=1
	s_delay_alu instid0(SALU_CYCLE_1)
	s_or_b32 exec_lo, exec_lo, s34
	s_mov_b32 s34, 0
.LBB170_30:                             ;   in Loop: Header=BB170_4 Depth=1
	s_delay_alu instid0(SALU_CYCLE_1)
	s_and_not1_b32 vcc_lo, exec_lo, s34
	s_cbranch_vccnz .LBB170_40
; %bb.31:                               ;   in Loop: Header=BB170_4 Depth=1
	v_mov_b64_e32 v[18:19], 0
	s_and_saveexec_b32 s34, s0
	s_cbranch_execz .LBB170_39
; %bb.32:                               ;   in Loop: Header=BB170_4 Depth=1
	s_and_saveexec_b32 s51, s1
	s_delay_alu instid0(SALU_CYCLE_1)
	s_xor_b32 s51, exec_lo, s51
; %bb.33:                               ;   in Loop: Header=BB170_4 Depth=1
	ds_store_b64 v26, v[10:11]
                                        ; implicit-def: $vgpr22_vgpr23
; %bb.34:                               ;   in Loop: Header=BB170_4 Depth=1
	s_or_saveexec_b32 s51, s51
	v_mov_b64_e32 v[18:19], 0
	s_xor_b32 exec_lo, exec_lo, s51
	s_cbranch_execz .LBB170_38
; %bb.35:                               ;   in Loop: Header=BB170_4 Depth=1
	v_lshl_add_u64 v[18:19], v[6:7], 3, v[22:23]
	s_mov_b32 s52, exec_lo
	flat_load_b64 v[22:23], v[18:19]
	s_wait_xcnt 0x0
	v_mov_b64_e32 v[18:19], 0
	s_wait_loadcnt_dscnt 0x0
	ds_store_b64 v26, v[22:23]
	v_cmpx_neq_f64_e32 0, v[14:15]
	s_cbranch_execz .LBB170_37
; %bb.36:                               ;   in Loop: Header=BB170_4 Depth=1
	v_lshl_add_u64 v[18:19], v[0:1], 3, v[16:17]
	flat_load_b64 v[18:19], v[18:19]
	s_wait_loadcnt_dscnt 0x0
	v_mul_f64_e32 v[18:19], v[14:15], v[18:19]
.LBB170_37:                             ;   in Loop: Header=BB170_4 Depth=1
	s_or_b32 exec_lo, exec_lo, s52
.LBB170_38:                             ;   in Loop: Header=BB170_4 Depth=1
	s_delay_alu instid0(SALU_CYCLE_1)
	s_or_b32 exec_lo, exec_lo, s51
.LBB170_39:                             ;   in Loop: Header=BB170_4 Depth=1
	s_delay_alu instid0(SALU_CYCLE_1)
	s_or_b32 exec_lo, exec_lo, s34
.LBB170_40:                             ;   in Loop: Header=BB170_4 Depth=1
	v_lshl_add_u64 v[22:23], s[40:41], 3, v[20:21]
	s_and_not1_b32 vcc_lo, exec_lo, s2
	s_mov_b32 s34, -1
	s_delay_alu instid0(VALU_DEP_1) | instskip(NEXT) | instid1(VALU_DEP_1)
	v_lshl_add_u64 v[22:23], v[4:5], 3, v[22:23]
	v_add_nc_u64_e32 v[22:23], v[22:23], v[2:3]
	s_cbranch_vccnz .LBB170_42
; %bb.41:                               ;   in Loop: Header=BB170_4 Depth=1
	s_delay_alu instid0(VALU_DEP_1) | instskip(SKIP_1) | instid1(VALU_DEP_1)
	v_add_nc_u64_e32 v[40:41], s[38:39], v[22:23]
	s_mov_b32 s34, 0
	v_add_nc_u64_e32 v[42:43], s[38:39], v[40:41]
	s_delay_alu instid0(VALU_DEP_1) | instskip(NEXT) | instid1(VALU_DEP_1)
	v_add_nc_u64_e32 v[44:45], s[38:39], v[42:43]
	v_add_nc_u64_e32 v[46:47], s[38:39], v[44:45]
	s_delay_alu instid0(VALU_DEP_1) | instskip(NEXT) | instid1(VALU_DEP_1)
	v_add_nc_u64_e32 v[48:49], s[38:39], v[46:47]
	v_add_nc_u64_e32 v[50:51], s[38:39], v[48:49]
	s_delay_alu instid0(VALU_DEP_1)
	v_add_nc_u64_e32 v[52:53], s[38:39], v[50:51]
	s_clause 0x7
	flat_load_b64 v[54:55], v[22:23]
	flat_load_b64 v[56:57], v[40:41]
	;; [unrolled: 1-line block ×8, first 2 shown]
	s_wait_loadcnt_dscnt 0x606
	ds_store_2addr_stride64_b64 v27, v[54:55], v[56:57] offset1:2
	s_wait_loadcnt_dscnt 0x405
	ds_store_2addr_stride64_b64 v27, v[58:59], v[60:61] offset0:4 offset1:6
	s_wait_loadcnt_dscnt 0x204
	ds_store_2addr_stride64_b64 v27, v[62:63], v[64:65] offset0:8 offset1:10
	;; [unrolled: 2-line block ×3, first 2 shown]
.LBB170_42:                             ;   in Loop: Header=BB170_4 Depth=1
	s_and_not1_b32 vcc_lo, exec_lo, s34
	s_cbranch_vccnz .LBB170_50
; %bb.43:                               ;   in Loop: Header=BB170_4 Depth=1
	ds_store_2addr_stride64_b64 v27, v[10:11], v[10:11] offset1:2
	ds_store_2addr_stride64_b64 v27, v[10:11], v[10:11] offset0:4 offset1:6
	ds_store_2addr_stride64_b64 v27, v[10:11], v[10:11] offset0:8 offset1:10
	;; [unrolled: 1-line block ×3, first 2 shown]
	s_wait_xcnt 0x0
	s_and_saveexec_b32 s34, s33
	s_cbranch_execz .LBB170_49
; %bb.44:                               ;   in Loop: Header=BB170_4 Depth=1
	s_and_not1_b32 vcc_lo, exec_lo, s50
	s_mov_b32 s51, 0
	s_cbranch_vccnz .LBB170_47
; %bb.45:                               ;   in Loop: Header=BB170_4 Depth=1
	v_add_nc_u64_e32 v[20:21], v[20:21], v[8:9]
	v_mov_b32_e32 v39, v27
	s_mov_b32 s52, s49
.LBB170_46:                             ;   Parent Loop BB170_4 Depth=1
                                        ; =>  This Inner Loop Header: Depth=2
	flat_load_b64 v[40:41], v[20:21]
	s_wait_xcnt 0x0
	v_add_nc_u64_e32 v[20:21], s[38:39], v[20:21]
	s_add_co_i32 s52, s52, -1
	s_mov_b32 s51, s49
	s_cmp_lg_u32 s52, 0
	s_wait_loadcnt_dscnt 0x0
	ds_store_b64 v39, v[40:41]
	v_add_nc_u32_e32 v39, 0x400, v39
	s_cbranch_scc1 .LBB170_46
.LBB170_47:                             ;   in Loop: Header=BB170_4 Depth=1
	s_and_b32 exec_lo, exec_lo, s4
	s_cbranch_execz .LBB170_49
; %bb.48:                               ;   in Loop: Header=BB170_4 Depth=1
	s_lshl_b32 s52, s51, 2
	s_mov_b32 s53, s13
	s_delay_alu instid0(SALU_CYCLE_1) | instskip(NEXT) | instid1(SALU_CYCLE_1)
	s_mul_u64 s[52:53], s[20:21], s[52:53]
	v_lshl_add_u64 v[20:21], s[52:53], 3, v[22:23]
	v_lshl_add_u32 v22, s51, 10, v27
	flat_load_b64 v[20:21], v[20:21]
	s_wait_loadcnt_dscnt 0x0
	ds_store_b64 v22, v[20:21]
.LBB170_49:                             ;   in Loop: Header=BB170_4 Depth=1
	s_wait_xcnt 0x0
	s_or_b32 exec_lo, exec_lo, s34
.LBB170_50:                             ;   in Loop: Header=BB170_4 Depth=1
	s_wait_storecnt_dscnt 0x0
	s_barrier_signal -1
	s_barrier_wait -1
	s_wait_xcnt 0x0
	s_and_saveexec_b32 s34, s46
	s_cbranch_execnz .LBB170_68
; %bb.51:                               ;   in Loop: Header=BB170_4 Depth=1
	s_or_b32 exec_lo, exec_lo, s34
	s_and_saveexec_b32 s34, s5
	s_cbranch_execnz .LBB170_69
.LBB170_52:                             ;   in Loop: Header=BB170_4 Depth=1
	s_or_b32 exec_lo, exec_lo, s34
	s_and_saveexec_b32 s34, s6
	s_cbranch_execnz .LBB170_70
.LBB170_53:                             ;   in Loop: Header=BB170_4 Depth=1
	s_or_b32 exec_lo, exec_lo, s34
	s_and_saveexec_b32 s34, s7
	s_cbranch_execnz .LBB170_71
.LBB170_54:                             ;   in Loop: Header=BB170_4 Depth=1
	s_or_b32 exec_lo, exec_lo, s34
	s_and_saveexec_b32 s34, s8
	s_cbranch_execnz .LBB170_72
.LBB170_55:                             ;   in Loop: Header=BB170_4 Depth=1
	s_or_b32 exec_lo, exec_lo, s34
	s_and_saveexec_b32 s34, s9
	s_cbranch_execnz .LBB170_73
.LBB170_56:                             ;   in Loop: Header=BB170_4 Depth=1
	s_or_b32 exec_lo, exec_lo, s34
	s_and_saveexec_b32 s34, s10
	s_cbranch_execnz .LBB170_74
.LBB170_57:                             ;   in Loop: Header=BB170_4 Depth=1
	s_or_b32 exec_lo, exec_lo, s34
	s_and_saveexec_b32 s34, s11
	s_cbranch_execz .LBB170_59
.LBB170_58:                             ;   in Loop: Header=BB170_4 Depth=1
	ds_load_b64 v[20:21], v28 offset:224
	s_wait_dscnt 0x0
	ds_store_b64 v35, v[20:21]
.LBB170_59:                             ;   in Loop: Header=BB170_4 Depth=1
	s_or_b32 exec_lo, exec_lo, s34
	s_wait_dscnt 0x0
	s_barrier_signal -1
	s_barrier_wait -1
	ds_load_2addr_b64 v[20:23], v29 offset1:4
	ds_load_b64 v[40:41], v27
	ds_load_b64 v[42:43], v32
	;; [unrolled: 1-line block ×4, first 2 shown]
	s_wait_dscnt 0x3
	v_fma_f64 v[40:41], v[40:41], v[20:21], 0
	s_wait_dscnt 0x2
	s_delay_alu instid0(VALU_DEP_1) | instskip(SKIP_3) | instid1(VALU_DEP_1)
	v_fmac_f64_e32 v[40:41], v[42:43], v[22:23]
	ds_load_2addr_b64 v[20:23], v29 offset0:8 offset1:12
	s_wait_dscnt 0x0
	v_fmac_f64_e32 v[40:41], v[44:45], v[20:21]
	v_fmac_f64_e32 v[40:41], v[46:47], v[22:23]
	ds_load_2addr_b64 v[20:23], v29 offset0:16 offset1:20
	ds_load_b64 v[42:43], v36
	ds_load_b64 v[44:45], v37
	ds_load_b64 v[46:47], v38
	ds_load_b64 v[48:49], v35
	s_wait_dscnt 0x3
	v_fmac_f64_e32 v[40:41], v[42:43], v[20:21]
	s_wait_dscnt 0x2
	s_delay_alu instid0(VALU_DEP_1) | instskip(SKIP_3) | instid1(VALU_DEP_1)
	v_fmac_f64_e32 v[40:41], v[44:45], v[22:23]
	ds_load_2addr_b64 v[20:23], v29 offset0:24 offset1:28
	s_wait_dscnt 0x0
	v_fmac_f64_e32 v[40:41], v[46:47], v[20:21]
	v_fmac_f64_e32 v[40:41], v[48:49], v[22:23]
	ds_store_b64 v30, v[40:41]
	s_wait_dscnt 0x0
	s_barrier_signal -1
	s_barrier_wait -1
	s_and_saveexec_b32 s34, s0
	s_cbranch_execz .LBB170_2
; %bb.60:                               ;   in Loop: Header=BB170_4 Depth=1
	ds_load_2addr_b64 v[20:23], v31 offset1:32
	v_cmp_neq_f64_e32 vcc_lo, 0, v[14:15]
	s_wait_dscnt 0x0
	v_add_f64_e32 v[20:21], 0, v[20:21]
	s_delay_alu instid0(VALU_DEP_1) | instskip(SKIP_3) | instid1(VALU_DEP_1)
	v_add_f64_e32 v[40:41], v[20:21], v[22:23]
	ds_load_2addr_b64 v[20:23], v31 offset0:64 offset1:96
	s_wait_dscnt 0x0
	v_add_f64_e32 v[20:21], v[40:41], v[20:21]
	v_add_f64_e32 v[20:21], v[20:21], v[22:23]
	s_delay_alu instid0(VALU_DEP_1) | instskip(SKIP_1) | instid1(VALU_DEP_1)
	v_mul_f64_e32 v[22:23], v[12:13], v[20:21]
	v_fmac_f64_e32 v[18:19], v[12:13], v[20:21]
	v_dual_cndmask_b32 v13, v23, v19 :: v_dual_cndmask_b32 v12, v22, v18
	s_and_b32 vcc_lo, exec_lo, s2
	s_mov_b32 s2, -1
	s_cbranch_vccz .LBB170_62
; %bb.61:                               ;   in Loop: Header=BB170_4 Depth=1
	v_lshl_add_u64 v[14:15], v[0:1], 3, v[16:17]
	s_mov_b32 s2, 0
	flat_store_b64 v[14:15], v[12:13]
.LBB170_62:                             ;   in Loop: Header=BB170_4 Depth=1
	s_and_not1_b32 vcc_lo, exec_lo, s2
	s_cbranch_vccnz .LBB170_2
; %bb.63:                               ;   in Loop: Header=BB170_4 Depth=1
	s_wait_xcnt 0x0
	s_and_b32 exec_lo, exec_lo, s33
	s_cbranch_execz .LBB170_2
; %bb.64:                               ;   in Loop: Header=BB170_4 Depth=1
	v_lshl_add_u64 v[14:15], v[0:1], 3, v[16:17]
	flat_store_b64 v[14:15], v[12:13]
	s_branch .LBB170_2
.LBB170_65:                             ;   in Loop: Header=BB170_4 Depth=1
	ds_load_b64 v[12:13], v24
	s_mul_u64 s[2:3], s[14:15], s[12:13]
	s_wait_dscnt 0x0
	v_lshl_add_u64 v[12:13], s[2:3], 3, v[12:13]
	flat_load_b64 v[12:13], v[12:13]
	s_cbranch_execnz .LBB170_6
.LBB170_66:                             ;   in Loop: Header=BB170_4 Depth=1
	s_wait_loadcnt_dscnt 0x0
	s_wait_xcnt 0x0
	ds_load_b64 v[12:13], v24
	s_and_b32 vcc_lo, exec_lo, s47
	s_mov_b32 s2, -1
                                        ; implicit-def: $vgpr14_vgpr15
	s_cbranch_vccz .LBB170_7
.LBB170_67:                             ;   in Loop: Header=BB170_4 Depth=1
	ds_load_b64 v[14:15], v25
	s_mul_u64 s[2:3], s[22:23], s[12:13]
	s_wait_dscnt 0x0
	v_lshl_add_u64 v[14:15], s[2:3], 3, v[14:15]
	flat_load_b64 v[14:15], v[14:15]
	s_cbranch_execz .LBB170_8
	s_branch .LBB170_9
.LBB170_68:                             ;   in Loop: Header=BB170_4 Depth=1
	ds_load_b64 v[20:21], v28
	s_wait_dscnt 0x0
	ds_store_b64 v27, v[20:21]
	s_or_b32 exec_lo, exec_lo, s34
	s_and_saveexec_b32 s34, s5
	s_cbranch_execz .LBB170_52
.LBB170_69:                             ;   in Loop: Header=BB170_4 Depth=1
	ds_load_b64 v[20:21], v28 offset:32
	s_wait_dscnt 0x0
	ds_store_b64 v32, v[20:21]
	s_or_b32 exec_lo, exec_lo, s34
	s_and_saveexec_b32 s34, s6
	s_cbranch_execz .LBB170_53
.LBB170_70:                             ;   in Loop: Header=BB170_4 Depth=1
	ds_load_b64 v[20:21], v28 offset:64
	s_wait_dscnt 0x0
	ds_store_b64 v33, v[20:21]
	s_or_b32 exec_lo, exec_lo, s34
	s_and_saveexec_b32 s34, s7
	s_cbranch_execz .LBB170_54
.LBB170_71:                             ;   in Loop: Header=BB170_4 Depth=1
	ds_load_b64 v[20:21], v28 offset:96
	s_wait_dscnt 0x0
	ds_store_b64 v34, v[20:21]
	s_or_b32 exec_lo, exec_lo, s34
	s_and_saveexec_b32 s34, s8
	s_cbranch_execz .LBB170_55
.LBB170_72:                             ;   in Loop: Header=BB170_4 Depth=1
	ds_load_b64 v[20:21], v28 offset:128
	s_wait_dscnt 0x0
	ds_store_b64 v27, v[20:21] offset:4096
	s_or_b32 exec_lo, exec_lo, s34
	s_and_saveexec_b32 s34, s9
	s_cbranch_execz .LBB170_56
.LBB170_73:                             ;   in Loop: Header=BB170_4 Depth=1
	ds_load_b64 v[20:21], v28 offset:160
	s_wait_dscnt 0x0
	ds_store_b64 v27, v[20:21] offset:5120
	s_or_b32 exec_lo, exec_lo, s34
	s_and_saveexec_b32 s34, s10
	s_cbranch_execz .LBB170_57
.LBB170_74:                             ;   in Loop: Header=BB170_4 Depth=1
	ds_load_b64 v[20:21], v28 offset:192
	s_wait_dscnt 0x0
	ds_store_b64 v27, v[20:21] offset:6144
	s_or_b32 exec_lo, exec_lo, s34
	s_and_saveexec_b32 s34, s11
	s_cbranch_execnz .LBB170_58
	s_branch .LBB170_59
.LBB170_75:
	s_sendmsg sendmsg(MSG_DEALLOC_VGPRS)
	s_endpgm
	.section	.rodata,"a",@progbits
	.p2align	6, 0x0
	.amdhsa_kernel _ZL58rocblas_symv_kernel_lower_double_buffered_diagonal_genericILi32ELi4E24rocblas_internal_val_ptrIdEPKPKdPKPdEvbiT1_lT2_lllSA_lllS9_lT3_lllii
		.amdhsa_group_segment_fixed_size 12544
		.amdhsa_private_segment_fixed_size 0
		.amdhsa_kernarg_size 400
		.amdhsa_user_sgpr_count 4
		.amdhsa_user_sgpr_dispatch_ptr 1
		.amdhsa_user_sgpr_queue_ptr 0
		.amdhsa_user_sgpr_kernarg_segment_ptr 1
		.amdhsa_user_sgpr_dispatch_id 0
		.amdhsa_user_sgpr_kernarg_preload_length 0
		.amdhsa_user_sgpr_kernarg_preload_offset 0
		.amdhsa_user_sgpr_private_segment_size 0
		.amdhsa_wavefront_size32 1
		.amdhsa_uses_dynamic_stack 0
		.amdhsa_enable_private_segment 0
		.amdhsa_system_sgpr_workgroup_id_x 1
		.amdhsa_system_sgpr_workgroup_id_y 0
		.amdhsa_system_sgpr_workgroup_id_z 1
		.amdhsa_system_sgpr_workgroup_info 0
		.amdhsa_system_vgpr_workitem_id 2
		.amdhsa_next_free_vgpr 70
		.amdhsa_next_free_sgpr 54
		.amdhsa_named_barrier_count 0
		.amdhsa_reserve_vcc 1
		.amdhsa_float_round_mode_32 0
		.amdhsa_float_round_mode_16_64 0
		.amdhsa_float_denorm_mode_32 3
		.amdhsa_float_denorm_mode_16_64 3
		.amdhsa_fp16_overflow 0
		.amdhsa_memory_ordered 1
		.amdhsa_forward_progress 1
		.amdhsa_inst_pref_size 22
		.amdhsa_round_robin_scheduling 0
		.amdhsa_exception_fp_ieee_invalid_op 0
		.amdhsa_exception_fp_denorm_src 0
		.amdhsa_exception_fp_ieee_div_zero 0
		.amdhsa_exception_fp_ieee_overflow 0
		.amdhsa_exception_fp_ieee_underflow 0
		.amdhsa_exception_fp_ieee_inexact 0
		.amdhsa_exception_int_div_zero 0
	.end_amdhsa_kernel
	.section	.text._ZL58rocblas_symv_kernel_lower_double_buffered_diagonal_genericILi32ELi4E24rocblas_internal_val_ptrIdEPKPKdPKPdEvbiT1_lT2_lllSA_lllS9_lT3_lllii,"axG",@progbits,_ZL58rocblas_symv_kernel_lower_double_buffered_diagonal_genericILi32ELi4E24rocblas_internal_val_ptrIdEPKPKdPKPdEvbiT1_lT2_lllSA_lllS9_lT3_lllii,comdat
.Lfunc_end170:
	.size	_ZL58rocblas_symv_kernel_lower_double_buffered_diagonal_genericILi32ELi4E24rocblas_internal_val_ptrIdEPKPKdPKPdEvbiT1_lT2_lllSA_lllS9_lT3_lllii, .Lfunc_end170-_ZL58rocblas_symv_kernel_lower_double_buffered_diagonal_genericILi32ELi4E24rocblas_internal_val_ptrIdEPKPKdPKPdEvbiT1_lT2_lllSA_lllS9_lT3_lllii
                                        ; -- End function
	.set _ZL58rocblas_symv_kernel_lower_double_buffered_diagonal_genericILi32ELi4E24rocblas_internal_val_ptrIdEPKPKdPKPdEvbiT1_lT2_lllSA_lllS9_lT3_lllii.num_vgpr, 70
	.set _ZL58rocblas_symv_kernel_lower_double_buffered_diagonal_genericILi32ELi4E24rocblas_internal_val_ptrIdEPKPKdPKPdEvbiT1_lT2_lllSA_lllS9_lT3_lllii.num_agpr, 0
	.set _ZL58rocblas_symv_kernel_lower_double_buffered_diagonal_genericILi32ELi4E24rocblas_internal_val_ptrIdEPKPKdPKPdEvbiT1_lT2_lllSA_lllS9_lT3_lllii.numbered_sgpr, 54
	.set _ZL58rocblas_symv_kernel_lower_double_buffered_diagonal_genericILi32ELi4E24rocblas_internal_val_ptrIdEPKPKdPKPdEvbiT1_lT2_lllSA_lllS9_lT3_lllii.num_named_barrier, 0
	.set _ZL58rocblas_symv_kernel_lower_double_buffered_diagonal_genericILi32ELi4E24rocblas_internal_val_ptrIdEPKPKdPKPdEvbiT1_lT2_lllSA_lllS9_lT3_lllii.private_seg_size, 0
	.set _ZL58rocblas_symv_kernel_lower_double_buffered_diagonal_genericILi32ELi4E24rocblas_internal_val_ptrIdEPKPKdPKPdEvbiT1_lT2_lllSA_lllS9_lT3_lllii.uses_vcc, 1
	.set _ZL58rocblas_symv_kernel_lower_double_buffered_diagonal_genericILi32ELi4E24rocblas_internal_val_ptrIdEPKPKdPKPdEvbiT1_lT2_lllSA_lllS9_lT3_lllii.uses_flat_scratch, 1
	.set _ZL58rocblas_symv_kernel_lower_double_buffered_diagonal_genericILi32ELi4E24rocblas_internal_val_ptrIdEPKPKdPKPdEvbiT1_lT2_lllSA_lllS9_lT3_lllii.has_dyn_sized_stack, 0
	.set _ZL58rocblas_symv_kernel_lower_double_buffered_diagonal_genericILi32ELi4E24rocblas_internal_val_ptrIdEPKPKdPKPdEvbiT1_lT2_lllSA_lllS9_lT3_lllii.has_recursion, 0
	.set _ZL58rocblas_symv_kernel_lower_double_buffered_diagonal_genericILi32ELi4E24rocblas_internal_val_ptrIdEPKPKdPKPdEvbiT1_lT2_lllSA_lllS9_lT3_lllii.has_indirect_call, 0
	.section	.AMDGPU.csdata,"",@progbits
; Kernel info:
; codeLenInByte = 2748
; TotalNumSgprs: 56
; NumVgprs: 70
; ScratchSize: 0
; MemoryBound: 0
; FloatMode: 240
; IeeeMode: 1
; LDSByteSize: 12544 bytes/workgroup (compile time only)
; SGPRBlocks: 0
; VGPRBlocks: 4
; NumSGPRsForWavesPerEU: 56
; NumVGPRsForWavesPerEU: 70
; NamedBarCnt: 0
; Occupancy: 12
; WaveLimiterHint : 1
; COMPUTE_PGM_RSRC2:SCRATCH_EN: 0
; COMPUTE_PGM_RSRC2:USER_SGPR: 4
; COMPUTE_PGM_RSRC2:TRAP_HANDLER: 0
; COMPUTE_PGM_RSRC2:TGID_X_EN: 1
; COMPUTE_PGM_RSRC2:TGID_Y_EN: 0
; COMPUTE_PGM_RSRC2:TGID_Z_EN: 1
; COMPUTE_PGM_RSRC2:TIDIG_COMP_CNT: 2
	.section	.text._ZL62rocblas_symv_kernel_lower_double_buffered_non_diagonal_genericILi32ELi4ELi4E24rocblas_internal_val_ptrIdEPKPKdPKPdEvbiT2_lT3_lllSA_lllT4_lllii,"axG",@progbits,_ZL62rocblas_symv_kernel_lower_double_buffered_non_diagonal_genericILi32ELi4ELi4E24rocblas_internal_val_ptrIdEPKPKdPKPdEvbiT2_lT3_lllSA_lllT4_lllii,comdat
	.globl	_ZL62rocblas_symv_kernel_lower_double_buffered_non_diagonal_genericILi32ELi4ELi4E24rocblas_internal_val_ptrIdEPKPKdPKPdEvbiT2_lT3_lllSA_lllT4_lllii ; -- Begin function _ZL62rocblas_symv_kernel_lower_double_buffered_non_diagonal_genericILi32ELi4ELi4E24rocblas_internal_val_ptrIdEPKPKdPKPdEvbiT2_lT3_lllSA_lllT4_lllii
	.p2align	8
	.type	_ZL62rocblas_symv_kernel_lower_double_buffered_non_diagonal_genericILi32ELi4ELi4E24rocblas_internal_val_ptrIdEPKPKdPKPdEvbiT2_lT3_lllSA_lllT4_lllii,@function
_ZL62rocblas_symv_kernel_lower_double_buffered_non_diagonal_genericILi32ELi4ELi4E24rocblas_internal_val_ptrIdEPKPKdPKPdEvbiT2_lT3_lllSA_lllT4_lllii: ; @_ZL62rocblas_symv_kernel_lower_double_buffered_non_diagonal_genericILi32ELi4ELi4E24rocblas_internal_val_ptrIdEPKPKdPKPdEvbiT2_lT3_lllSA_lllT4_lllii
; %bb.0:
	s_load_b64 s[12:13], s[0:1], 0x4
	s_clause 0x1
	s_load_b256 s[4:11], s[2:3], 0x8
	s_load_b64 s[20:21], s[2:3], 0x78
	v_bfe_u32 v2, v0, 10, 10
	v_and_b32_e32 v10, 0x3ff, v0
	s_wait_xcnt 0x0
	s_bfe_u32 s0, ttmp6, 0x40014
	s_lshr_b32 s1, ttmp7, 16
	s_add_co_i32 s0, s0, 1
	v_bfe_u32 v0, v0, 20, 10
	s_wait_kmcnt 0x0
	v_mul_u32_u24_e32 v1, s13, v2
	s_lshr_b32 s12, s12, 16
	v_dual_mov_b32 v4, s4 :: v_dual_mov_b32 v5, s5
	s_mul_i32 s12, s12, s13
	s_mul_i32 s4, s1, s0
	v_mad_u32_u24 v1, s12, v10, v1
	s_bfe_u32 s5, ttmp6, 0x40008
	s_getreg_b32 s0, hwreg(HW_REG_IB_STS2, 6, 4)
	s_add_co_i32 s5, s5, s4
	s_cmp_eq_u32 s0, 0
	v_add_lshl_u32 v0, v1, v0, 3
	s_cselect_b32 s4, s1, s5
	s_mov_b32 s5, 0
	s_cmp_ge_u32 s4, s21
	ds_store_b64 v0, v[4:5] offset:6400
	s_cbranch_scc1 .LBB171_38
; %bb.1:
	s_clause 0x1
	s_load_b32 s1, s[2:3], 0x0
	s_load_b64 s[22:23], s[2:3], 0x28
	v_dual_mov_b32 v11, 0 :: v_dual_add_nc_u32 v70, 0x1900, v0
	v_lshl_add_u32 v0, v2, 5, v10
	v_and_b32_e32 v12, 15, v10
	s_clause 0x1
	s_load_b128 s[12:15], s[2:3], 0x38
	s_load_b64 s[24:25], s[2:3], 0x48
	v_dual_mov_b32 v13, v11 :: v_dual_lshlrev_b32 v8, 3, v10
	v_lshrrev_b32_e32 v14, 4, v0
	s_clause 0x1
	s_load_b64 s[26:27], s[2:3], 0x58
	s_load_b128 s[16:19], s[2:3], 0x60
	v_lshlrev_b32_e32 v22, 3, v12
	s_add_nc_u64 s[28:29], s[2:3], 0x80
	v_dual_mov_b32 v17, v11 :: v_dual_bitop2_b32 v16, 16, v12 bitop3:0x54
	v_dual_lshlrev_b32 v4, 2, v14 :: v_dual_lshlrev_b32 v18, 5, v14
	v_lshlrev_b32_e32 v15, 8, v14
	v_add_nc_u32_e32 v71, 0x1800, v8
	v_add_nc_u32_e32 v73, 0x1000, v8
	s_wait_kmcnt 0x0
	s_bitcmp1_b32 s1, 0
	v_mad_nc_u64_u32 v[0:1], s22, v4, v[12:13]
	s_cselect_b32 s1, -1, 0
	s_bfe_u32 s30, ttmp6, 0x40010
	s_bfe_u32 s34, ttmp6, 0x4000c
	s_and_b32 s2, ttmp7, 0xffff
	s_add_co_i32 s30, s30, 1
	s_add_co_i32 s34, s34, 1
	s_bfe_u32 s31, ttmp6, 0x40004
	s_and_b32 s33, ttmp6, 15
	s_xor_b32 s3, s1, -1
	s_mul_i32 s1, s2, s30
	s_mul_i32 s30, ttmp9, s34
	s_add_co_i32 s31, s31, s1
	s_add_co_i32 s33, s33, s30
	s_cmp_eq_u32 s0, 0
	v_mad_u32 v1, s23, v4, v1
	s_cselect_b32 s33, ttmp9, s33
	v_mul_u64_e32 v[4:5], s[24:25], v[12:13]
	v_or_b32_e32 v13, 0x1000, v22
	s_cselect_b32 s66, s2, s31
	s_lshl_b32 s40, s33, 5
	s_add_nc_u64 s[0:1], s[22:23], 1
	s_ashr_i32 s41, s40, 31
	v_add_nc_u32_e32 v74, v13, v15
	s_mul_u64 s[46:47], s[0:1], s[40:41]
	v_cmp_gt_i32_e64 s1, s20, v12
	v_dual_add_nc_u32 v12, 1, v10 :: v_dual_add_nc_u32 v13, 2, v10
	v_dual_add_nc_u32 v15, 3, v10 :: v_dual_lshlrev_b32 v19, 7, v10
	v_add_nc_u32_e32 v72, 0x1800, v18
	s_delay_alu instid0(VALU_DEP_3) | instskip(NEXT) | instid1(VALU_DEP_4)
	v_and_b32_e32 v12, 15, v12
	v_dual_lshlrev_b32 v24, 9, v14 :: v_dual_bitop2_b32 v13, 15, v13 bitop3:0x40
	s_delay_alu instid0(VALU_DEP_4) | instskip(SKIP_1) | instid1(VALU_DEP_4)
	v_and_b32_e32 v15, 15, v15
	v_mul_u64_e32 v[6:7], s[24:25], v[16:17]
	v_lshl_or_b32 v76, v12, 3, v19
	v_add_nc_u32_e32 v12, 4, v10
	v_lshl_or_b32 v77, v13, 3, v19
	v_lshl_or_b32 v78, v15, 3, v19
	v_dual_mov_b32 v15, v11 :: v_dual_add_nc_u32 v20, 7, v10
	s_delay_alu instid0(VALU_DEP_4) | instskip(SKIP_2) | instid1(VALU_DEP_4)
	v_and_b32_e32 v21, 15, v12
	v_cmp_gt_i32_e64 s2, s20, v16
	v_dual_add_nc_u32 v16, 5, v10 :: v_dual_add_nc_u32 v17, 6, v10
	v_mul_u64_e32 v[12:13], s[22:23], v[14:15]
	v_cmp_eq_u32_e64 s0, 0, v2
	v_mul_u64_e32 v[2:3], s[24:25], v[10:11]
	s_delay_alu instid0(VALU_DEP_4) | instskip(SKIP_3) | instid1(VALU_DEP_4)
	v_and_b32_e32 v14, 15, v16
	v_and_b32_e32 v15, 15, v17
	v_dual_add_nc_u32 v17, 9, v10 :: v_dual_bitop2_b32 v16, 15, v20 bitop3:0x40
	v_mul_u64_e32 v[8:9], s[18:19], v[10:11]
	v_lshl_or_b32 v80, v14, 3, v19
	v_bitop3_b32 v14, v10, 8, 15 bitop3:0x6c
	s_delay_alu instid0(VALU_DEP_4)
	v_lshl_or_b32 v82, v16, 3, v19
	v_add_nc_u32_e32 v16, 10, v10
	v_lshl_or_b32 v81, v15, 3, v19
	v_dual_add_nc_u32 v20, 12, v10 :: v_dual_bitop2_b32 v15, 15, v17 bitop3:0x40
	v_add_nc_u32_e32 v17, 11, v10
	v_lshl_or_b32 v83, v14, 3, v19
	v_and_b32_e32 v14, 15, v16
	s_delay_alu instid0(VALU_DEP_4) | instskip(SKIP_4) | instid1(VALU_DEP_3)
	v_lshl_or_b32 v84, v15, 3, v19
	v_cmp_gt_i32_e32 vcc_lo, s20, v10
	v_dual_add_nc_u32 v17, 13, v10 :: v_dual_bitop2_b32 v15, 15, v17 bitop3:0x40
	v_lshl_or_b32 v79, v21, 3, v19
	v_dual_add_nc_u32 v20, 14, v10 :: v_dual_bitop2_b32 v16, 15, v20 bitop3:0x40
	v_dual_add_nc_u32 v10, -1, v10 :: v_dual_bitop2_b32 v21, 15, v17 bitop3:0x40
	v_dual_mov_b32 v23, v11 :: v_dual_bitop2_b32 v25, 16, v18 bitop3:0x54
	v_dual_add_nc_u32 v91, v22, v24 :: v_dual_bitop2_b32 v26, 24, v18 bitop3:0x54
	v_or_b32_e32 v18, 8, v18
	v_lshl_or_b32 v85, v14, 3, v19
	v_lshl_or_b32 v86, v15, 3, v19
	;; [unrolled: 1-line block ×3, first 2 shown]
	v_and_b32_e32 v27, 15, v10
	v_lshlrev_b64_e32 v[16:17], 5, v[12:13]
	v_mad_nc_u64_u32 v[10:11], s22, v25, v[22:23]
	v_mad_nc_u64_u32 v[12:13], s22, v26, v[22:23]
	;; [unrolled: 1-line block ×3, first 2 shown]
	v_and_b32_e32 v20, 15, v20
	s_mul_u64 s[44:45], s[24:25], s[40:41]
	s_mul_u64 s[48:49], s[18:19], s[40:41]
	s_lshl_b64 s[40:41], s[40:41], 3
	v_or_b32_e32 v75, v19, v22
	v_lshl_or_b32 v88, v21, 3, v19
	v_lshl_or_b32 v89, v20, 3, v19
	v_dual_mov_b32 v21, s41 :: v_dual_bitop2_b32 v20, s40, v22 bitop3:0x54
	v_mad_u32 v11, s23, v25, v11
	v_mad_u32 v13, s23, v26, v13
	;; [unrolled: 1-line block ×3, first 2 shown]
	v_lshl_or_b32 v90, v27, 3, v19
	v_add_nc_u64_e32 v[16:17], v[16:17], v[22:23]
	v_add_nc_u64_e32 v[18:19], 0x200, v[20:21]
	;; [unrolled: 1-line block ×3, first 2 shown]
	s_lshl_b64 s[52:53], s[24:25], 5
	s_lshl_b64 s[50:51], s[22:23], 3
	s_not_b32 s67, s33
	s_lshl_b32 s68, s66, 5
	s_lshl_b64 s[30:31], s[22:23], 4
	s_mul_u64 s[34:35], s[22:23], 24
	s_lshl_b64 s[36:37], s[18:19], 8
	s_mul_u64 s[38:39], s[22:23], 3
	s_and_b32 s20, s0, vcc_lo
	s_lshl_b64 s[42:43], s[24:25], 8
	s_lshl_b64 s[14:15], s[14:15], 3
	;; [unrolled: 1-line block ×7, first 2 shown]
	s_sub_nc_u64 s[50:51], 0, s[50:51]
	s_lshl_b64 s[52:53], s[52:53], 3
	s_branch .LBB171_3
.LBB171_2:                              ;   in Loop: Header=BB171_3 Depth=1
	s_wait_xcnt 0x0
	s_or_b32 exec_lo, exec_lo, s69
	s_add_co_i32 s4, s4, 0x10000
	s_delay_alu instid0(SALU_CYCLE_1)
	s_cmp_lt_u32 s4, s21
	s_cbranch_scc0 .LBB171_38
.LBB171_3:                              ; =>This Loop Header: Depth=1
                                        ;     Child Loop BB171_19 Depth 2
	s_and_b32 vcc_lo, exec_lo, s3
	s_mov_b32 s54, -1
                                        ; implicit-def: $vgpr22_vgpr23
	s_cbranch_vccz .LBB171_5
; %bb.4:                                ;   in Loop: Header=BB171_3 Depth=1
	ds_load_b64 v[22:23], v70
	s_mul_u64 s[54:55], s[6:7], s[4:5]
	s_wait_dscnt 0x0
	v_lshl_add_u64 v[22:23], s[54:55], 3, v[22:23]
	s_mov_b32 s54, 0
	flat_load_b64 v[22:23], v[22:23]
.LBB171_5:                              ;   in Loop: Header=BB171_3 Depth=1
	s_and_not1_b32 vcc_lo, exec_lo, s54
	s_cbranch_vccnz .LBB171_7
; %bb.6:                                ;   in Loop: Header=BB171_3 Depth=1
	s_wait_loadcnt_dscnt 0x0
	s_wait_xcnt 0x0
	ds_load_b64 v[22:23], v70
.LBB171_7:                              ;   in Loop: Header=BB171_3 Depth=1
	s_mov_b32 s69, exec_lo
	s_wait_loadcnt_dscnt 0x0
	s_wait_xcnt 0x0
	v_cmpx_neq_f64_e32 0, v[22:23]
	s_cbranch_execz .LBB171_2
; %bb.8:                                ;   in Loop: Header=BB171_3 Depth=1
	s_load_b64 s[54:55], s[28:29], 0x0
	s_wait_kmcnt 0x0
	s_add_co_i32 s60, s54, -1
	s_delay_alu instid0(SALU_CYCLE_1)
	s_cmp_eq_u32 s33, s60
	s_cbranch_scc1 .LBB171_2
; %bb.9:                                ;   in Loop: Header=BB171_3 Depth=1
	v_mov_b32_e32 v24, s4
	s_clause 0x1
	global_load_b64 v[26:27], v24, s[12:13] scale_offset
	global_load_b64 v[24:25], v24, s[8:9] scale_offset
	s_wait_loadcnt 0x1
	v_readfirstlane_b32 s56, v26
	v_readfirstlane_b32 s57, v27
	s_add_nc_u64 s[56:57], s[56:57], s[14:15]
	s_delay_alu instid0(SALU_CYCLE_1)
	s_add_nc_u64 s[58:59], s[56:57], s[44:45]
	s_wait_xcnt 0x0
	s_and_saveexec_b32 s61, s0
	s_cbranch_execz .LBB171_11
; %bb.10:                               ;   in Loop: Header=BB171_3 Depth=1
	v_lshl_add_u64 v[26:27], v[2:3], 3, s[58:59]
	flat_load_b64 v[26:27], v[26:27]
	s_wait_loadcnt_dscnt 0x0
	ds_store_b64 v71, v[26:27]
.LBB171_11:                             ;   in Loop: Header=BB171_3 Depth=1
	s_wait_xcnt 0x0
	s_or_b32 exec_lo, exec_lo, s61
	s_cvt_f32_u32 s61, s55
	s_sub_co_i32 s62, 0, s55
	s_add_co_i32 s63, s60, s67
	s_delay_alu instid0(SALU_CYCLE_1) | instskip(SKIP_1) | instid1(TRANS32_DEP_1)
	v_rcp_iflag_f32_e32 v26, s61
	v_nop
	v_readfirstlane_b32 s61, v26
	s_mul_f32 s61, s61, 0x4f7ffffe
	s_delay_alu instid0(SALU_CYCLE_3) | instskip(NEXT) | instid1(SALU_CYCLE_3)
	s_cvt_u32_f32 s61, s61
	s_mul_i32 s62, s62, s61
	s_delay_alu instid0(SALU_CYCLE_1) | instskip(NEXT) | instid1(SALU_CYCLE_1)
	s_mul_hi_u32 s62, s61, s62
	s_add_co_i32 s61, s61, s62
	s_delay_alu instid0(SALU_CYCLE_1) | instskip(SKIP_4) | instid1(SALU_CYCLE_1)
	s_mul_hi_u32 s62, s63, s61
	s_load_b64 s[60:61], s[26:27], s4 offset:0x0 scale_offset
	s_mul_i32 s64, s62, s55
	s_add_co_i32 s65, s62, 1
	s_sub_co_i32 s64, s63, s64
	s_sub_co_i32 s70, s64, s55
	s_cmp_ge_u32 s64, s55
	s_cselect_b32 s62, s65, s62
	s_cselect_b32 s64, s70, s64
	s_add_co_i32 s65, s62, 1
	s_cmp_ge_u32 s64, s55
	s_cselect_b32 s62, s65, s62
	s_add_co_i32 s64, s55, -1
	s_mov_b32 s71, s62
	s_cmp_eq_u32 s66, s64
	s_cselect_b32 s70, -1, 0
	s_cmp_lg_u32 s66, s64
	s_cbranch_scc1 .LBB171_13
; %bb.12:                               ;   in Loop: Header=BB171_3 Depth=1
	s_mul_i32 s55, s62, s55
	s_delay_alu instid0(SALU_CYCLE_1) | instskip(NEXT) | instid1(SALU_CYCLE_1)
	s_sub_co_i32 s55, s63, s55
	s_add_co_i32 s71, s55, s62
.LBB171_13:                             ;   in Loop: Header=BB171_3 Depth=1
	s_cmp_lg_u32 s66, s64
	s_cselect_b32 s55, -1, 0
	s_cmp_eq_u32 s71, 0
	s_cselect_b32 s63, -1, 0
	s_delay_alu instid0(SALU_CYCLE_1) | instskip(NEXT) | instid1(SALU_CYCLE_1)
	s_and_b32 s55, s55, s63
	s_and_b32 vcc_lo, exec_lo, s55
	s_cbranch_vccnz .LBB171_2
; %bb.14:                               ;   in Loop: Header=BB171_3 Depth=1
	s_wait_loadcnt 0x0
	v_add_nc_u64_e32 v[26:27], s[10:11], v[24:25]
	s_mul_i32 s64, s68, s62
	v_mov_b64_e32 v[24:25], 0
	s_ashr_i32 s65, s64, 31
	v_mov_b64_e32 v[46:47], 0
	s_mul_u64 s[62:63], s[24:25], s[64:65]
	v_mov_b64_e32 v[38:39], 0
	v_add_nc_u64_e32 v[26:27], s[46:47], v[26:27]
	s_lshl_b64 s[72:73], s[62:63], 3
	s_lshl_b64 s[62:63], s[64:65], 3
	v_mov_b64_e32 v[50:51], 0
	v_mov_b64_e32 v[52:53], 0
	;; [unrolled: 1-line block ×3, first 2 shown]
	s_add_co_i32 s54, s54, -2
	v_add_nc_u64_e32 v[34:35], s[62:63], v[26:27]
	s_add_nc_u64 s[58:59], s[58:59], s[72:73]
	s_cmp_ge_u32 s33, s54
	s_wait_dscnt 0x0
	s_barrier_signal -1
	s_barrier_wait -1
	s_cbranch_scc1 .LBB171_16
; %bb.15:                               ;   in Loop: Header=BB171_3 Depth=1
	v_lshl_add_u64 v[26:27], v[0:1], 3, v[34:35]
	s_add_nc_u64 s[54:55], s[58:59], s[52:53]
	s_delay_alu instid0(SALU_CYCLE_1) | instskip(NEXT) | instid1(VALU_DEP_2)
	v_lshl_add_u64 v[36:37], v[4:5], 3, s[54:55]
	v_add_nc_u64_e32 v[30:31], s[30:31], v[26:27]
	v_lshl_add_u64 v[28:29], s[22:23], 3, v[26:27]
	v_add_nc_u64_e32 v[32:33], s[34:35], v[26:27]
	s_clause 0x3
	flat_load_b64 v[38:39], v[26:27] offset:256
	flat_load_b64 v[50:51], v[28:29] offset:256
	;; [unrolled: 1-line block ×4, first 2 shown]
	flat_load_b64 v[46:47], v[36:37]
.LBB171_16:                             ;   in Loop: Header=BB171_3 Depth=1
	s_wait_kmcnt 0x0
	s_add_nc_u64 s[54:55], s[60:61], s[16:17]
	s_mul_u64 s[60:61], s[18:19], s[64:65]
	s_add_nc_u64 s[54:55], s[54:55], s[48:49]
	s_lshl_b64 s[60:61], s[60:61], 3
	s_cmp_lt_i32 s71, 1
	s_add_nc_u64 s[60:61], s[54:55], s[60:61]
	s_cbranch_scc1 .LBB171_23
; %bb.17:                               ;   in Loop: Header=BB171_3 Depth=1
	v_mov_b64_e32 v[24:25], 0
	s_cmp_eq_u32 s71, 1
	s_cbranch_scc1 .LBB171_24
; %bb.18:                               ;   in Loop: Header=BB171_3 Depth=1
	v_add_nc_u64_e32 v[24:25], s[62:63], v[18:19]
	s_wait_xcnt 0x0
	v_add_nc_u64_e32 v[26:27], s[62:63], v[20:21]
	v_mov_b64_e32 v[30:31], 0
	v_mov_b64_e32 v[28:29], 0
	;; [unrolled: 1-line block ×3, first 2 shown]
	s_add_nc_u64 s[58:59], s[40:41], s[62:63]
	s_add_co_i32 s60, s71, -1
	v_mul_u64_e32 v[56:57], s[24:25], v[24:25]
	v_mul_u64_e32 v[58:59], s[24:25], v[26:27]
	v_mov_b64_e32 v[26:27], 0
	v_mov_b64_e32 v[24:25], 0
	s_mul_u64 s[58:59], s[24:25], s[58:59]
.LBB171_19:                             ;   Parent Loop BB171_3 Depth=1
                                        ; =>  This Inner Loop Header: Depth=2
	v_add_nc_u64_e32 v[36:37], v[34:35], v[16:17]
	v_add_nc_u64_e32 v[40:41], v[34:35], v[14:15]
	;; [unrolled: 1-line block ×6, first 2 shown]
	s_clause 0x3
	flat_load_b64 v[60:61], v[36:37] offset:384
	flat_load_b64 v[62:63], v[40:41] offset:384
	;; [unrolled: 1-line block ×4, first 2 shown]
	flat_load_b64 v[68:69], v[44:45]
	s_clause 0x3
	flat_load_b64 v[44:45], v[40:41] offset:512
	flat_load_b64 v[48:49], v[36:37] offset:512
	;; [unrolled: 1-line block ×4, first 2 shown]
	flat_load_b64 v[36:37], v[94:95]
	s_wait_xcnt 0x0
	ds_load_b128 v[92:95], v72
	ds_load_b128 v[96:99], v72 offset:16
	s_wait_loadcnt_dscnt 0x0
	s_barrier_signal -1
	s_barrier_wait -1
	v_fma_f64 v[100:101], v[38:39], v[92:93], 0
	s_delay_alu instid0(VALU_DEP_1) | instskip(NEXT) | instid1(VALU_DEP_1)
	v_fmac_f64_e32 v[100:101], v[50:51], v[94:95]
	v_fmac_f64_e32 v[100:101], v[52:53], v[96:97]
	s_delay_alu instid0(VALU_DEP_1) | instskip(SKIP_1) | instid1(VALU_DEP_1)
	v_fmac_f64_e32 v[100:101], v[54:55], v[98:99]
	v_fma_f64 v[92:93], v[60:61], v[92:93], 0
	v_fmac_f64_e32 v[92:93], v[62:63], v[94:95]
	s_delay_alu instid0(VALU_DEP_1) | instskip(NEXT) | instid1(VALU_DEP_1)
	v_fmac_f64_e32 v[92:93], v[64:65], v[96:97]
	v_fmac_f64_e32 v[92:93], v[66:67], v[98:99]
	ds_store_2addr_b64 v74, v[100:101], v[92:93] offset1:16
	s_wait_dscnt 0x0
	s_barrier_signal -1
	s_barrier_wait -1
	s_and_saveexec_b32 s61, s0
	s_cbranch_execz .LBB171_21
; %bb.20:                               ;   in Loop: Header=BB171_19 Depth=2
	ds_load_2addr_b64 v[92:95], v73 offset1:32
	v_add_nc_u64_e32 v[32:33], s[36:37], v[32:33]
	s_wait_dscnt 0x0
	v_add_f64_e32 v[92:93], 0, v[92:93]
	s_delay_alu instid0(VALU_DEP_1) | instskip(SKIP_3) | instid1(VALU_DEP_1)
	v_add_f64_e32 v[96:97], v[92:93], v[94:95]
	ds_load_2addr_b64 v[92:95], v73 offset0:64 offset1:96
	s_wait_dscnt 0x0
	v_add_f64_e32 v[92:93], v[96:97], v[92:93]
	v_add_f64_e32 v[96:97], v[92:93], v[94:95]
	ds_load_2addr_b64 v[92:95], v73 offset0:128 offset1:160
	s_wait_dscnt 0x0
	v_add_f64_e32 v[92:93], v[96:97], v[92:93]
	s_delay_alu instid0(VALU_DEP_1) | instskip(SKIP_3) | instid1(VALU_DEP_1)
	v_add_f64_e32 v[96:97], v[92:93], v[94:95]
	ds_load_2addr_b64 v[92:95], v73 offset0:192 offset1:224
	s_wait_dscnt 0x0
	v_add_f64_e32 v[92:93], v[96:97], v[92:93]
	v_add_f64_e32 v[92:93], v[92:93], v[94:95]
	v_lshl_add_u64 v[94:95], v[8:9], 3, v[32:33]
	s_delay_alu instid0(VALU_DEP_2)
	v_mul_f64_e32 v[92:93], v[22:23], v[92:93]
	flat_atomic_add_f64 v[94:95], v[92:93] scope:SCOPE_DEV
.LBB171_21:                             ;   in Loop: Header=BB171_19 Depth=2
	s_wait_xcnt 0x0
	s_or_b32 exec_lo, exec_lo, s61
	v_fmac_f64_e32 v[26:27], v[46:47], v[38:39]
	v_fmac_f64_e32 v[30:31], v[46:47], v[50:51]
	;; [unrolled: 1-line block ×4, first 2 shown]
	v_add_nc_u64_e32 v[34:35], 0x100, v[34:35]
	s_add_co_i32 s60, s60, -1
	s_add_nc_u64 s[56:57], s[56:57], s[42:43]
	s_cmp_eq_u32 s60, 0
	v_fmac_f64_e32 v[26:27], v[68:69], v[60:61]
	v_fmac_f64_e32 v[30:31], v[68:69], v[62:63]
	;; [unrolled: 1-line block ×4, first 2 shown]
	s_cbranch_scc1 .LBB171_25
; %bb.22:                               ;   in Loop: Header=BB171_19 Depth=2
	v_mov_b64_e32 v[46:47], v[36:37]
	v_mov_b64_e32 v[38:39], v[48:49]
	;; [unrolled: 1-line block ×5, first 2 shown]
	s_branch .LBB171_19
.LBB171_23:                             ;   in Loop: Header=BB171_3 Depth=1
	s_wait_xcnt 0x0
	v_mov_b64_e32 v[32:33], s[60:61]
	v_mov_b64_e32 v[28:29], 0
	;; [unrolled: 1-line block ×4, first 2 shown]
	s_wait_loadcnt_dscnt 0x404
	v_mov_b64_e32 v[38:39], 0
	s_wait_loadcnt_dscnt 0x0
	v_mov_b64_e32 v[36:37], v[46:47]
	s_and_b32 vcc_lo, exec_lo, s70
	s_cbranch_vccnz .LBB171_29
	s_branch .LBB171_36
.LBB171_24:                             ;   in Loop: Header=BB171_3 Depth=1
	s_wait_xcnt 0x0
	v_mov_b64_e32 v[32:33], s[60:61]
	s_wait_loadcnt_dscnt 0x101
	v_mov_b64_e32 v[40:41], v[54:55]
	v_mov_b64_e32 v[42:43], v[52:53]
	;; [unrolled: 1-line block ×7, first 2 shown]
	s_wait_loadcnt_dscnt 0x0
	v_mov_b64_e32 v[36:37], v[46:47]
	s_branch .LBB171_26
.LBB171_25:                             ;   in Loop: Header=BB171_3 Depth=1
	s_add_nc_u64 s[58:59], s[56:57], s[58:59]
.LBB171_26:                             ;   in Loop: Header=BB171_3 Depth=1
	v_lshl_add_u64 v[38:39], v[0:1], 3, v[34:35]
	s_add_nc_u64 s[58:59], s[58:59], s[52:53]
	s_delay_alu instid0(VALU_DEP_1) | instskip(NEXT) | instid1(VALU_DEP_1)
	v_lshl_add_u64 v[50:51], s[38:39], 3, v[38:39]
	v_add_nc_u64_e32 v[46:47], s[50:51], v[50:51]
	s_delay_alu instid0(VALU_DEP_1)
	v_add_nc_u64_e32 v[52:53], s[50:51], v[46:47]
	s_clause 0x3
	flat_load_b64 v[46:47], v[46:47] offset:384
	flat_load_b64 v[52:53], v[52:53] offset:384
	;; [unrolled: 1-line block ×4, first 2 shown]
	s_wait_xcnt 0x1
	v_lshl_add_u64 v[38:39], v[6:7], 3, s[58:59]
	flat_load_b64 v[38:39], v[38:39]
	ds_load_b128 v[56:59], v72
	ds_load_b128 v[60:63], v72 offset:16
	s_wait_storecnt 0x0
	s_wait_loadcnt_dscnt 0x0
	s_barrier_signal -1
	s_barrier_wait -1
	v_fma_f64 v[64:65], v[48:49], v[56:57], 0
	s_delay_alu instid0(VALU_DEP_1) | instskip(NEXT) | instid1(VALU_DEP_1)
	v_fmac_f64_e32 v[64:65], v[44:45], v[58:59]
	v_fmac_f64_e32 v[64:65], v[42:43], v[60:61]
	s_delay_alu instid0(VALU_DEP_1) | instskip(SKIP_1) | instid1(VALU_DEP_1)
	v_fmac_f64_e32 v[64:65], v[40:41], v[62:63]
	v_fma_f64 v[56:57], v[54:55], v[56:57], 0
	v_fmac_f64_e32 v[56:57], v[52:53], v[58:59]
	s_delay_alu instid0(VALU_DEP_1) | instskip(NEXT) | instid1(VALU_DEP_1)
	v_fmac_f64_e32 v[56:57], v[46:47], v[60:61]
	v_fmac_f64_e32 v[56:57], v[50:51], v[62:63]
	ds_store_2addr_b64 v74, v[64:65], v[56:57] offset1:16
	s_wait_dscnt 0x0
	s_barrier_signal -1
	s_barrier_wait -1
	s_and_saveexec_b32 s56, s0
	s_cbranch_execz .LBB171_28
; %bb.27:                               ;   in Loop: Header=BB171_3 Depth=1
	ds_load_2addr_b64 v[56:59], v73 offset1:32
	v_add_nc_u64_e32 v[32:33], s[36:37], v[32:33]
	s_wait_dscnt 0x0
	v_add_f64_e32 v[56:57], 0, v[56:57]
	s_delay_alu instid0(VALU_DEP_1) | instskip(SKIP_3) | instid1(VALU_DEP_1)
	v_add_f64_e32 v[60:61], v[56:57], v[58:59]
	ds_load_2addr_b64 v[56:59], v73 offset0:64 offset1:96
	s_wait_dscnt 0x0
	v_add_f64_e32 v[56:57], v[60:61], v[56:57]
	v_add_f64_e32 v[60:61], v[56:57], v[58:59]
	ds_load_2addr_b64 v[56:59], v73 offset0:128 offset1:160
	s_wait_dscnt 0x0
	v_add_f64_e32 v[56:57], v[60:61], v[56:57]
	s_delay_alu instid0(VALU_DEP_1) | instskip(SKIP_3) | instid1(VALU_DEP_1)
	v_add_f64_e32 v[60:61], v[56:57], v[58:59]
	ds_load_2addr_b64 v[56:59], v73 offset0:192 offset1:224
	s_wait_dscnt 0x0
	v_add_f64_e32 v[56:57], v[60:61], v[56:57]
	v_add_f64_e32 v[56:57], v[56:57], v[58:59]
	v_lshl_add_u64 v[58:59], v[8:9], 3, v[32:33]
	s_delay_alu instid0(VALU_DEP_2)
	v_mul_f64_e32 v[56:57], v[22:23], v[56:57]
	flat_atomic_add_f64 v[58:59], v[56:57] scope:SCOPE_DEV
.LBB171_28:                             ;   in Loop: Header=BB171_3 Depth=1
	s_wait_xcnt 0x0
	s_or_b32 exec_lo, exec_lo, s56
	v_fmac_f64_e32 v[26:27], v[36:37], v[48:49]
	v_fmac_f64_e32 v[30:31], v[36:37], v[44:45]
	;; [unrolled: 1-line block ×4, first 2 shown]
	v_add_nc_u64_e32 v[34:35], 0x100, v[34:35]
	v_fmac_f64_e32 v[26:27], v[38:39], v[54:55]
	v_fmac_f64_e32 v[30:31], v[38:39], v[52:53]
	;; [unrolled: 1-line block ×4, first 2 shown]
	s_and_b32 vcc_lo, exec_lo, s70
	s_cbranch_vccz .LBB171_36
.LBB171_29:                             ;   in Loop: Header=BB171_3 Depth=1
	v_mov_b64_e32 v[40:41], 0
	v_mov_b64_e32 v[42:43], 0
	;; [unrolled: 1-line block ×5, first 2 shown]
	s_add_nc_u64 s[56:57], s[58:59], s[52:53]
	s_and_saveexec_b32 s58, s1
	s_cbranch_execz .LBB171_31
; %bb.30:                               ;   in Loop: Header=BB171_3 Depth=1
	v_lshl_add_u64 v[36:37], v[0:1], 3, v[34:35]
	v_lshl_add_u64 v[50:51], v[4:5], 3, s[56:57]
	s_delay_alu instid0(VALU_DEP_2)
	v_add_nc_u64_e32 v[46:47], s[30:31], v[36:37]
	v_add_nc_u64_e32 v[48:49], s[34:35], v[36:37]
	v_lshl_add_u64 v[44:45], s[22:23], 3, v[36:37]
	s_clause 0x3
	flat_load_b64 v[42:43], v[36:37] offset:256
	flat_load_b64 v[44:45], v[44:45] offset:256
	;; [unrolled: 1-line block ×4, first 2 shown]
	flat_load_b64 v[36:37], v[50:51]
.LBB171_31:                             ;   in Loop: Header=BB171_3 Depth=1
	s_wait_xcnt 0x0
	s_or_b32 exec_lo, exec_lo, s58
	v_mov_b64_e32 v[50:51], 0
	v_mov_b64_e32 v[52:53], 0
	;; [unrolled: 1-line block ×3, first 2 shown]
	s_and_saveexec_b32 s58, s2
	s_cbranch_execz .LBB171_33
; %bb.32:                               ;   in Loop: Header=BB171_3 Depth=1
	v_lshl_add_u64 v[34:35], v[0:1], 3, v[34:35]
	v_lshl_add_u64 v[56:57], v[6:7], 3, s[56:57]
	s_delay_alu instid0(VALU_DEP_2)
	v_add_nc_u64_e32 v[38:39], s[30:31], v[34:35]
	v_add_nc_u64_e32 v[54:55], s[34:35], v[34:35]
	v_lshl_add_u64 v[50:51], s[22:23], 3, v[34:35]
	s_clause 0x3
	flat_load_b64 v[40:41], v[34:35] offset:384
	flat_load_b64 v[50:51], v[50:51] offset:384
	;; [unrolled: 1-line block ×4, first 2 shown]
	flat_load_b64 v[38:39], v[56:57]
.LBB171_33:                             ;   in Loop: Header=BB171_3 Depth=1
	s_wait_xcnt 0x0
	s_or_b32 exec_lo, exec_lo, s58
	ds_load_b128 v[56:59], v72
	ds_load_b128 v[60:63], v72 offset:16
	s_wait_storecnt 0x0
	s_wait_loadcnt_dscnt 0x0
	s_barrier_signal -1
	s_barrier_wait -1
	v_fma_f64 v[34:35], v[40:41], v[56:57], 0
	v_fma_f64 v[56:57], v[42:43], v[56:57], 0
	s_delay_alu instid0(VALU_DEP_2) | instskip(NEXT) | instid1(VALU_DEP_2)
	v_fmac_f64_e32 v[34:35], v[50:51], v[58:59]
	v_fmac_f64_e32 v[56:57], v[44:45], v[58:59]
	s_delay_alu instid0(VALU_DEP_2) | instskip(NEXT) | instid1(VALU_DEP_2)
	v_fmac_f64_e32 v[34:35], v[52:53], v[60:61]
	v_fmac_f64_e32 v[56:57], v[46:47], v[60:61]
	;; [unrolled: 3-line block ×3, first 2 shown]
	ds_store_2addr_b64 v74, v[56:57], v[34:35] offset1:16
	s_wait_dscnt 0x0
	s_barrier_signal -1
	s_barrier_wait -1
	s_and_saveexec_b32 s56, s20
	s_cbranch_execz .LBB171_35
; %bb.34:                               ;   in Loop: Header=BB171_3 Depth=1
	ds_load_2addr_b64 v[56:59], v73 offset1:32
	v_add_nc_u64_e32 v[32:33], s[36:37], v[32:33]
	s_delay_alu instid0(VALU_DEP_1) | instskip(SKIP_2) | instid1(VALU_DEP_1)
	v_lshl_add_u64 v[32:33], v[8:9], 3, v[32:33]
	s_wait_dscnt 0x0
	v_add_f64_e32 v[34:35], 0, v[56:57]
	v_add_f64_e32 v[34:35], v[34:35], v[58:59]
	ds_load_2addr_b64 v[56:59], v73 offset0:64 offset1:96
	s_wait_dscnt 0x0
	v_add_f64_e32 v[34:35], v[34:35], v[56:57]
	s_delay_alu instid0(VALU_DEP_1) | instskip(SKIP_3) | instid1(VALU_DEP_1)
	v_add_f64_e32 v[34:35], v[34:35], v[58:59]
	ds_load_2addr_b64 v[56:59], v73 offset0:128 offset1:160
	s_wait_dscnt 0x0
	v_add_f64_e32 v[34:35], v[34:35], v[56:57]
	v_add_f64_e32 v[34:35], v[34:35], v[58:59]
	ds_load_2addr_b64 v[56:59], v73 offset0:192 offset1:224
	s_wait_dscnt 0x0
	v_add_f64_e32 v[34:35], v[34:35], v[56:57]
	s_delay_alu instid0(VALU_DEP_1) | instskip(NEXT) | instid1(VALU_DEP_1)
	v_add_f64_e32 v[34:35], v[34:35], v[58:59]
	v_mul_f64_e32 v[34:35], v[22:23], v[34:35]
	flat_atomic_add_f64 v[32:33], v[34:35] scope:SCOPE_DEV
.LBB171_35:                             ;   in Loop: Header=BB171_3 Depth=1
	s_wait_xcnt 0x0
	s_or_b32 exec_lo, exec_lo, s56
	v_fmac_f64_e32 v[26:27], v[36:37], v[42:43]
	v_fmac_f64_e32 v[30:31], v[36:37], v[44:45]
	;; [unrolled: 1-line block ×4, first 2 shown]
	s_delay_alu instid0(VALU_DEP_4) | instskip(NEXT) | instid1(VALU_DEP_4)
	v_fmac_f64_e32 v[26:27], v[38:39], v[40:41]
	v_fmac_f64_e32 v[30:31], v[38:39], v[50:51]
	s_delay_alu instid0(VALU_DEP_4) | instskip(NEXT) | instid1(VALU_DEP_4)
	v_fmac_f64_e32 v[28:29], v[38:39], v[52:53]
	v_fmac_f64_e32 v[24:25], v[38:39], v[54:55]
.LBB171_36:                             ;   in Loop: Header=BB171_3 Depth=1
	ds_store_2addr_b64 v91, v[26:27], v[30:31] offset1:16
	ds_store_2addr_b64 v91, v[28:29], v[24:25] offset0:32 offset1:48
	s_wait_storecnt_dscnt 0x0
	s_barrier_signal -1
	s_barrier_wait -1
	s_and_b32 exec_lo, exec_lo, s0
	s_cbranch_execz .LBB171_2
; %bb.37:                               ;   in Loop: Header=BB171_3 Depth=1
	ds_load_b64 v[24:25], v75
	ds_load_b64 v[26:27], v76
	ds_load_b64 v[28:29], v77
	ds_load_b64 v[30:31], v78
	s_wait_dscnt 0x3
	v_add_f64_e32 v[24:25], 0, v[24:25]
	s_wait_dscnt 0x2
	s_delay_alu instid0(VALU_DEP_1) | instskip(SKIP_1) | instid1(VALU_DEP_1)
	v_add_f64_e32 v[24:25], v[24:25], v[26:27]
	s_wait_dscnt 0x1
	v_add_f64_e32 v[24:25], v[24:25], v[28:29]
	s_wait_dscnt 0x0
	s_delay_alu instid0(VALU_DEP_1)
	v_add_f64_e32 v[24:25], v[24:25], v[30:31]
	ds_load_b64 v[26:27], v79
	ds_load_b64 v[28:29], v80
	ds_load_b64 v[30:31], v81
	ds_load_b64 v[32:33], v82
	s_wait_dscnt 0x3
	v_add_f64_e32 v[24:25], v[24:25], v[26:27]
	s_wait_dscnt 0x2
	s_delay_alu instid0(VALU_DEP_1) | instskip(SKIP_1) | instid1(VALU_DEP_1)
	v_add_f64_e32 v[24:25], v[24:25], v[28:29]
	s_wait_dscnt 0x1
	v_add_f64_e32 v[24:25], v[24:25], v[30:31]
	s_wait_dscnt 0x0
	s_delay_alu instid0(VALU_DEP_1)
	v_add_f64_e32 v[24:25], v[24:25], v[32:33]
	;; [unrolled: 14-line block ×3, first 2 shown]
	ds_load_b64 v[26:27], v87
	ds_load_b64 v[28:29], v88
	;; [unrolled: 1-line block ×4, first 2 shown]
	s_wait_dscnt 0x3
	v_add_f64_e32 v[24:25], v[24:25], v[26:27]
	s_wait_dscnt 0x2
	s_delay_alu instid0(VALU_DEP_1) | instskip(SKIP_1) | instid1(VALU_DEP_1)
	v_add_f64_e32 v[24:25], v[24:25], v[28:29]
	s_wait_dscnt 0x1
	v_add_f64_e32 v[24:25], v[24:25], v[30:31]
	s_wait_dscnt 0x0
	s_delay_alu instid0(VALU_DEP_1) | instskip(NEXT) | instid1(VALU_DEP_1)
	v_add_f64_e32 v[24:25], v[24:25], v[32:33]
	v_mul_f64_e32 v[22:23], v[22:23], v[24:25]
	v_lshl_add_u64 v[24:25], v[8:9], 3, s[54:55]
	flat_atomic_add_f64 v[24:25], v[22:23] scope:SCOPE_DEV
	s_branch .LBB171_2
.LBB171_38:
	s_sendmsg sendmsg(MSG_DEALLOC_VGPRS)
	s_endpgm
	.section	.rodata,"a",@progbits
	.p2align	6, 0x0
	.amdhsa_kernel _ZL62rocblas_symv_kernel_lower_double_buffered_non_diagonal_genericILi32ELi4ELi4E24rocblas_internal_val_ptrIdEPKPKdPKPdEvbiT2_lT3_lllSA_lllT4_lllii
		.amdhsa_group_segment_fixed_size 7424
		.amdhsa_private_segment_fixed_size 0
		.amdhsa_kernarg_size 384
		.amdhsa_user_sgpr_count 4
		.amdhsa_user_sgpr_dispatch_ptr 1
		.amdhsa_user_sgpr_queue_ptr 0
		.amdhsa_user_sgpr_kernarg_segment_ptr 1
		.amdhsa_user_sgpr_dispatch_id 0
		.amdhsa_user_sgpr_kernarg_preload_length 0
		.amdhsa_user_sgpr_kernarg_preload_offset 0
		.amdhsa_user_sgpr_private_segment_size 0
		.amdhsa_wavefront_size32 1
		.amdhsa_uses_dynamic_stack 0
		.amdhsa_enable_private_segment 0
		.amdhsa_system_sgpr_workgroup_id_x 1
		.amdhsa_system_sgpr_workgroup_id_y 1
		.amdhsa_system_sgpr_workgroup_id_z 1
		.amdhsa_system_sgpr_workgroup_info 0
		.amdhsa_system_vgpr_workitem_id 2
		.amdhsa_next_free_vgpr 102
		.amdhsa_next_free_sgpr 74
		.amdhsa_named_barrier_count 0
		.amdhsa_reserve_vcc 1
		.amdhsa_float_round_mode_32 0
		.amdhsa_float_round_mode_16_64 0
		.amdhsa_float_denorm_mode_32 3
		.amdhsa_float_denorm_mode_16_64 3
		.amdhsa_fp16_overflow 0
		.amdhsa_memory_ordered 1
		.amdhsa_forward_progress 1
		.amdhsa_inst_pref_size 29
		.amdhsa_round_robin_scheduling 0
		.amdhsa_exception_fp_ieee_invalid_op 0
		.amdhsa_exception_fp_denorm_src 0
		.amdhsa_exception_fp_ieee_div_zero 0
		.amdhsa_exception_fp_ieee_overflow 0
		.amdhsa_exception_fp_ieee_underflow 0
		.amdhsa_exception_fp_ieee_inexact 0
		.amdhsa_exception_int_div_zero 0
	.end_amdhsa_kernel
	.section	.text._ZL62rocblas_symv_kernel_lower_double_buffered_non_diagonal_genericILi32ELi4ELi4E24rocblas_internal_val_ptrIdEPKPKdPKPdEvbiT2_lT3_lllSA_lllT4_lllii,"axG",@progbits,_ZL62rocblas_symv_kernel_lower_double_buffered_non_diagonal_genericILi32ELi4ELi4E24rocblas_internal_val_ptrIdEPKPKdPKPdEvbiT2_lT3_lllSA_lllT4_lllii,comdat
.Lfunc_end171:
	.size	_ZL62rocblas_symv_kernel_lower_double_buffered_non_diagonal_genericILi32ELi4ELi4E24rocblas_internal_val_ptrIdEPKPKdPKPdEvbiT2_lT3_lllSA_lllT4_lllii, .Lfunc_end171-_ZL62rocblas_symv_kernel_lower_double_buffered_non_diagonal_genericILi32ELi4ELi4E24rocblas_internal_val_ptrIdEPKPKdPKPdEvbiT2_lT3_lllSA_lllT4_lllii
                                        ; -- End function
	.set _ZL62rocblas_symv_kernel_lower_double_buffered_non_diagonal_genericILi32ELi4ELi4E24rocblas_internal_val_ptrIdEPKPKdPKPdEvbiT2_lT3_lllSA_lllT4_lllii.num_vgpr, 102
	.set _ZL62rocblas_symv_kernel_lower_double_buffered_non_diagonal_genericILi32ELi4ELi4E24rocblas_internal_val_ptrIdEPKPKdPKPdEvbiT2_lT3_lllSA_lllT4_lllii.num_agpr, 0
	.set _ZL62rocblas_symv_kernel_lower_double_buffered_non_diagonal_genericILi32ELi4ELi4E24rocblas_internal_val_ptrIdEPKPKdPKPdEvbiT2_lT3_lllSA_lllT4_lllii.numbered_sgpr, 74
	.set _ZL62rocblas_symv_kernel_lower_double_buffered_non_diagonal_genericILi32ELi4ELi4E24rocblas_internal_val_ptrIdEPKPKdPKPdEvbiT2_lT3_lllSA_lllT4_lllii.num_named_barrier, 0
	.set _ZL62rocblas_symv_kernel_lower_double_buffered_non_diagonal_genericILi32ELi4ELi4E24rocblas_internal_val_ptrIdEPKPKdPKPdEvbiT2_lT3_lllSA_lllT4_lllii.private_seg_size, 0
	.set _ZL62rocblas_symv_kernel_lower_double_buffered_non_diagonal_genericILi32ELi4ELi4E24rocblas_internal_val_ptrIdEPKPKdPKPdEvbiT2_lT3_lllSA_lllT4_lllii.uses_vcc, 1
	.set _ZL62rocblas_symv_kernel_lower_double_buffered_non_diagonal_genericILi32ELi4ELi4E24rocblas_internal_val_ptrIdEPKPKdPKPdEvbiT2_lT3_lllSA_lllT4_lllii.uses_flat_scratch, 1
	.set _ZL62rocblas_symv_kernel_lower_double_buffered_non_diagonal_genericILi32ELi4ELi4E24rocblas_internal_val_ptrIdEPKPKdPKPdEvbiT2_lT3_lllSA_lllT4_lllii.has_dyn_sized_stack, 0
	.set _ZL62rocblas_symv_kernel_lower_double_buffered_non_diagonal_genericILi32ELi4ELi4E24rocblas_internal_val_ptrIdEPKPKdPKPdEvbiT2_lT3_lllSA_lllT4_lllii.has_recursion, 0
	.set _ZL62rocblas_symv_kernel_lower_double_buffered_non_diagonal_genericILi32ELi4ELi4E24rocblas_internal_val_ptrIdEPKPKdPKPdEvbiT2_lT3_lllSA_lllT4_lllii.has_indirect_call, 0
	.section	.AMDGPU.csdata,"",@progbits
; Kernel info:
; codeLenInByte = 3636
; TotalNumSgprs: 76
; NumVgprs: 102
; ScratchSize: 0
; MemoryBound: 0
; FloatMode: 240
; IeeeMode: 1
; LDSByteSize: 7424 bytes/workgroup (compile time only)
; SGPRBlocks: 0
; VGPRBlocks: 6
; NumSGPRsForWavesPerEU: 76
; NumVGPRsForWavesPerEU: 102
; NamedBarCnt: 0
; Occupancy: 9
; WaveLimiterHint : 1
; COMPUTE_PGM_RSRC2:SCRATCH_EN: 0
; COMPUTE_PGM_RSRC2:USER_SGPR: 4
; COMPUTE_PGM_RSRC2:TRAP_HANDLER: 0
; COMPUTE_PGM_RSRC2:TGID_X_EN: 1
; COMPUTE_PGM_RSRC2:TGID_Y_EN: 1
; COMPUTE_PGM_RSRC2:TGID_Z_EN: 1
; COMPUTE_PGM_RSRC2:TIDIG_COMP_CNT: 2
	.section	.text._ZL26rocblas_hemvn_kernel_lowerILb0ELi64ELi4ELi33ELi32ELi16ElPKdPKS1_PdEviT6_lT7_lT5_lS6_lS7_lS5_lT8_i,"axG",@progbits,_ZL26rocblas_hemvn_kernel_lowerILb0ELi64ELi4ELi33ELi32ELi16ElPKdPKS1_PdEviT6_lT7_lT5_lS6_lS7_lS5_lT8_i,comdat
	.globl	_ZL26rocblas_hemvn_kernel_lowerILb0ELi64ELi4ELi33ELi32ELi16ElPKdPKS1_PdEviT6_lT7_lT5_lS6_lS7_lS5_lT8_i ; -- Begin function _ZL26rocblas_hemvn_kernel_lowerILb0ELi64ELi4ELi33ELi32ELi16ElPKdPKS1_PdEviT6_lT7_lT5_lS6_lS7_lS5_lT8_i
	.p2align	8
	.type	_ZL26rocblas_hemvn_kernel_lowerILb0ELi64ELi4ELi33ELi32ELi16ElPKdPKS1_PdEviT6_lT7_lT5_lS6_lS7_lS5_lT8_i,@function
_ZL26rocblas_hemvn_kernel_lowerILb0ELi64ELi4ELi33ELi32ELi16ElPKdPKS1_PdEviT6_lT7_lT5_lS6_lS7_lS5_lT8_i: ; @_ZL26rocblas_hemvn_kernel_lowerILb0ELi64ELi4ELi33ELi32ELi16ElPKdPKS1_PdEviT6_lT7_lT5_lS6_lS7_lS5_lT8_i
; %bb.0:
	s_clause 0x1
	s_load_b64 s[4:5], s[0:1], 0x84
	s_load_b32 s21, s[0:1], 0x70
	s_bfe_u32 s2, ttmp6, 0x40014
	s_lshr_b32 s6, ttmp7, 16
	s_add_co_i32 s2, s2, 1
	s_bfe_u32 s7, ttmp6, 0x40008
	s_mul_i32 s2, s6, s2
	s_getreg_b32 s3, hwreg(HW_REG_IB_STS2, 6, 4)
	s_add_co_i32 s7, s7, s2
	s_mov_b32 s35, 0
	s_wait_kmcnt 0x0
	s_lshr_b32 s2, s4, 16
	s_and_b32 s4, s4, 0xffff
	s_and_b32 s5, s5, 0xffff
	s_mul_i32 s2, s2, s4
	s_cmp_eq_u32 s3, 0
	s_mul_i32 s2, s2, s5
	s_cselect_b32 s22, s6, s7
	s_cmp_lg_u32 s2, 0x100
	s_cselect_b32 s2, -1, 0
	s_cmp_ge_u32 s22, s21
	s_cselect_b32 s4, -1, 0
	s_delay_alu instid0(SALU_CYCLE_1) | instskip(NEXT) | instid1(SALU_CYCLE_1)
	s_or_b32 s2, s2, s4
	s_and_b32 vcc_lo, exec_lo, s2
	s_cbranch_vccnz .LBB172_81
; %bb.1:
	s_load_b32 s4, s[0:1], 0x0
	s_add_nc_u64 s[8:9], s[0:1], 0x78
	s_clause 0x4
	s_load_b64 s[24:25], s[0:1], 0x28
	s_load_b128 s[36:39], s[0:1], 0x38
	s_load_b64 s[6:7], s[0:1], 0x68
	s_load_b64 s[44:45], s[0:1], 0x48
	s_load_b128 s[40:43], s[0:1], 0x58
	s_load_b32 s34, s[8:9], 0x0
	s_bfe_u32 s2, ttmp6, 0x4000c
	s_and_b32 s5, ttmp6, 15
	s_add_co_i32 s2, s2, 1
	v_and_b32_e32 v32, 0x3ff, v0
	s_wait_xcnt 0x0
	s_mul_i32 s8, ttmp9, s2
	v_bfe_u32 v1, v0, 10, 10
	s_add_co_i32 s8, s5, s8
	v_dual_mov_b32 v35, 0 :: v_dual_bitop2_b32 v34, 31, v0 bitop3:0x40
                                        ; implicit-def: $vgpr124 : SGPR spill to VGPR lane
	s_mov_b64 s[102:103], 0xfffffffffffffef8
	s_delay_alu instid0(VALU_DEP_2) | instskip(SKIP_1) | instid1(VALU_DEP_3)
	v_lshl_add_u32 v4, v1, 6, v32
	v_cmp_eq_u32_e64 s2, 0, v1
	v_lshlrev_b32_e32 v5, 3, v34
	v_mul_u32_u24_e32 v14, 33, v34
	s_wait_kmcnt 0x0
	s_mul_u64 s[58:59], s[24:25], 0xc0
	v_lshrrev_b32_e32 v2, 5, v4
	s_ashr_i32 s5, s4, 31
	s_cmp_eq_u32 s3, 0
	v_lshl_or_b32 v88, v34, 8, v5
	s_cselect_b32 s33, ttmp9, s8
	s_lshr_b32 s3, s5, 26
	s_add_co_i32 s8, s34, -1
	s_add_co_i32 s3, s4, s3
	s_lshl_b32 s26, s33, 6
	s_and_not1_b32 s3, s3, 63
	v_dual_lshlrev_b32 v33, 3, v32 :: v_dual_add_nc_u32 v36, s26, v32
	s_sub_co_i32 s3, s4, s3
	s_cmp_eq_u32 s33, s8
	s_mul_i32 s8, s4, s33
	s_cselect_b32 s46, s3, 0
	v_dual_add_nc_u32 v7, 16, v2 :: v_dual_lshlrev_b32 v8, 2, v2
	v_cmp_gt_i32_e32 vcc_lo, s46, v32
	s_cmp_eq_u32 s46, 0
	v_and_b32_e32 v10, 0x7fe0, v4
	s_cselect_b32 s3, -1, 0
	s_ashr_i32 s9, s8, 31
	v_cndmask_b32_e64 v86, 0, 1, s3
	s_or_b32 s3, s3, vcc_lo
	s_lshl_b64 s[8:9], s[8:9], 3
	s_ashr_i32 s27, s26, 31
	s_cmp_lg_u32 s46, 0
	v_mad_nc_u64_u32 v[38:39], s24, v2, v[34:35]
	s_cselect_b32 s14, -1, 0
	s_sub_co_i32 s15, s46, 32
	v_dual_ashrrev_i32 v37, 31, v36 :: v_dual_add_nc_u32 v3, 8, v2
	v_writelane_b32 v124, s3, 0
	s_add_nc_u64 s[50:51], s[6:7], s[8:9]
	v_dual_add_nc_u32 v9, 24, v2 :: v_dual_bitop2_b32 v11, 1, v8 bitop3:0x54
	v_cmp_lt_u32_e64 s8, v8, v34
	v_dual_add_nc_u32 v89, v88, v10 :: v_dual_bitop2_b32 v13, 2, v8 bitop3:0x54
	v_dual_lshlrev_b32 v15, 3, v2 :: v_dual_bitop2_b32 v8, 3, v8 bitop3:0x54
	v_cmp_gt_i32_e64 s16, s15, v2
	s_mul_u64 s[48:49], s[34:35], s[4:5]
	v_mad_u32 v39, s25, v2, v39
	v_mul_u32_u24_e32 v6, 0x108, v2
	v_lshl_add_u32 v91, v14, 3, v15
	v_writelane_b32 v124, s16, 1
	v_cmp_gt_i32_e64 s16, s15, v3
	v_cmp_gt_i32_e64 s4, s46, v2
	;; [unrolled: 1-line block ×4, first 2 shown]
	v_mul_u32_u24_e32 v12, 0x420, v2
	v_cmp_lt_u32_e64 s11, v8, v34
	v_dual_mov_b32 v3, v35 :: v_dual_add_nc_u32 v90, 0x2380, v10
	v_or_b32_e32 v8, 32, v34
	v_writelane_b32 v124, s16, 2
	v_cmp_gt_i32_e64 s16, s15, v7
	v_cmp_eq_u32_e64 s18, 1, v2
	v_mul_i32_i24_e32 v7, 0xffffffe8, v2
	v_mad_u32_u24 v92, v2, 24, v91
	v_lshlrev_b32_e32 v2, 2, v1
	v_mul_u64_e32 v[40:41], s[44:45], v[36:37]
	v_cmp_le_i32_e32 vcc_lo, s46, v32
	s_lshl_b64 s[54:55], s[24:25], 6
	s_lshl_b64 s[56:57], s[24:25], 7
	v_mul_u64_e32 v[46:47], s[24:25], v[2:3]
	s_ashr_i32 s47, s46, 31
	s_and_b32 s19, s14, vcc_lo
	s_lshl_b64 s[60:61], s[24:25], 5
	s_xor_b32 s14, s19, -1
	s_mul_u64 s[28:29], s[44:45], s[26:27]
	s_cmp_gt_i32 s33, 0
	s_mul_u64 s[52:53], s[24:25], s[26:27]
	s_sub_nc_u64 s[64:65], 0, s[28:29]
	s_cselect_b32 vcc_hi, -1, 0
	s_lshl_b64 s[70:71], s[24:25], 3
	s_lshl_b64 s[72:73], s[24:25], 4
	s_lshl_b64 s[74:75], s[24:25], 9
	s_mul_u64 s[76:77], s[24:25], 24
	s_mul_u64 s[78:79], s[24:25], 0x90
	;; [unrolled: 1-line block ×3, first 2 shown]
	s_lshl_b64 s[82:83], s[24:25], 8
	s_mul_u64 s[84:85], s[24:25], 0x110
	s_mul_u64 s[86:87], s[24:25], 0x118
	;; [unrolled: 1-line block ×8, first 2 shown]
	s_lshl_b64 s[100:101], s[26:27], 3
	s_load_b256 s[24:31], s[0:1], 0x8
	v_cmp_gt_i32_e64 s13, s46, v8
	v_dual_lshrrev_b32 v8, 4, v4 :: v_dual_add_nc_u32 v101, v5, v6
	v_cmp_gt_i32_e64 s7, s46, v9
	v_cmp_lt_u32_e64 s9, v11, v34
	v_mul_u32_u24_e32 v11, 0x108, v11
	v_cmp_gt_i32_e64 s17, s15, v9
	v_and_b32_e32 v9, 15, v0
	v_and_b32_e32 v0, 48, v0
	v_dual_lshlrev_b32 v2, 5, v8 :: v_dual_add_nc_u32 v104, v90, v7
	v_mad_u32_u24 v95, 0x860, v1, v33
	v_or_b32_e32 v3, 0x78, v33
	s_delay_alu instid0(VALU_DEP_4) | instskip(NEXT) | instid1(VALU_DEP_4)
	v_dual_add_nc_u32 v103, v5, v11 :: v_dual_lshlrev_b32 v0, 3, v0
	v_mad_u32_u24 v96, 0x218, v9, v2
	v_mul_i32_i24_e32 v2, 0xffffffe8, v8
	v_sub_nc_u64_e32 v[42:43], 0, v[34:35]
	v_sub_nc_u64_e32 v[44:45], 0, v[38:39]
	v_add_nc_u32_e32 v87, 0x2380, v33
	v_cmp_gt_i32_e64 s3, s46, v34
	v_cmp_lt_u32_e64 s10, v13, v34
	v_cmp_gt_u32_e64 s12, 32, v4
	v_add_nc_u32_e32 v93, 0x2180, v33
	v_lshl_add_u32 v94, v1, 5, 0x2180
	v_cmp_gt_u32_e64 s20, 64, v4
	v_mad_u32_u24 v97, 0x218, v9, v0
	v_mad_u32_u24 v98, 0x218, v9, v3
	v_mad_i32_i24 v99, 0xfffff9b8, v1, v95
	v_add_nc_u32_e32 v100, 0x2380, v15
	v_dual_add_nc_u32 v102, v5, v12 :: v_dual_add_nc_u32 v105, v96, v2
	v_lshlrev_b32_e32 v34, 3, v34
	s_sub_nc_u64 s[62:63], 0, s[60:61]
	s_sub_nc_u64 s[66:67], 0, s[52:53]
	s_and_b32 s104, s2, s14
	s_sub_nc_u64 s[68:69], 0, s[46:47]
	s_lshl_b64 s[38:39], s[38:39], 3
	s_wait_kmcnt 0x0
	s_lshl_b64 s[30:31], s[30:31], 3
	s_branch .LBB172_4
.LBB172_2:                              ;   in Loop: Header=BB172_4 Depth=1
	s_wait_xcnt 0x0
	s_or_b32 exec_lo, exec_lo, s23
.LBB172_3:                              ;   in Loop: Header=BB172_4 Depth=1
	s_add_co_i32 s22, s22, 0x10000
	s_delay_alu instid0(SALU_CYCLE_1)
	s_cmp_lt_u32 s22, s21
	s_cbranch_scc0 .LBB172_81
.LBB172_4:                              ; =>This Loop Header: Depth=1
                                        ;     Child Loop BB172_69 Depth 2
	s_mov_b32 s23, s35
	s_delay_alu instid0(SALU_CYCLE_1)
	s_mul_u64 s[0:1], s[26:27], s[22:23]
	s_wait_xcnt 0x0
	s_mul_u64 s[14:15], s[42:43], s[22:23]
	s_lshl_b64 s[0:1], s[0:1], 3
	s_lshl_b64 s[14:15], s[14:15], 3
	s_add_nc_u64 s[0:1], s[24:25], s[0:1]
	s_add_nc_u64 s[14:15], s[40:41], s[14:15]
	s_clause 0x1
	global_load_b64 v[0:1], v35, s[0:1]
	global_load_b64 v[2:3], v35, s[14:15]
	s_wait_loadcnt 0x1
	s_wait_xcnt 0x1
	v_cmp_eq_f64_e64 s0, 0, v[0:1]
	s_wait_loadcnt 0x0
	v_cmp_eq_f64_e32 vcc_lo, 1.0, v[2:3]
	s_and_b32 s1, s0, vcc_lo
	s_delay_alu instid0(SALU_CYCLE_1)
	s_and_b32 vcc_lo, exec_lo, s1
	s_cbranch_vccnz .LBB172_3
; %bb.5:                                ;   in Loop: Header=BB172_4 Depth=1
	s_and_b32 vcc_lo, exec_lo, s0
	s_cbranch_vccz .LBB172_7
; %bb.6:                                ;   in Loop: Header=BB172_4 Depth=1
	s_cbranch_execnz .LBB172_3
	s_branch .LBB172_8
.LBB172_7:                              ;   in Loop: Header=BB172_4 Depth=1
.LBB172_8:                              ;   in Loop: Header=BB172_4 Depth=1
	s_lshl_b64 s[0:1], s[22:23], 3
	s_wait_xcnt 0x0
	s_add_nc_u64 s[14:15], s[36:37], s[0:1]
	s_add_nc_u64 s[0:1], s[28:29], s[0:1]
	s_clause 0x1
	global_load_b64 v[2:3], v35, s[14:15]
	global_load_b64 v[0:1], v35, s[0:1]
	s_wait_loadcnt 0x1
	v_add_nc_u64_e32 v[2:3], s[38:39], v[2:3]
	s_delay_alu instid0(VALU_DEP_1)
	v_lshl_add_u64 v[16:17], v[40:41], 3, v[2:3]
	s_wait_xcnt 0x0
	s_and_saveexec_b32 s0, s2
	s_cbranch_execz .LBB172_12
; %bb.9:                                ;   in Loop: Header=BB172_4 Depth=1
	v_mov_b64_e32 v[2:3], 0
	s_mov_b32 s1, exec_lo
	v_readlane_b32 s14, v124, 0
	s_and_b32 s14, s1, s14
	s_delay_alu instid0(SALU_CYCLE_1)
	s_mov_b32 exec_lo, s14
	s_cbranch_execz .LBB172_11
; %bb.10:                               ;   in Loop: Header=BB172_4 Depth=1
	flat_load_b64 v[2:3], v[16:17]
.LBB172_11:                             ;   in Loop: Header=BB172_4 Depth=1
	s_wait_xcnt 0x0
	s_or_b32 exec_lo, exec_lo, s1
	s_wait_loadcnt_dscnt 0x0
	ds_store_b64 v87, v[2:3]
.LBB172_12:                             ;   in Loop: Header=BB172_4 Depth=1
	s_or_b32 exec_lo, exec_lo, s0
	s_wait_loadcnt 0x0
	v_add_nc_u64_e32 v[0:1], s[30:31], v[0:1]
	v_cmp_ne_u32_e32 vcc_lo, 1, v86
	s_mov_b32 s0, -1
	s_delay_alu instid0(VALU_DEP_2) | instskip(NEXT) | instid1(VALU_DEP_1)
	v_add_nc_u64_e32 v[0:1], s[100:101], v[0:1]
	v_lshl_add_u64 v[0:1], v[38:39], 3, v[0:1]
	s_delay_alu instid0(VALU_DEP_1)
	v_lshl_add_u64 v[0:1], s[52:53], 3, v[0:1]
	s_cbranch_vccnz .LBB172_14
; %bb.13:                               ;   in Loop: Header=BB172_4 Depth=1
	s_delay_alu instid0(VALU_DEP_1) | instskip(SKIP_1) | instid1(VALU_DEP_1)
	v_add_nc_u64_e32 v[2:3], s[54:55], v[0:1]
	s_mov_b32 s0, 0
	v_add_nc_u64_e32 v[4:5], s[54:55], v[2:3]
	s_delay_alu instid0(VALU_DEP_1)
	v_add_nc_u64_e32 v[6:7], s[54:55], v[4:5]
	s_clause 0x3
	flat_load_b64 v[8:9], v[0:1]
	flat_load_b64 v[2:3], v[2:3]
	;; [unrolled: 1-line block ×4, first 2 shown]
	s_wait_loadcnt_dscnt 0x303
	ds_store_b64 v101, v[8:9]
	s_wait_loadcnt_dscnt 0x203
	ds_store_b64 v101, v[2:3] offset:2112
	s_wait_loadcnt_dscnt 0x103
	ds_store_b64 v101, v[4:5] offset:4224
	;; [unrolled: 2-line block ×3, first 2 shown]
.LBB172_14:                             ;   in Loop: Header=BB172_4 Depth=1
	s_and_not1_b32 vcc_lo, exec_lo, s0
	s_cbranch_vccnz .LBB172_24
; %bb.15:                               ;   in Loop: Header=BB172_4 Depth=1
	s_wait_xcnt 0x2
	v_lshl_add_u64 v[2:3], v[42:43], 3, v[0:1]
	s_wait_xcnt 0x0
	v_mov_b64_e32 v[6:7], 0
	v_mov_b64_e32 v[4:5], 0
	s_delay_alu instid0(VALU_DEP_3) | instskip(NEXT) | instid1(VALU_DEP_1)
	v_lshl_add_u64 v[2:3], s[46:47], 3, v[2:3]
	v_add_nc_u64_e32 v[2:3], -8, v[2:3]
	s_delay_alu instid0(VALU_DEP_1)
	v_dual_cndmask_b32 v3, v3, v1, s3 :: v_dual_cndmask_b32 v2, v2, v0, s3
	s_and_saveexec_b32 s0, s4
	s_cbranch_execz .LBB172_17
; %bb.16:                               ;   in Loop: Header=BB172_4 Depth=1
	flat_load_b64 v[4:5], v[2:3]
.LBB172_17:                             ;   in Loop: Header=BB172_4 Depth=1
	s_wait_xcnt 0x0
	s_or_b32 exec_lo, exec_lo, s0
	s_wait_loadcnt_dscnt 0x0
	ds_store_b64 v101, v[4:5]
	s_and_saveexec_b32 s0, s5
	s_cbranch_execz .LBB172_19
; %bb.18:                               ;   in Loop: Header=BB172_4 Depth=1
	v_add_nc_u64_e32 v[4:5], s[54:55], v[2:3]
	flat_load_b64 v[6:7], v[4:5]
.LBB172_19:                             ;   in Loop: Header=BB172_4 Depth=1
	s_wait_xcnt 0x0
	s_or_b32 exec_lo, exec_lo, s0
	v_mov_b64_e32 v[4:5], 0
	v_mov_b64_e32 v[8:9], 0
	s_wait_loadcnt_dscnt 0x0
	ds_store_b64 v101, v[6:7] offset:2112
	s_and_saveexec_b32 s0, s6
	s_cbranch_execz .LBB172_21
; %bb.20:                               ;   in Loop: Header=BB172_4 Depth=1
	v_add_nc_u64_e32 v[6:7], s[56:57], v[2:3]
	flat_load_b64 v[8:9], v[6:7]
.LBB172_21:                             ;   in Loop: Header=BB172_4 Depth=1
	s_wait_xcnt 0x0
	s_or_b32 exec_lo, exec_lo, s0
	s_wait_loadcnt_dscnt 0x0
	ds_store_b64 v101, v[8:9] offset:4224
	s_and_saveexec_b32 s0, s7
	s_cbranch_execz .LBB172_23
; %bb.22:                               ;   in Loop: Header=BB172_4 Depth=1
	v_add_nc_u64_e32 v[4:5], s[58:59], v[2:3]
	flat_load_b64 v[4:5], v[4:5]
.LBB172_23:                             ;   in Loop: Header=BB172_4 Depth=1
	s_wait_xcnt 0x0
	s_or_b32 exec_lo, exec_lo, s0
	v_add_nc_u64_e32 v[2:3], v[2:3], v[34:35]
	s_wait_loadcnt_dscnt 0x0
	ds_store_b64 v101, v[4:5] offset:6336
	v_lshl_add_u64 v[2:3], s[68:69], 3, v[2:3]
	s_delay_alu instid0(VALU_DEP_1) | instskip(NEXT) | instid1(VALU_DEP_1)
	v_add_nc_u64_e32 v[2:3], 8, v[2:3]
	v_dual_cndmask_b32 v1, v3, v1, s3 :: v_dual_cndmask_b32 v0, v2, v0, s3
.LBB172_24:                             ;   in Loop: Header=BB172_4 Depth=1
	s_wait_dscnt 0x0
	s_barrier_signal -1
	s_barrier_wait -1
	s_wait_xcnt 0x0
	s_and_saveexec_b32 s0, s8
	s_cbranch_execnz .LBB172_75
; %bb.25:                               ;   in Loop: Header=BB172_4 Depth=1
	s_or_b32 exec_lo, exec_lo, s0
	s_and_saveexec_b32 s0, s9
	s_cbranch_execnz .LBB172_76
.LBB172_26:                             ;   in Loop: Header=BB172_4 Depth=1
	s_or_b32 exec_lo, exec_lo, s0
	s_and_saveexec_b32 s0, s10
	s_cbranch_execnz .LBB172_77
.LBB172_27:                             ;   in Loop: Header=BB172_4 Depth=1
	s_or_b32 exec_lo, exec_lo, s0
	s_and_saveexec_b32 s0, s11
	s_cbranch_execz .LBB172_29
.LBB172_28:                             ;   in Loop: Header=BB172_4 Depth=1
	ds_load_b64 v[2:3], v103 offset:528
	s_wait_dscnt 0x0
	ds_store_b64 v89, v[2:3] offset:24
.LBB172_29:                             ;   in Loop: Header=BB172_4 Depth=1
	s_or_b32 exec_lo, exec_lo, s0
	s_wait_dscnt 0x0
	s_barrier_signal -1
	s_barrier_wait -1
	ds_load_b64 v[10:11], v102
	ds_load_b128 v[2:5], v90
	ds_load_b128 v[6:9], v90 offset:16
	ds_load_b64 v[14:15], v103 offset:528
	v_mov_b64_e32 v[48:49], 0
	s_wait_dscnt 0x2
	v_fma_f64 v[2:3], v[10:11], v[2:3], 0
	ds_load_2addr_b64 v[10:13], v103 offset1:33
	s_wait_dscnt 0x0
	s_barrier_signal -1
	s_barrier_wait -1
	v_fmac_f64_e32 v[2:3], v[10:11], v[4:5]
	s_delay_alu instid0(VALU_DEP_1) | instskip(NEXT) | instid1(VALU_DEP_1)
	v_fmac_f64_e32 v[2:3], v[12:13], v[6:7]
	v_fmac_f64_e32 v[2:3], v[14:15], v[8:9]
	ds_store_b64 v91, v[2:3]
	s_wait_dscnt 0x0
	s_barrier_signal -1
	s_barrier_wait -1
	s_and_saveexec_b32 s0, s12
	s_cbranch_execz .LBB172_31
; %bb.30:                               ;   in Loop: Header=BB172_4 Depth=1
	ds_load_2addr_b64 v[2:5], v88 offset1:1
	ds_load_2addr_b64 v[6:9], v88 offset0:2 offset1:3
	s_wait_dscnt 0x1
	v_add_f64_e32 v[2:3], v[2:3], v[4:5]
	s_wait_dscnt 0x0
	s_delay_alu instid0(VALU_DEP_1) | instskip(NEXT) | instid1(VALU_DEP_1)
	v_add_f64_e32 v[2:3], v[2:3], v[6:7]
	v_add_f64_e32 v[10:11], v[2:3], v[8:9]
	ds_load_2addr_b64 v[2:5], v88 offset0:4 offset1:5
	ds_load_2addr_b64 v[6:9], v88 offset0:6 offset1:7
	s_wait_dscnt 0x1
	v_add_f64_e32 v[2:3], v[10:11], v[2:3]
	s_delay_alu instid0(VALU_DEP_1) | instskip(SKIP_1) | instid1(VALU_DEP_1)
	v_add_f64_e32 v[2:3], v[2:3], v[4:5]
	s_wait_dscnt 0x0
	v_add_f64_e32 v[2:3], v[2:3], v[6:7]
	s_delay_alu instid0(VALU_DEP_1)
	v_add_f64_e32 v[48:49], v[2:3], v[8:9]
.LBB172_31:                             ;   in Loop: Header=BB172_4 Depth=1
	s_or_b32 exec_lo, exec_lo, s0
	v_cmp_ne_u32_e32 vcc_lo, 1, v86
	v_lshl_add_u64 v[2:3], s[60:61], 3, v[0:1]
	s_mov_b32 s0, -1
	s_barrier_signal -1
	s_barrier_wait -1
	s_cbranch_vccnz .LBB172_33
; %bb.32:                               ;   in Loop: Header=BB172_4 Depth=1
	v_add_nc_u64_e32 v[0:1], s[54:55], v[2:3]
	s_mov_b32 s0, 0
	s_delay_alu instid0(VALU_DEP_1) | instskip(NEXT) | instid1(VALU_DEP_1)
	v_add_nc_u64_e32 v[4:5], s[54:55], v[0:1]
	v_add_nc_u64_e32 v[6:7], s[54:55], v[4:5]
	s_clause 0x3
	flat_load_b64 v[8:9], v[2:3] offset:256
	flat_load_b64 v[0:1], v[0:1] offset:256
	;; [unrolled: 1-line block ×4, first 2 shown]
	s_wait_loadcnt_dscnt 0x303
	ds_store_b64 v101, v[8:9]
	s_wait_loadcnt_dscnt 0x203
	ds_store_b64 v101, v[0:1] offset:2112
	s_wait_loadcnt_dscnt 0x103
	ds_store_b64 v101, v[4:5] offset:4224
	;; [unrolled: 2-line block ×3, first 2 shown]
.LBB172_33:                             ;   in Loop: Header=BB172_4 Depth=1
	s_wait_xcnt 0x2
	v_add_nc_u64_e32 v[0:1], 0x100, v[2:3]
	s_and_not1_b32 vcc_lo, exec_lo, s0
	s_cbranch_vccnz .LBB172_43
; %bb.34:                               ;   in Loop: Header=BB172_4 Depth=1
	v_lshl_add_u64 v[2:3], v[42:43], 3, v[2:3]
	s_wait_xcnt 0x0
	v_mov_b64_e32 v[6:7], 0
	v_mov_b64_e32 v[4:5], 0
	s_delay_alu instid0(VALU_DEP_3) | instskip(NEXT) | instid1(VALU_DEP_1)
	v_lshl_add_u64 v[2:3], s[46:47], 3, v[2:3]
	v_add_nc_u64_e32 v[2:3], -8, v[2:3]
	s_delay_alu instid0(VALU_DEP_1) | instskip(SKIP_3) | instid1(SALU_CYCLE_1)
	v_dual_cndmask_b32 v3, v3, v1, s13 :: v_dual_cndmask_b32 v2, v2, v0, s13
	s_mov_b32 s0, exec_lo
	v_readlane_b32 s1, v124, 1
	s_and_b32 s1, s0, s1
	s_mov_b32 exec_lo, s1
	s_cbranch_execz .LBB172_36
; %bb.35:                               ;   in Loop: Header=BB172_4 Depth=1
	flat_load_b64 v[4:5], v[2:3]
.LBB172_36:                             ;   in Loop: Header=BB172_4 Depth=1
	s_wait_xcnt 0x0
	s_or_b32 exec_lo, exec_lo, s0
	s_wait_loadcnt_dscnt 0x0
	ds_store_b64 v101, v[4:5]
	s_mov_b32 s0, exec_lo
	v_readlane_b32 s1, v124, 2
	s_and_b32 s1, s0, s1
	s_delay_alu instid0(SALU_CYCLE_1)
	s_mov_b32 exec_lo, s1
	s_cbranch_execz .LBB172_38
; %bb.37:                               ;   in Loop: Header=BB172_4 Depth=1
	v_add_nc_u64_e32 v[4:5], s[54:55], v[2:3]
	flat_load_b64 v[6:7], v[4:5]
.LBB172_38:                             ;   in Loop: Header=BB172_4 Depth=1
	s_wait_xcnt 0x0
	s_or_b32 exec_lo, exec_lo, s0
	v_mov_b64_e32 v[4:5], 0
	v_mov_b64_e32 v[8:9], 0
	s_wait_loadcnt_dscnt 0x0
	ds_store_b64 v101, v[6:7] offset:2112
	s_and_saveexec_b32 s0, s16
	s_cbranch_execz .LBB172_40
; %bb.39:                               ;   in Loop: Header=BB172_4 Depth=1
	v_add_nc_u64_e32 v[6:7], s[56:57], v[2:3]
	flat_load_b64 v[8:9], v[6:7]
.LBB172_40:                             ;   in Loop: Header=BB172_4 Depth=1
	s_wait_xcnt 0x0
	s_or_b32 exec_lo, exec_lo, s0
	s_wait_loadcnt_dscnt 0x0
	ds_store_b64 v101, v[8:9] offset:4224
	s_and_saveexec_b32 s0, s17
	s_cbranch_execz .LBB172_42
; %bb.41:                               ;   in Loop: Header=BB172_4 Depth=1
	v_add_nc_u64_e32 v[4:5], s[58:59], v[2:3]
	flat_load_b64 v[4:5], v[4:5]
.LBB172_42:                             ;   in Loop: Header=BB172_4 Depth=1
	s_wait_xcnt 0x0
	s_or_b32 exec_lo, exec_lo, s0
	v_add_nc_u64_e32 v[2:3], v[2:3], v[34:35]
	s_wait_loadcnt_dscnt 0x0
	ds_store_b64 v101, v[4:5] offset:6336
	v_lshl_add_u64 v[2:3], s[68:69], 3, v[2:3]
	s_delay_alu instid0(VALU_DEP_1) | instskip(NEXT) | instid1(VALU_DEP_1)
	v_add_nc_u64_e32 v[2:3], 0x108, v[2:3]
	v_dual_cndmask_b32 v1, v3, v1, s13 :: v_dual_cndmask_b32 v0, v2, v0, s13
.LBB172_43:                             ;   in Loop: Header=BB172_4 Depth=1
	s_wait_dscnt 0x0
	s_barrier_signal -1
	s_barrier_wait -1
	s_wait_xcnt 0x0
	s_and_saveexec_b32 s0, s8
	s_cbranch_execnz .LBB172_78
; %bb.44:                               ;   in Loop: Header=BB172_4 Depth=1
	s_or_b32 exec_lo, exec_lo, s0
	s_and_saveexec_b32 s0, s9
	s_cbranch_execnz .LBB172_79
.LBB172_45:                             ;   in Loop: Header=BB172_4 Depth=1
	s_or_b32 exec_lo, exec_lo, s0
	s_and_saveexec_b32 s0, s10
	s_cbranch_execnz .LBB172_80
.LBB172_46:                             ;   in Loop: Header=BB172_4 Depth=1
	s_or_b32 exec_lo, exec_lo, s0
	s_and_saveexec_b32 s0, s11
	s_cbranch_execz .LBB172_48
.LBB172_47:                             ;   in Loop: Header=BB172_4 Depth=1
	ds_load_b64 v[2:3], v103 offset:528
	s_wait_dscnt 0x0
	ds_store_b64 v89, v[2:3] offset:24
.LBB172_48:                             ;   in Loop: Header=BB172_4 Depth=1
	s_or_b32 exec_lo, exec_lo, s0
	s_wait_dscnt 0x0
	s_barrier_signal -1
	s_barrier_wait -1
	ds_load_b64 v[10:11], v102
	ds_load_b128 v[2:5], v90 offset:256
	ds_load_b128 v[6:9], v90 offset:272
	ds_load_b64 v[14:15], v103 offset:528
	s_wait_dscnt 0x2
	v_fma_f64 v[2:3], v[10:11], v[2:3], 0
	ds_load_2addr_b64 v[10:13], v103 offset1:33
	s_wait_dscnt 0x0
	s_barrier_signal -1
	s_barrier_wait -1
	v_fmac_f64_e32 v[2:3], v[10:11], v[4:5]
	s_delay_alu instid0(VALU_DEP_1) | instskip(NEXT) | instid1(VALU_DEP_1)
	v_fmac_f64_e32 v[2:3], v[12:13], v[6:7]
	v_fmac_f64_e32 v[2:3], v[14:15], v[8:9]
	ds_store_b64 v91, v[2:3]
	s_wait_dscnt 0x0
	s_barrier_signal -1
	s_barrier_wait -1
	s_and_saveexec_b32 s0, s18
	s_cbranch_execz .LBB172_50
; %bb.49:                               ;   in Loop: Header=BB172_4 Depth=1
	ds_load_2addr_b64 v[2:5], v88 offset1:1
	ds_load_2addr_b64 v[6:9], v88 offset0:2 offset1:3
	s_wait_dscnt 0x1
	v_add_f64_e32 v[2:3], v[2:3], v[4:5]
	s_wait_dscnt 0x0
	s_delay_alu instid0(VALU_DEP_1) | instskip(NEXT) | instid1(VALU_DEP_1)
	v_add_f64_e32 v[2:3], v[2:3], v[6:7]
	v_add_f64_e32 v[10:11], v[2:3], v[8:9]
	ds_load_2addr_b64 v[2:5], v88 offset0:4 offset1:5
	ds_load_2addr_b64 v[6:9], v88 offset0:6 offset1:7
	s_wait_dscnt 0x1
	v_add_f64_e32 v[2:3], v[10:11], v[2:3]
	s_delay_alu instid0(VALU_DEP_1) | instskip(SKIP_1) | instid1(VALU_DEP_1)
	v_add_f64_e32 v[2:3], v[2:3], v[4:5]
	s_wait_dscnt 0x0
	v_add_f64_e32 v[2:3], v[2:3], v[6:7]
	s_delay_alu instid0(VALU_DEP_1)
	v_add_f64_e32 v[48:49], v[2:3], v[8:9]
.LBB172_50:                             ;   in Loop: Header=BB172_4 Depth=1
	s_or_b32 exec_lo, exec_lo, s0
	v_cmp_ne_u32_e32 vcc_lo, 1, v86
	v_lshl_add_u64 v[18:19], s[62:63], 3, v[0:1]
	s_mov_b32 s0, -1
	s_barrier_signal -1
	s_barrier_wait -1
	s_cbranch_vccnz .LBB172_52
; %bb.51:                               ;   in Loop: Header=BB172_4 Depth=1
	v_add_nc_u64_e32 v[0:1], s[54:55], v[18:19]
	s_mov_b32 s0, 0
	s_delay_alu instid0(VALU_DEP_1) | instskip(NEXT) | instid1(VALU_DEP_1)
	v_add_nc_u64_e32 v[2:3], s[54:55], v[0:1]
	v_add_nc_u64_e32 v[4:5], s[54:55], v[2:3]
	s_clause 0x3
	flat_load_b64 v[6:7], v[18:19]
	flat_load_b64 v[0:1], v[0:1]
	flat_load_b64 v[2:3], v[2:3]
	flat_load_b64 v[4:5], v[4:5]
	s_wait_loadcnt_dscnt 0x303
	ds_store_b64 v101, v[6:7]
	s_wait_loadcnt_dscnt 0x203
	ds_store_b64 v101, v[0:1] offset:2112
	s_wait_loadcnt_dscnt 0x103
	ds_store_b64 v101, v[2:3] offset:4224
	;; [unrolled: 2-line block ×3, first 2 shown]
.LBB172_52:                             ;   in Loop: Header=BB172_4 Depth=1
	s_and_not1_b32 vcc_lo, exec_lo, s0
	s_cbranch_vccnz .LBB172_62
; %bb.53:                               ;   in Loop: Header=BB172_4 Depth=1
	s_wait_xcnt 0x2
	v_lshl_add_u64 v[0:1], v[42:43], 3, v[18:19]
	s_wait_xcnt 0x0
	v_mov_b64_e32 v[4:5], 0
	v_mov_b64_e32 v[2:3], 0
	s_delay_alu instid0(VALU_DEP_3) | instskip(NEXT) | instid1(VALU_DEP_1)
	v_lshl_add_u64 v[0:1], s[46:47], 3, v[0:1]
	v_add_nc_u64_e32 v[0:1], s[102:103], v[0:1]
	s_delay_alu instid0(VALU_DEP_1)
	v_dual_cndmask_b32 v1, v1, v19, s13 :: v_dual_cndmask_b32 v0, v0, v18, s13
	s_and_saveexec_b32 s0, s4
	s_cbranch_execz .LBB172_55
; %bb.54:                               ;   in Loop: Header=BB172_4 Depth=1
	flat_load_b64 v[2:3], v[0:1]
.LBB172_55:                             ;   in Loop: Header=BB172_4 Depth=1
	s_wait_xcnt 0x0
	s_or_b32 exec_lo, exec_lo, s0
	s_wait_loadcnt_dscnt 0x0
	ds_store_b64 v101, v[2:3]
	s_and_saveexec_b32 s0, s5
	s_cbranch_execz .LBB172_57
; %bb.56:                               ;   in Loop: Header=BB172_4 Depth=1
	v_add_nc_u64_e32 v[2:3], s[54:55], v[0:1]
	flat_load_b64 v[4:5], v[2:3]
.LBB172_57:                             ;   in Loop: Header=BB172_4 Depth=1
	s_wait_xcnt 0x0
	s_or_b32 exec_lo, exec_lo, s0
	v_mov_b64_e32 v[2:3], 0
	v_mov_b64_e32 v[6:7], 0
	s_wait_loadcnt_dscnt 0x0
	ds_store_b64 v101, v[4:5] offset:2112
	s_and_saveexec_b32 s0, s6
	s_cbranch_execz .LBB172_59
; %bb.58:                               ;   in Loop: Header=BB172_4 Depth=1
	v_add_nc_u64_e32 v[4:5], s[56:57], v[0:1]
	flat_load_b64 v[6:7], v[4:5]
.LBB172_59:                             ;   in Loop: Header=BB172_4 Depth=1
	s_wait_xcnt 0x0
	s_or_b32 exec_lo, exec_lo, s0
	s_wait_loadcnt_dscnt 0x0
	ds_store_b64 v101, v[6:7] offset:4224
	s_and_saveexec_b32 s0, s7
	s_cbranch_execz .LBB172_61
; %bb.60:                               ;   in Loop: Header=BB172_4 Depth=1
	v_add_nc_u64_e32 v[2:3], s[58:59], v[0:1]
	flat_load_b64 v[2:3], v[2:3]
.LBB172_61:                             ;   in Loop: Header=BB172_4 Depth=1
	s_wait_xcnt 0x0
	s_or_b32 exec_lo, exec_lo, s0
	v_add_nc_u64_e32 v[0:1], v[0:1], v[34:35]
	s_wait_loadcnt_dscnt 0x0
	ds_store_b64 v101, v[2:3] offset:6336
	v_lshl_add_u64 v[0:1], s[68:69], 3, v[0:1]
	s_delay_alu instid0(VALU_DEP_1) | instskip(NEXT) | instid1(VALU_DEP_1)
	v_add_nc_u64_e32 v[0:1], 0x108, v[0:1]
	v_dual_cndmask_b32 v19, v1, v19, s13 :: v_dual_cndmask_b32 v18, v0, v18, s13
.LBB172_62:                             ;   in Loop: Header=BB172_4 Depth=1
	s_wait_dscnt 0x0
	s_barrier_signal -1
	s_barrier_wait -1
	s_wait_xcnt 0x2
	ds_load_b64 v[0:1], v101
	s_wait_xcnt 0x1
	ds_load_b64 v[2:3], v104
	s_wait_xcnt 0x0
	ds_load_b64 v[4:5], v101 offset:6336
	ds_load_b64 v[6:7], v101 offset:2112
	;; [unrolled: 1-line block ×4, first 2 shown]
	s_wait_dscnt 0x4
	v_fma_f64 v[20:21], v[0:1], v[2:3], 0
	ds_load_2addr_b64 v[0:3], v100 offset0:8 offset1:16
	s_wait_dscnt 0x0
	v_fmac_f64_e32 v[20:21], v[6:7], v[0:1]
	s_delay_alu instid0(VALU_DEP_1) | instskip(NEXT) | instid1(VALU_DEP_1)
	v_fmac_f64_e32 v[20:21], v[8:9], v[2:3]
	v_fmac_f64_e32 v[20:21], v[4:5], v[10:11]
	ds_load_b128 v[8:11], v90 offset:256
	ds_load_b128 v[0:3], v90 offset:272
	ds_load_2addr_b64 v[12:15], v92 offset1:1
	ds_load_2addr_b64 v[4:7], v92 offset0:2 offset1:3
	s_wait_dscnt 0x0
	s_barrier_signal -1
	s_barrier_wait -1
	ds_store_b64 v91, v[20:21]
	s_wait_dscnt 0x0
	s_barrier_signal -1
	s_barrier_wait -1
	s_and_saveexec_b32 s0, s18
	s_cbranch_execz .LBB172_64
; %bb.63:                               ;   in Loop: Header=BB172_4 Depth=1
	ds_load_2addr_b64 v[20:23], v88 offset1:1
	ds_load_2addr_b64 v[24:27], v88 offset0:2 offset1:3
	s_wait_dscnt 0x1
	v_add_f64_e32 v[20:21], v[48:49], v[20:21]
	s_delay_alu instid0(VALU_DEP_1) | instskip(SKIP_1) | instid1(VALU_DEP_1)
	v_add_f64_e32 v[20:21], v[20:21], v[22:23]
	s_wait_dscnt 0x0
	v_add_f64_e32 v[20:21], v[20:21], v[24:25]
	s_delay_alu instid0(VALU_DEP_1) | instskip(SKIP_4) | instid1(VALU_DEP_1)
	v_add_f64_e32 v[28:29], v[20:21], v[26:27]
	ds_load_2addr_b64 v[20:23], v88 offset0:4 offset1:5
	ds_load_2addr_b64 v[24:27], v88 offset0:6 offset1:7
	s_wait_dscnt 0x1
	v_add_f64_e32 v[20:21], v[28:29], v[20:21]
	v_add_f64_e32 v[20:21], v[20:21], v[22:23]
	s_wait_dscnt 0x0
	s_delay_alu instid0(VALU_DEP_1) | instskip(NEXT) | instid1(VALU_DEP_1)
	v_add_f64_e32 v[20:21], v[20:21], v[24:25]
	v_add_f64_e32 v[48:49], v[20:21], v[26:27]
.LBB172_64:                             ;   in Loop: Header=BB172_4 Depth=1
	s_or_b32 exec_lo, exec_lo, s0
	v_fma_f64 v[8:9], v[12:13], v[8:9], 0
	s_barrier_signal -1
	s_barrier_wait -1
	s_delay_alu instid0(VALU_DEP_1) | instskip(NEXT) | instid1(VALU_DEP_1)
	v_fmac_f64_e32 v[8:9], v[14:15], v[10:11]
	v_fmac_f64_e32 v[8:9], v[4:5], v[0:1]
	s_delay_alu instid0(VALU_DEP_1)
	v_fmac_f64_e32 v[8:9], v[6:7], v[2:3]
	ds_store_b64 v91, v[8:9]
	s_wait_dscnt 0x0
	s_barrier_signal -1
	s_barrier_wait -1
	s_and_saveexec_b32 s0, s12
	s_cbranch_execz .LBB172_66
; %bb.65:                               ;   in Loop: Header=BB172_4 Depth=1
	ds_load_2addr_b64 v[0:3], v88 offset1:1
	ds_load_2addr_b64 v[4:7], v88 offset0:2 offset1:3
	s_wait_dscnt 0x1
	v_add_f64_e32 v[0:1], v[48:49], v[0:1]
	s_delay_alu instid0(VALU_DEP_1) | instskip(SKIP_1) | instid1(VALU_DEP_1)
	v_add_f64_e32 v[0:1], v[0:1], v[2:3]
	s_wait_dscnt 0x0
	v_add_f64_e32 v[0:1], v[0:1], v[4:5]
	s_delay_alu instid0(VALU_DEP_1) | instskip(SKIP_4) | instid1(VALU_DEP_1)
	v_add_f64_e32 v[8:9], v[0:1], v[6:7]
	ds_load_2addr_b64 v[0:3], v88 offset0:4 offset1:5
	ds_load_2addr_b64 v[4:7], v88 offset0:6 offset1:7
	s_wait_dscnt 0x1
	v_add_f64_e32 v[0:1], v[8:9], v[0:1]
	v_add_f64_e32 v[0:1], v[0:1], v[2:3]
	s_wait_dscnt 0x0
	s_delay_alu instid0(VALU_DEP_1) | instskip(NEXT) | instid1(VALU_DEP_1)
	v_add_f64_e32 v[0:1], v[0:1], v[4:5]
	v_add_f64_e32 v[48:49], v[0:1], v[6:7]
.LBB172_66:                             ;   in Loop: Header=BB172_4 Depth=1
	s_or_b32 exec_lo, exec_lo, s0
	s_mul_u64 s[0:1], s[48:49], s[22:23]
	s_and_not1_b32 vcc_lo, exec_lo, vcc_hi
	s_lshl_b64 s[0:1], s[0:1], 3
	s_delay_alu instid0(SALU_CYCLE_1)
	s_add_nc_u64 s[0:1], s[50:51], s[0:1]
	s_barrier_signal -1
	s_barrier_wait -1
	s_cbranch_vccnz .LBB172_73
; %bb.67:                               ;   in Loop: Header=BB172_4 Depth=1
	v_lshl_add_u64 v[0:1], s[66:67], 3, v[18:19]
	v_dual_mov_b32 v3, v35 :: v_dual_lshlrev_b32 v2, 3, v32
	s_mov_b64 s[14:15], 0xffffffffffffff00
	v_lshl_add_u64 v[50:51], s[64:65], 3, v[16:17]
	s_delay_alu instid0(VALU_DEP_3) | instskip(SKIP_2) | instid1(VALU_DEP_1)
	v_lshl_add_u64 v[0:1], v[44:45], 3, v[0:1]
	s_mov_b32 s34, 0
	s_mov_b32 s23, s33
	v_lshl_add_u64 v[0:1], v[46:47], 3, v[0:1]
	s_delay_alu instid0(VALU_DEP_1) | instskip(SKIP_1) | instid1(VALU_DEP_1)
	v_add_nc_u64_e32 v[2:3], v[0:1], v[2:3]
	v_lshl_add_u64 v[0:1], s[46:47], 3, v[0:1]
	v_add_nc_u64_e32 v[0:1], s[102:103], v[0:1]
	s_delay_alu instid0(VALU_DEP_3) | instskip(NEXT) | instid1(VALU_DEP_1)
	v_add_nc_u64_e32 v[2:3], s[14:15], v[2:3]
	v_dual_cndmask_b32 v53, v3, v1, s19 :: v_dual_cndmask_b32 v52, v2, v0, s19
	s_branch .LBB172_69
.LBB172_68:                             ;   in Loop: Header=BB172_69 Depth=2
	s_wait_xcnt 0x0
	s_or_b32 exec_lo, exec_lo, vcc_lo
	v_fmac_f64_e32 v[48:49], v[60:61], v[0:1]
	v_add_nc_u64_e32 v[52:53], s[74:75], v[52:53]
	s_add_co_i32 s23, s23, -1
	s_add_co_i32 s34, s34, 64
	s_cmp_eq_u32 s23, 0
	s_wait_storecnt 0x0
	s_barrier_signal -1
	s_barrier_wait -1
	s_delay_alu instid0(VALU_DEP_2) | instskip(NEXT) | instid1(VALU_DEP_1)
	v_fmac_f64_e32 v[48:49], v[58:59], v[2:3]
	v_fmac_f64_e32 v[48:49], v[56:57], v[4:5]
	s_delay_alu instid0(VALU_DEP_1) | instskip(NEXT) | instid1(VALU_DEP_1)
	v_fmac_f64_e32 v[48:49], v[54:55], v[6:7]
	v_fmac_f64_e32 v[48:49], v[68:69], v[8:9]
	s_delay_alu instid0(VALU_DEP_1) | instskip(NEXT) | instid1(VALU_DEP_1)
	;; [unrolled: 3-line block ×6, first 2 shown]
	v_fmac_f64_e32 v[48:49], v[78:79], v[26:27]
	v_fmac_f64_e32 v[48:49], v[84:85], v[28:29]
	s_delay_alu instid0(VALU_DEP_1)
	v_fmac_f64_e32 v[48:49], v[82:83], v[30:31]
	s_cbranch_scc1 .LBB172_73
.LBB172_69:                             ;   Parent Loop BB172_4 Depth=1
                                        ; =>  This Inner Loop Header: Depth=2
	s_and_saveexec_b32 vcc_lo, s2
	s_cbranch_execz .LBB172_71
; %bb.70:                               ;   in Loop: Header=BB172_69 Depth=2
	s_mul_u64 s[14:15], s[44:45], s[34:35]
	s_delay_alu instid0(SALU_CYCLE_1)
	v_lshl_add_u64 v[0:1], s[14:15], 3, v[50:51]
	flat_load_b64 v[0:1], v[0:1]
	s_wait_loadcnt_dscnt 0x0
	ds_store_b64 v93, v[0:1]
.LBB172_71:                             ;   in Loop: Header=BB172_69 Depth=2
	s_wait_xcnt 0x0
	s_or_b32 exec_lo, exec_lo, vcc_lo
	v_add_nc_u64_e32 v[0:1], s[70:71], v[52:53]
	v_add_nc_u64_e32 v[2:3], s[72:73], v[52:53]
	;; [unrolled: 1-line block ×3, first 2 shown]
	s_wait_dscnt 0x0
	s_barrier_signal -1
	s_barrier_wait -1
	s_clause 0x3
	flat_load_b64 v[60:61], v[52:53]
	flat_load_b64 v[58:59], v[0:1]
	;; [unrolled: 1-line block ×4, first 2 shown]
	s_wait_xcnt 0x0
	ds_load_b64 v[4:5], v87
	ds_load_b128 v[0:3], v94
	v_add_nc_u64_e32 v[20:21], s[56:57], v[52:53]
	v_add_nc_u64_e32 v[26:27], s[98:99], v[52:53]
	v_add_nc_u64_e32 v[28:29], s[78:79], v[52:53]
	v_add_nc_u64_e32 v[30:31], s[80:81], v[52:53]
	v_add_nc_u64_e32 v[70:71], s[82:83], v[52:53]
	v_add_nc_u64_e32 v[72:73], s[96:97], v[52:53]
	v_add_nc_u64_e32 v[82:83], s[84:85], v[52:53]
	v_add_nc_u64_e32 v[84:85], s[86:87], v[52:53]
	s_wait_loadcnt_dscnt 0x301
	v_mul_f64_e32 v[8:9], v[60:61], v[4:5]
	s_wait_loadcnt 0x2
	v_mul_f64_e32 v[10:11], v[58:59], v[4:5]
	s_wait_loadcnt 0x1
	;; [unrolled: 2-line block ×3, first 2 shown]
	v_mul_f64_e32 v[14:15], v[54:55], v[4:5]
	ds_load_b128 v[4:7], v94 offset:16
	ds_store_2addr_b64 v95, v[8:9], v[10:11] offset1:67
	ds_store_2addr_b64 v95, v[12:13], v[14:15] offset0:134 offset1:201
	s_wait_dscnt 0x0
	s_barrier_signal -1
	s_barrier_wait -1
	ds_load_2addr_b64 v[16:19], v96 offset1:1
	ds_load_2addr_b64 v[22:25], v96 offset0:2 offset1:3
	s_wait_dscnt 0x0
	s_barrier_signal -1
	s_barrier_wait -1
	s_clause 0x3
	flat_load_b64 v[68:69], v[20:21]
	flat_load_b64 v[66:67], v[26:27]
	;; [unrolled: 1-line block ×4, first 2 shown]
	ds_load_b64 v[12:13], v87
	ds_load_b128 v[8:11], v94 offset:128
	v_add_f64_e32 v[16:17], 0, v[16:17]
	s_wait_loadcnt_dscnt 0x301
	s_wait_xcnt 0x3
	v_mul_f64_e32 v[20:21], v[68:69], v[12:13]
	s_wait_loadcnt 0x2
	s_wait_xcnt 0x2
	v_mul_f64_e32 v[26:27], v[66:67], v[12:13]
	s_wait_loadcnt 0x1
	;; [unrolled: 3-line block ×3, first 2 shown]
	s_wait_xcnt 0x0
	v_mul_f64_e32 v[30:31], v[62:63], v[12:13]
	ds_load_b128 v[12:15], v94 offset:144
	ds_store_2addr_b64 v95, v[20:21], v[26:27] offset1:67
	ds_store_2addr_b64 v95, v[28:29], v[30:31] offset0:134 offset1:201
	s_wait_dscnt 0x0
	s_barrier_signal -1
	s_barrier_wait -1
	ds_load_2addr_b64 v[26:29], v96 offset1:1
	ds_load_2addr_b64 v[78:81], v96 offset0:2 offset1:3
	s_wait_dscnt 0x0
	s_barrier_signal -1
	s_barrier_wait -1
	s_clause 0x3
	flat_load_b64 v[76:77], v[70:71]
	flat_load_b64 v[74:75], v[72:73]
	;; [unrolled: 1-line block ×4, first 2 shown]
	v_add_f64_e32 v[30:31], v[16:17], v[18:19]
	ds_load_b128 v[16:19], v94 offset:256
	v_add_f64_e32 v[20:21], 0, v[26:27]
	ds_load_b64 v[26:27], v87
	v_add_f64_e32 v[30:31], v[30:31], v[22:23]
	v_add_f64_e32 v[20:21], v[20:21], v[28:29]
	s_delay_alu instid0(VALU_DEP_2) | instskip(NEXT) | instid1(VALU_DEP_2)
	v_add_f64_e32 v[118:119], v[30:31], v[24:25]
	v_add_f64_e32 v[78:79], v[20:21], v[78:79]
	ds_load_b128 v[20:23], v94 offset:272
	v_add_f64_e32 v[120:121], v[78:79], v[80:81]
	s_wait_loadcnt_dscnt 0x301
	v_mul_f64_e32 v[28:29], v[76:77], v[26:27]
	s_wait_loadcnt 0x2
	s_wait_xcnt 0x1
	v_mul_f64_e32 v[82:83], v[74:75], v[26:27]
	s_wait_loadcnt 0x1
	s_wait_xcnt 0x0
	v_mul_f64_e32 v[84:85], v[72:73], v[26:27]
	s_wait_loadcnt 0x0
	v_mul_f64_e32 v[26:27], v[70:71], v[26:27]
	ds_store_2addr_b64 v95, v[28:29], v[82:83] offset1:67
	ds_store_2addr_b64 v95, v[84:85], v[26:27] offset0:134 offset1:201
	s_wait_dscnt 0x0
	s_barrier_signal -1
	s_barrier_wait -1
	ds_load_2addr_b64 v[26:29], v96 offset1:1
	ds_load_2addr_b64 v[106:109], v96 offset0:2 offset1:3
	v_add_nc_u64_e32 v[82:83], s[88:89], v[52:53]
	v_add_nc_u64_e32 v[84:85], s[94:95], v[52:53]
	s_wait_dscnt 0x0
	s_barrier_signal -1
	s_barrier_wait -1
	s_clause 0x1
	flat_load_b64 v[80:81], v[82:83]
	flat_load_b64 v[78:79], v[84:85]
	v_add_f64_e32 v[24:25], 0, v[26:27]
	v_add_nc_u64_e32 v[26:27], s[90:91], v[52:53]
	s_delay_alu instid0(VALU_DEP_2)
	v_add_f64_e32 v[122:123], v[24:25], v[28:29]
	v_add_nc_u64_e32 v[24:25], s[92:93], v[52:53]
	s_clause 0x1
	flat_load_b64 v[84:85], v[26:27]
	flat_load_b64 v[82:83], v[24:25]
	ds_load_b64 v[28:29], v87
	s_wait_xcnt 0x0
	ds_load_b128 v[24:27], v94 offset:384
	v_add_f64_e32 v[106:107], v[122:123], v[106:107]
	s_delay_alu instid0(VALU_DEP_1)
	v_add_f64_e32 v[106:107], v[106:107], v[108:109]
	s_wait_loadcnt_dscnt 0x301
	v_mul_f64_e32 v[30:31], v[80:81], v[28:29]
	s_wait_loadcnt 0x2
	v_mul_f64_e32 v[110:111], v[78:79], v[28:29]
	ds_store_2addr_b64 v95, v[30:31], v[110:111] offset1:67
	s_wait_loadcnt 0x1
	v_mul_f64_e32 v[30:31], v[84:85], v[28:29]
	s_wait_loadcnt 0x0
	v_mul_f64_e32 v[28:29], v[82:83], v[28:29]
	ds_store_2addr_b64 v95, v[30:31], v[28:29] offset0:134 offset1:201
	ds_load_b128 v[28:31], v94 offset:400
	s_wait_dscnt 0x0
	s_barrier_signal -1
	s_barrier_wait -1
	ds_load_2addr_b64 v[110:113], v96 offset1:1
	ds_load_2addr_b64 v[114:117], v96 offset0:2 offset1:3
	s_wait_dscnt 0x0
	s_barrier_signal -1
	s_barrier_wait -1
	v_add_f64_e32 v[110:111], 0, v[110:111]
	s_delay_alu instid0(VALU_DEP_1) | instskip(NEXT) | instid1(VALU_DEP_1)
	v_add_f64_e32 v[110:111], v[110:111], v[112:113]
	v_add_f64_e32 v[108:109], v[110:111], v[114:115]
	s_delay_alu instid0(VALU_DEP_1)
	v_add_f64_e32 v[108:109], v[108:109], v[116:117]
	ds_store_2addr_b64 v105, v[118:119], v[120:121] offset1:16
	ds_store_2addr_b64 v105, v[106:107], v[108:109] offset0:32 offset1:48
	s_wait_dscnt 0x0
	s_barrier_signal -1
	s_barrier_wait -1
	s_and_saveexec_b32 vcc_lo, s20
	s_cbranch_execz .LBB172_68
; %bb.72:                               ;   in Loop: Header=BB172_69 Depth=2
	ds_load_2addr_b64 v[106:109], v97 offset1:1
	ds_load_2addr_b64 v[110:113], v97 offset0:2 offset1:3
	s_wait_dscnt 0x1
	v_add_f64_e32 v[106:107], v[106:107], v[108:109]
	s_wait_dscnt 0x0
	s_delay_alu instid0(VALU_DEP_1) | instskip(NEXT) | instid1(VALU_DEP_1)
	v_add_f64_e32 v[106:107], v[106:107], v[110:111]
	v_add_f64_e32 v[114:115], v[106:107], v[112:113]
	ds_load_2addr_b64 v[106:109], v97 offset0:4 offset1:5
	ds_load_2addr_b64 v[110:113], v97 offset0:6 offset1:7
	s_wait_dscnt 0x1
	v_add_f64_e32 v[106:107], v[114:115], v[106:107]
	s_delay_alu instid0(VALU_DEP_1) | instskip(SKIP_1) | instid1(VALU_DEP_1)
	v_add_f64_e32 v[106:107], v[106:107], v[108:109]
	s_wait_dscnt 0x0
	v_add_f64_e32 v[106:107], v[106:107], v[110:111]
	s_delay_alu instid0(VALU_DEP_1) | instskip(SKIP_4) | instid1(VALU_DEP_1)
	v_add_f64_e32 v[114:115], v[106:107], v[112:113]
	ds_load_2addr_b64 v[106:109], v97 offset0:8 offset1:9
	ds_load_2addr_b64 v[110:113], v97 offset0:10 offset1:11
	s_wait_dscnt 0x1
	v_add_f64_e32 v[106:107], v[114:115], v[106:107]
	v_add_f64_e32 v[106:107], v[106:107], v[108:109]
	s_wait_dscnt 0x0
	s_delay_alu instid0(VALU_DEP_1) | instskip(NEXT) | instid1(VALU_DEP_1)
	v_add_f64_e32 v[106:107], v[106:107], v[110:111]
	v_add_f64_e32 v[110:111], v[106:107], v[112:113]
	ds_load_2addr_b64 v[106:109], v97 offset0:12 offset1:13
	ds_load_b64 v[112:113], v97 offset:112
	s_wait_dscnt 0x1
	v_add_f64_e32 v[106:107], v[110:111], v[106:107]
	s_delay_alu instid0(VALU_DEP_1) | instskip(SKIP_4) | instid1(VALU_DEP_1)
	v_add_f64_e32 v[106:107], v[106:107], v[108:109]
	ds_load_b64 v[108:109], v98
	s_wait_dscnt 0x1
	v_add_f64_e32 v[106:107], v[106:107], v[112:113]
	s_wait_dscnt 0x0
	v_add_f64_e32 v[106:107], v[106:107], v[108:109]
	v_add_nc_u32_e32 v108, s34, v32
	global_store_b64 v108, v[106:107], s[0:1] scale_offset
	s_branch .LBB172_68
.LBB172_73:                             ;   in Loop: Header=BB172_4 Depth=1
	ds_store_b64 v99, v[48:49]
	s_wait_dscnt 0x0
	s_barrier_signal -1
	s_barrier_wait -1
	s_and_saveexec_b32 s23, s104
	s_cbranch_execz .LBB172_2
; %bb.74:                               ;   in Loop: Header=BB172_4 Depth=1
	ds_load_2addr_b64 v[0:3], v33 offset1:67
	s_wait_dscnt 0x0
	v_add_f64_e32 v[4:5], v[0:1], v[2:3]
	ds_load_2addr_b64 v[0:3], v33 offset0:134 offset1:201
	s_wait_dscnt 0x0
	v_add_f64_e32 v[0:1], v[4:5], v[0:1]
	s_delay_alu instid0(VALU_DEP_1)
	v_add_f64_e32 v[0:1], v[0:1], v[2:3]
	v_lshl_add_u64 v[2:3], v[36:37], 3, s[0:1]
	global_store_b64 v[2:3], v[0:1], off
	s_branch .LBB172_2
.LBB172_75:                             ;   in Loop: Header=BB172_4 Depth=1
	ds_load_b64 v[2:3], v102
	s_wait_dscnt 0x0
	ds_store_b64 v89, v[2:3]
	s_or_b32 exec_lo, exec_lo, s0
	s_and_saveexec_b32 s0, s9
	s_cbranch_execz .LBB172_26
.LBB172_76:                             ;   in Loop: Header=BB172_4 Depth=1
	ds_load_b64 v[2:3], v103
	s_wait_dscnt 0x0
	ds_store_b64 v89, v[2:3] offset:8
	s_or_b32 exec_lo, exec_lo, s0
	s_and_saveexec_b32 s0, s10
	s_cbranch_execz .LBB172_27
.LBB172_77:                             ;   in Loop: Header=BB172_4 Depth=1
	ds_load_b64 v[2:3], v103 offset:264
	s_wait_dscnt 0x0
	ds_store_b64 v89, v[2:3] offset:16
	s_or_b32 exec_lo, exec_lo, s0
	s_and_saveexec_b32 s0, s11
	s_cbranch_execnz .LBB172_28
	s_branch .LBB172_29
.LBB172_78:                             ;   in Loop: Header=BB172_4 Depth=1
	ds_load_b64 v[2:3], v102
	s_wait_dscnt 0x0
	ds_store_b64 v89, v[2:3]
	s_or_b32 exec_lo, exec_lo, s0
	s_and_saveexec_b32 s0, s9
	s_cbranch_execz .LBB172_45
.LBB172_79:                             ;   in Loop: Header=BB172_4 Depth=1
	ds_load_b64 v[2:3], v103
	s_wait_dscnt 0x0
	ds_store_b64 v89, v[2:3] offset:8
	s_or_b32 exec_lo, exec_lo, s0
	s_and_saveexec_b32 s0, s10
	s_cbranch_execz .LBB172_46
.LBB172_80:                             ;   in Loop: Header=BB172_4 Depth=1
	ds_load_b64 v[2:3], v103 offset:264
	s_wait_dscnt 0x0
	ds_store_b64 v89, v[2:3] offset:16
	s_or_b32 exec_lo, exec_lo, s0
	s_and_saveexec_b32 s0, s11
	s_cbranch_execnz .LBB172_47
	s_branch .LBB172_48
.LBB172_81:
	s_sendmsg sendmsg(MSG_DEALLOC_VGPRS)
	s_endpgm
	.section	.rodata,"a",@progbits
	.p2align	6, 0x0
	.amdhsa_kernel _ZL26rocblas_hemvn_kernel_lowerILb0ELi64ELi4ELi33ELi32ELi16ElPKdPKS1_PdEviT6_lT7_lT5_lS6_lS7_lS5_lT8_i
		.amdhsa_group_segment_fixed_size 9600
		.amdhsa_private_segment_fixed_size 0
		.amdhsa_kernarg_size 376
		.amdhsa_user_sgpr_count 2
		.amdhsa_user_sgpr_dispatch_ptr 0
		.amdhsa_user_sgpr_queue_ptr 0
		.amdhsa_user_sgpr_kernarg_segment_ptr 1
		.amdhsa_user_sgpr_dispatch_id 0
		.amdhsa_user_sgpr_kernarg_preload_length 0
		.amdhsa_user_sgpr_kernarg_preload_offset 0
		.amdhsa_user_sgpr_private_segment_size 0
		.amdhsa_wavefront_size32 1
		.amdhsa_uses_dynamic_stack 0
		.amdhsa_enable_private_segment 0
		.amdhsa_system_sgpr_workgroup_id_x 1
		.amdhsa_system_sgpr_workgroup_id_y 0
		.amdhsa_system_sgpr_workgroup_id_z 1
		.amdhsa_system_sgpr_workgroup_info 0
		.amdhsa_system_vgpr_workitem_id 1
		.amdhsa_next_free_vgpr 125
		.amdhsa_next_free_sgpr 105
		.amdhsa_named_barrier_count 0
		.amdhsa_reserve_vcc 1
		.amdhsa_float_round_mode_32 0
		.amdhsa_float_round_mode_16_64 0
		.amdhsa_float_denorm_mode_32 3
		.amdhsa_float_denorm_mode_16_64 3
		.amdhsa_fp16_overflow 0
		.amdhsa_memory_ordered 1
		.amdhsa_forward_progress 1
		.amdhsa_inst_pref_size 44
		.amdhsa_round_robin_scheduling 0
		.amdhsa_exception_fp_ieee_invalid_op 0
		.amdhsa_exception_fp_denorm_src 0
		.amdhsa_exception_fp_ieee_div_zero 0
		.amdhsa_exception_fp_ieee_overflow 0
		.amdhsa_exception_fp_ieee_underflow 0
		.amdhsa_exception_fp_ieee_inexact 0
		.amdhsa_exception_int_div_zero 0
	.end_amdhsa_kernel
	.section	.text._ZL26rocblas_hemvn_kernel_lowerILb0ELi64ELi4ELi33ELi32ELi16ElPKdPKS1_PdEviT6_lT7_lT5_lS6_lS7_lS5_lT8_i,"axG",@progbits,_ZL26rocblas_hemvn_kernel_lowerILb0ELi64ELi4ELi33ELi32ELi16ElPKdPKS1_PdEviT6_lT7_lT5_lS6_lS7_lS5_lT8_i,comdat
.Lfunc_end172:
	.size	_ZL26rocblas_hemvn_kernel_lowerILb0ELi64ELi4ELi33ELi32ELi16ElPKdPKS1_PdEviT6_lT7_lT5_lS6_lS7_lS5_lT8_i, .Lfunc_end172-_ZL26rocblas_hemvn_kernel_lowerILb0ELi64ELi4ELi33ELi32ELi16ElPKdPKS1_PdEviT6_lT7_lT5_lS6_lS7_lS5_lT8_i
                                        ; -- End function
	.set _ZL26rocblas_hemvn_kernel_lowerILb0ELi64ELi4ELi33ELi32ELi16ElPKdPKS1_PdEviT6_lT7_lT5_lS6_lS7_lS5_lT8_i.num_vgpr, 125
	.set _ZL26rocblas_hemvn_kernel_lowerILb0ELi64ELi4ELi33ELi32ELi16ElPKdPKS1_PdEviT6_lT7_lT5_lS6_lS7_lS5_lT8_i.num_agpr, 0
	.set _ZL26rocblas_hemvn_kernel_lowerILb0ELi64ELi4ELi33ELi32ELi16ElPKdPKS1_PdEviT6_lT7_lT5_lS6_lS7_lS5_lT8_i.numbered_sgpr, 105
	.set _ZL26rocblas_hemvn_kernel_lowerILb0ELi64ELi4ELi33ELi32ELi16ElPKdPKS1_PdEviT6_lT7_lT5_lS6_lS7_lS5_lT8_i.num_named_barrier, 0
	.set _ZL26rocblas_hemvn_kernel_lowerILb0ELi64ELi4ELi33ELi32ELi16ElPKdPKS1_PdEviT6_lT7_lT5_lS6_lS7_lS5_lT8_i.private_seg_size, 0
	.set _ZL26rocblas_hemvn_kernel_lowerILb0ELi64ELi4ELi33ELi32ELi16ElPKdPKS1_PdEviT6_lT7_lT5_lS6_lS7_lS5_lT8_i.uses_vcc, 1
	.set _ZL26rocblas_hemvn_kernel_lowerILb0ELi64ELi4ELi33ELi32ELi16ElPKdPKS1_PdEviT6_lT7_lT5_lS6_lS7_lS5_lT8_i.uses_flat_scratch, 1
	.set _ZL26rocblas_hemvn_kernel_lowerILb0ELi64ELi4ELi33ELi32ELi16ElPKdPKS1_PdEviT6_lT7_lT5_lS6_lS7_lS5_lT8_i.has_dyn_sized_stack, 0
	.set _ZL26rocblas_hemvn_kernel_lowerILb0ELi64ELi4ELi33ELi32ELi16ElPKdPKS1_PdEviT6_lT7_lT5_lS6_lS7_lS5_lT8_i.has_recursion, 0
	.set _ZL26rocblas_hemvn_kernel_lowerILb0ELi64ELi4ELi33ELi32ELi16ElPKdPKS1_PdEviT6_lT7_lT5_lS6_lS7_lS5_lT8_i.has_indirect_call, 0
	.section	.AMDGPU.csdata,"",@progbits
; Kernel info:
; codeLenInByte = 5528
; TotalNumSgprs: 107
; NumVgprs: 125
; ScratchSize: 0
; MemoryBound: 0
; FloatMode: 240
; IeeeMode: 1
; LDSByteSize: 9600 bytes/workgroup (compile time only)
; SGPRBlocks: 0
; VGPRBlocks: 7
; NumSGPRsForWavesPerEU: 107
; NumVGPRsForWavesPerEU: 125
; NamedBarCnt: 0
; Occupancy: 8
; WaveLimiterHint : 1
; COMPUTE_PGM_RSRC2:SCRATCH_EN: 0
; COMPUTE_PGM_RSRC2:USER_SGPR: 2
; COMPUTE_PGM_RSRC2:TRAP_HANDLER: 0
; COMPUTE_PGM_RSRC2:TGID_X_EN: 1
; COMPUTE_PGM_RSRC2:TGID_Y_EN: 0
; COMPUTE_PGM_RSRC2:TGID_Z_EN: 1
; COMPUTE_PGM_RSRC2:TIDIG_COMP_CNT: 1
	.section	.text._ZL36rocblas_hemvn_kernel_lower_block_sumILi64ElPKdPKPddEviT1_lS5_lT2_lT0_lPT3_i,"axG",@progbits,_ZL36rocblas_hemvn_kernel_lower_block_sumILi64ElPKdPKPddEviT1_lS5_lT2_lT0_lPT3_i,comdat
	.globl	_ZL36rocblas_hemvn_kernel_lower_block_sumILi64ElPKdPKPddEviT1_lS5_lT2_lT0_lPT3_i ; -- Begin function _ZL36rocblas_hemvn_kernel_lower_block_sumILi64ElPKdPKPddEviT1_lS5_lT2_lT0_lPT3_i
	.p2align	8
	.type	_ZL36rocblas_hemvn_kernel_lower_block_sumILi64ElPKdPKPddEviT1_lS5_lT2_lT0_lPT3_i,@function
_ZL36rocblas_hemvn_kernel_lower_block_sumILi64ElPKdPKPddEviT1_lS5_lT2_lT0_lPT3_i: ; @_ZL36rocblas_hemvn_kernel_lower_block_sumILi64ElPKdPKPddEviT1_lS5_lT2_lT0_lPT3_i
; %bb.0:
	s_load_b32 s3, s[0:1], 0x50
	s_bfe_u32 s2, ttmp6, 0x40014
	s_lshr_b32 s4, ttmp7, 16
	s_add_co_i32 s2, s2, 1
	s_bfe_u32 s6, ttmp6, 0x40008
	s_mul_i32 s5, s4, s2
	s_getreg_b32 s2, hwreg(HW_REG_IB_STS2, 6, 4)
	s_add_co_i32 s6, s6, s5
	s_cmp_eq_u32 s2, 0
	s_mov_b32 s13, 0
	s_cselect_b32 s12, s4, s6
	s_wait_kmcnt 0x0
	s_cmp_ge_u32 s12, s3
	s_cbranch_scc1 .LBB173_24
; %bb.1:
	s_clause 0x1
	s_load_b128 s[20:23], s[0:1], 0x30
	s_load_b32 s18, s[0:1], 0x0
	s_bfe_u32 s4, ttmp6, 0x4000c
	s_and_b32 s5, ttmp6, 15
	s_add_co_i32 s4, s4, 1
	s_load_b64 s[16:17], s[0:1], 0x48
	s_mul_i32 s4, ttmp9, s4
	v_mov_b32_e32 v12, 0
	s_add_co_i32 s5, s5, s4
	s_cmp_eq_u32 s2, 0
	s_cselect_b32 s24, ttmp9, s5
	s_clause 0x1
	s_load_b64 s[14:15], s[0:1], 0x28
	s_load_b256 s[4:11], s[0:1], 0x8
	v_lshl_or_b32 v2, s24, 6, v0
	s_wait_kmcnt 0x0
	s_lshl_b64 s[20:21], s[20:21], 3
	s_delay_alu instid0(VALU_DEP_1) | instskip(SKIP_3) | instid1(SALU_CYCLE_1)
	v_mad_u32 v4, s18, s24, v2
	v_ashrrev_i32_e32 v3, 31, v2
	v_cmp_gt_i32_e64 s2, s18, v2
	s_ashr_i32 s19, s18, 31
	s_lshl_b64 s[18:19], s[18:19], 3
	v_ashrrev_i32_e32 v5, 31, v4
	v_mul_u64_e32 v[0:1], s[22:23], v[2:3]
	s_delay_alu instid0(VALU_DEP_2)
	v_lshl_add_u64 v[2:3], v[4:5], 3, s[16:17]
	s_add_nc_u64 s[16:17], s[0:1], 0x58
	s_branch .LBB173_4
.LBB173_2:                              ;   in Loop: Header=BB173_4 Depth=1
	s_wait_xcnt 0x0
	s_or_b32 exec_lo, exec_lo, s22
.LBB173_3:                              ;   in Loop: Header=BB173_4 Depth=1
	s_add_co_i32 s12, s12, 0x10000
	s_delay_alu instid0(SALU_CYCLE_1)
	s_cmp_lt_u32 s12, s3
	s_cbranch_scc0 .LBB173_24
.LBB173_4:                              ; =>This Loop Header: Depth=1
                                        ;     Child Loop BB173_15 Depth 2
	s_mul_u64 s[0:1], s[6:7], s[12:13]
	s_wait_xcnt 0x0
	s_mul_u64 s[22:23], s[10:11], s[12:13]
	s_lshl_b64 s[0:1], s[0:1], 3
	s_lshl_b64 s[22:23], s[22:23], 3
	s_add_nc_u64 s[0:1], s[4:5], s[0:1]
	s_add_nc_u64 s[22:23], s[8:9], s[22:23]
	s_clause 0x1
	global_load_b64 v[4:5], v12, s[0:1]
	global_load_b64 v[6:7], v12, s[22:23]
	s_wait_loadcnt 0x1
	v_cmp_eq_f64_e32 vcc_lo, 0, v[4:5]
	s_wait_loadcnt 0x0
	s_wait_xcnt 0x1
	v_cmp_eq_f64_e64 s0, 1.0, v[6:7]
	s_and_b32 s0, vcc_lo, s0
	s_delay_alu instid0(SALU_CYCLE_1)
	s_and_b32 vcc_lo, exec_lo, s0
	s_cbranch_vccnz .LBB173_3
; %bb.5:                                ;   in Loop: Header=BB173_4 Depth=1
	v_cmp_neq_f64_e32 vcc_lo, 0, v[4:5]
	s_lshl_b64 s[0:1], s[12:13], 3
	s_delay_alu instid0(SALU_CYCLE_1)
	s_add_nc_u64 s[0:1], s[14:15], s[0:1]
	s_load_b64 s[0:1], s[0:1], 0x0
	s_wait_kmcnt 0x0
	s_wait_xcnt 0x0
	s_add_nc_u64 s[0:1], s[0:1], s[20:21]
	s_cbranch_vccnz .LBB173_10
; %bb.6:                                ;   in Loop: Header=BB173_4 Depth=1
	s_mov_b32 s22, 0
	s_mov_b32 s25, 0
                                        ; implicit-def: $vgpr8_vgpr9
	s_and_saveexec_b32 s23, s2
	s_cbranch_execz .LBB173_11
; %bb.7:                                ;   in Loop: Header=BB173_4 Depth=1
	v_cmp_eq_f64_e32 vcc_lo, 0, v[6:7]
	v_mov_b64_e32 v[8:9], 0
	s_cbranch_vccnz .LBB173_9
; %bb.8:                                ;   in Loop: Header=BB173_4 Depth=1
	v_lshl_add_u64 v[8:9], v[0:1], 3, s[0:1]
	flat_load_b64 v[8:9], v[8:9]
	s_wait_loadcnt_dscnt 0x0
	s_wait_xcnt 0x0
	v_mul_f64_e32 v[8:9], v[6:7], v[8:9]
.LBB173_9:                              ;   in Loop: Header=BB173_4 Depth=1
	s_mov_b32 s25, exec_lo
	s_or_b32 exec_lo, exec_lo, s23
	s_delay_alu instid0(SALU_CYCLE_1)
	s_and_b32 vcc_lo, exec_lo, s22
	s_cbranch_vccnz .LBB173_12
	s_branch .LBB173_21
.LBB173_10:                             ;   in Loop: Header=BB173_4 Depth=1
	s_mov_b32 s25, 0
                                        ; implicit-def: $vgpr8_vgpr9
	s_cbranch_execnz .LBB173_12
	s_branch .LBB173_21
.LBB173_11:                             ;   in Loop: Header=BB173_4 Depth=1
	s_or_b32 exec_lo, exec_lo, s23
	s_delay_alu instid0(SALU_CYCLE_1)
	s_and_b32 vcc_lo, exec_lo, s22
	s_cbranch_vccz .LBB173_21
.LBB173_12:                             ;   in Loop: Header=BB173_4 Depth=1
                                        ; implicit-def: $vgpr8_vgpr9
	s_and_saveexec_b32 s26, s2
	s_cbranch_execz .LBB173_20
; %bb.13:                               ;   in Loop: Header=BB173_4 Depth=1
	s_load_b32 s22, s[16:17], 0x0
	v_mov_b64_e32 v[10:11], 0
	s_wait_kmcnt 0x0
	s_cmp_ge_i32 s24, s22
	s_cbranch_scc1 .LBB173_16
; %bb.14:                               ;   in Loop: Header=BB173_4 Depth=1
	s_mov_b32 s23, s13
	v_mov_b64_e32 v[10:11], 0
	s_mul_u64 s[28:29], s[18:19], s[22:23]
	s_mov_b32 s23, s24
	v_mad_nc_u64_u32 v[8:9], s28, s12, v[2:3]
	s_delay_alu instid0(VALU_DEP_1)
	v_mad_u32 v9, s29, s12, v9
.LBB173_15:                             ;   Parent Loop BB173_4 Depth=1
                                        ; =>  This Inner Loop Header: Depth=2
	global_load_b64 v[14:15], v[8:9], off
	s_wait_xcnt 0x0
	v_add_nc_u64_e32 v[8:9], s[18:19], v[8:9]
	s_add_co_i32 s23, s23, 1
	s_delay_alu instid0(SALU_CYCLE_1)
	s_cmp_ge_i32 s23, s22
	s_wait_loadcnt 0x0
	v_add_f64_e32 v[10:11], v[10:11], v[14:15]
	s_cbranch_scc0 .LBB173_15
.LBB173_16:                             ;   in Loop: Header=BB173_4 Depth=1
	v_cmp_eq_f64_e32 vcc_lo, 0, v[6:7]
	s_cbranch_vccz .LBB173_23
; %bb.17:                               ;   in Loop: Header=BB173_4 Depth=1
	s_delay_alu instid0(VALU_DEP_2)
	v_mul_f64_e32 v[8:9], v[4:5], v[10:11]
	s_cbranch_execnz .LBB173_19
.LBB173_18:                             ;   in Loop: Header=BB173_4 Depth=1
	v_lshl_add_u64 v[8:9], v[0:1], 3, s[0:1]
	flat_load_b64 v[8:9], v[8:9]
	s_wait_loadcnt_dscnt 0x0
	s_wait_xcnt 0x0
	v_mul_f64_e32 v[8:9], v[6:7], v[8:9]
	s_delay_alu instid0(VALU_DEP_1)
	v_fmac_f64_e32 v[8:9], v[4:5], v[10:11]
.LBB173_19:                             ;   in Loop: Header=BB173_4 Depth=1
	s_or_b32 s25, s25, exec_lo
.LBB173_20:                             ;   in Loop: Header=BB173_4 Depth=1
	s_or_b32 exec_lo, exec_lo, s26
.LBB173_21:                             ;   in Loop: Header=BB173_4 Depth=1
	s_and_saveexec_b32 s22, s25
	s_cbranch_execz .LBB173_2
; %bb.22:                               ;   in Loop: Header=BB173_4 Depth=1
	v_lshl_add_u64 v[4:5], v[0:1], 3, s[0:1]
	flat_store_b64 v[4:5], v[8:9]
	s_branch .LBB173_2
.LBB173_23:                             ;   in Loop: Header=BB173_4 Depth=1
                                        ; implicit-def: $vgpr8_vgpr9
	s_branch .LBB173_18
.LBB173_24:
	s_endpgm
	.section	.rodata,"a",@progbits
	.p2align	6, 0x0
	.amdhsa_kernel _ZL36rocblas_hemvn_kernel_lower_block_sumILi64ElPKdPKPddEviT1_lS5_lT2_lT0_lPT3_i
		.amdhsa_group_segment_fixed_size 0
		.amdhsa_private_segment_fixed_size 0
		.amdhsa_kernarg_size 344
		.amdhsa_user_sgpr_count 2
		.amdhsa_user_sgpr_dispatch_ptr 0
		.amdhsa_user_sgpr_queue_ptr 0
		.amdhsa_user_sgpr_kernarg_segment_ptr 1
		.amdhsa_user_sgpr_dispatch_id 0
		.amdhsa_user_sgpr_kernarg_preload_length 0
		.amdhsa_user_sgpr_kernarg_preload_offset 0
		.amdhsa_user_sgpr_private_segment_size 0
		.amdhsa_wavefront_size32 1
		.amdhsa_uses_dynamic_stack 0
		.amdhsa_enable_private_segment 0
		.amdhsa_system_sgpr_workgroup_id_x 1
		.amdhsa_system_sgpr_workgroup_id_y 0
		.amdhsa_system_sgpr_workgroup_id_z 1
		.amdhsa_system_sgpr_workgroup_info 0
		.amdhsa_system_vgpr_workitem_id 0
		.amdhsa_next_free_vgpr 16
		.amdhsa_next_free_sgpr 30
		.amdhsa_named_barrier_count 0
		.amdhsa_reserve_vcc 1
		.amdhsa_float_round_mode_32 0
		.amdhsa_float_round_mode_16_64 0
		.amdhsa_float_denorm_mode_32 3
		.amdhsa_float_denorm_mode_16_64 3
		.amdhsa_fp16_overflow 0
		.amdhsa_memory_ordered 1
		.amdhsa_forward_progress 1
		.amdhsa_inst_pref_size 6
		.amdhsa_round_robin_scheduling 0
		.amdhsa_exception_fp_ieee_invalid_op 0
		.amdhsa_exception_fp_denorm_src 0
		.amdhsa_exception_fp_ieee_div_zero 0
		.amdhsa_exception_fp_ieee_overflow 0
		.amdhsa_exception_fp_ieee_underflow 0
		.amdhsa_exception_fp_ieee_inexact 0
		.amdhsa_exception_int_div_zero 0
	.end_amdhsa_kernel
	.section	.text._ZL36rocblas_hemvn_kernel_lower_block_sumILi64ElPKdPKPddEviT1_lS5_lT2_lT0_lPT3_i,"axG",@progbits,_ZL36rocblas_hemvn_kernel_lower_block_sumILi64ElPKdPKPddEviT1_lS5_lT2_lT0_lPT3_i,comdat
.Lfunc_end173:
	.size	_ZL36rocblas_hemvn_kernel_lower_block_sumILi64ElPKdPKPddEviT1_lS5_lT2_lT0_lPT3_i, .Lfunc_end173-_ZL36rocblas_hemvn_kernel_lower_block_sumILi64ElPKdPKPddEviT1_lS5_lT2_lT0_lPT3_i
                                        ; -- End function
	.set _ZL36rocblas_hemvn_kernel_lower_block_sumILi64ElPKdPKPddEviT1_lS5_lT2_lT0_lPT3_i.num_vgpr, 16
	.set _ZL36rocblas_hemvn_kernel_lower_block_sumILi64ElPKdPKPddEviT1_lS5_lT2_lT0_lPT3_i.num_agpr, 0
	.set _ZL36rocblas_hemvn_kernel_lower_block_sumILi64ElPKdPKPddEviT1_lS5_lT2_lT0_lPT3_i.numbered_sgpr, 30
	.set _ZL36rocblas_hemvn_kernel_lower_block_sumILi64ElPKdPKPddEviT1_lS5_lT2_lT0_lPT3_i.num_named_barrier, 0
	.set _ZL36rocblas_hemvn_kernel_lower_block_sumILi64ElPKdPKPddEviT1_lS5_lT2_lT0_lPT3_i.private_seg_size, 0
	.set _ZL36rocblas_hemvn_kernel_lower_block_sumILi64ElPKdPKPddEviT1_lS5_lT2_lT0_lPT3_i.uses_vcc, 1
	.set _ZL36rocblas_hemvn_kernel_lower_block_sumILi64ElPKdPKPddEviT1_lS5_lT2_lT0_lPT3_i.uses_flat_scratch, 0
	.set _ZL36rocblas_hemvn_kernel_lower_block_sumILi64ElPKdPKPddEviT1_lS5_lT2_lT0_lPT3_i.has_dyn_sized_stack, 0
	.set _ZL36rocblas_hemvn_kernel_lower_block_sumILi64ElPKdPKPddEviT1_lS5_lT2_lT0_lPT3_i.has_recursion, 0
	.set _ZL36rocblas_hemvn_kernel_lower_block_sumILi64ElPKdPKPddEviT1_lS5_lT2_lT0_lPT3_i.has_indirect_call, 0
	.section	.AMDGPU.csdata,"",@progbits
; Kernel info:
; codeLenInByte = 728
; TotalNumSgprs: 32
; NumVgprs: 16
; ScratchSize: 0
; MemoryBound: 0
; FloatMode: 240
; IeeeMode: 1
; LDSByteSize: 0 bytes/workgroup (compile time only)
; SGPRBlocks: 0
; VGPRBlocks: 0
; NumSGPRsForWavesPerEU: 32
; NumVGPRsForWavesPerEU: 16
; NamedBarCnt: 0
; Occupancy: 16
; WaveLimiterHint : 1
; COMPUTE_PGM_RSRC2:SCRATCH_EN: 0
; COMPUTE_PGM_RSRC2:USER_SGPR: 2
; COMPUTE_PGM_RSRC2:TRAP_HANDLER: 0
; COMPUTE_PGM_RSRC2:TGID_X_EN: 1
; COMPUTE_PGM_RSRC2:TGID_Y_EN: 0
; COMPUTE_PGM_RSRC2:TGID_Z_EN: 1
; COMPUTE_PGM_RSRC2:TIDIG_COMP_CNT: 0
	.section	.text._ZL26rocblas_hemvn_kernel_lowerILb0ELi64ELi4ELi33ELi32ELi16EiPKdPKS1_PdEviT6_lT7_lT5_lS6_lS7_lS5_lT8_i,"axG",@progbits,_ZL26rocblas_hemvn_kernel_lowerILb0ELi64ELi4ELi33ELi32ELi16EiPKdPKS1_PdEviT6_lT7_lT5_lS6_lS7_lS5_lT8_i,comdat
	.globl	_ZL26rocblas_hemvn_kernel_lowerILb0ELi64ELi4ELi33ELi32ELi16EiPKdPKS1_PdEviT6_lT7_lT5_lS6_lS7_lS5_lT8_i ; -- Begin function _ZL26rocblas_hemvn_kernel_lowerILb0ELi64ELi4ELi33ELi32ELi16EiPKdPKS1_PdEviT6_lT7_lT5_lS6_lS7_lS5_lT8_i
	.p2align	8
	.type	_ZL26rocblas_hemvn_kernel_lowerILb0ELi64ELi4ELi33ELi32ELi16EiPKdPKS1_PdEviT6_lT7_lT5_lS6_lS7_lS5_lT8_i,@function
_ZL26rocblas_hemvn_kernel_lowerILb0ELi64ELi4ELi33ELi32ELi16EiPKdPKS1_PdEviT6_lT7_lT5_lS6_lS7_lS5_lT8_i: ; @_ZL26rocblas_hemvn_kernel_lowerILb0ELi64ELi4ELi33ELi32ELi16EiPKdPKS1_PdEviT6_lT7_lT5_lS6_lS7_lS5_lT8_i
; %bb.0:
	s_clause 0x1
	s_load_b64 s[4:5], s[0:1], 0x84
	s_load_b32 s21, s[0:1], 0x70
	s_bfe_u32 s2, ttmp6, 0x40014
	s_lshr_b32 s6, ttmp7, 16
	s_add_co_i32 s2, s2, 1
	s_bfe_u32 s7, ttmp6, 0x40008
	s_mul_i32 s2, s6, s2
	s_getreg_b32 s3, hwreg(HW_REG_IB_STS2, 6, 4)
	s_add_co_i32 s7, s7, s2
	s_mov_b32 s23, 0
	s_wait_kmcnt 0x0
	s_lshr_b32 s2, s4, 16
	s_and_b32 s4, s4, 0xffff
	s_and_b32 s5, s5, 0xffff
	s_mul_i32 s2, s2, s4
	s_cmp_eq_u32 s3, 0
	s_mul_i32 s2, s2, s5
	s_cselect_b32 s22, s6, s7
	s_cmp_lg_u32 s2, 0x100
	s_cselect_b32 s2, -1, 0
	s_cmp_ge_u32 s22, s21
	s_cselect_b32 s4, -1, 0
	s_delay_alu instid0(SALU_CYCLE_1) | instskip(NEXT) | instid1(SALU_CYCLE_1)
	s_or_b32 s2, s2, s4
	s_and_b32 vcc_lo, exec_lo, s2
	s_cbranch_vccnz .LBB174_81
; %bb.1:
	s_clause 0x1
	s_load_b32 s6, s[0:1], 0x0
	s_load_b32 s24, s[0:1], 0x28
	s_add_nc_u64 s[8:9], s[0:1], 0x78
	s_clause 0x2
	s_load_b128 s[36:39], s[0:1], 0x38
	s_load_b32 s14, s[0:1], 0x48
	s_load_b64 s[4:5], s[0:1], 0x68
	s_bfe_u32 s2, ttmp6, 0x4000c
	s_load_b32 s8, s[8:9], 0x0
	s_add_co_i32 s2, s2, 1
	s_and_b32 s7, ttmp6, 15
	s_mul_i32 s10, ttmp9, s2
	v_and_b32_e32 v32, 0x3ff, v0
	s_add_co_i32 s10, s7, s10
	v_bfe_u32 v1, v0, 10, 10
                                        ; implicit-def: $vgpr109 : SGPR spill to VGPR lane
	s_wait_xcnt 0x0
	s_mov_b32 s9, s23
	v_mov_b32_e32 v35, 0
	s_load_b128 s[40:43], s[0:1], 0x58
	s_mov_b64 s[102:103], 0xfffffffffffffef8
	v_lshl_add_u32 v2, v1, 6, v32
	v_and_b32_e32 v34, 31, v0
	v_cmp_eq_u32_e64 s2, 0, v1
	v_lshl_add_u32 v96, v1, 5, 0x2180
	s_wait_kmcnt 0x0
	s_ashr_i32 s7, s6, 31
	s_ashr_i32 s25, s24, 31
	s_cmp_eq_u32 s3, 0
	v_lshrrev_b32_e32 v3, 5, v2
	s_cselect_b32 s16, ttmp9, s10
	s_lshr_b32 s3, s7, 26
	s_add_co_i32 s10, s8, -1
	s_add_co_i32 s3, s6, s3
	s_lshl_b32 s26, s16, 6
	s_and_not1_b32 s3, s3, 63
	s_mul_i32 s48, s24, s26
	s_sub_co_i32 s3, s6, s3
	s_cmp_eq_u32 s16, s10
	s_mul_i32 s10, s6, s16
	s_cselect_b32 s34, s3, 0
	v_dual_add_nc_u32 v6, 8, v3 :: v_dual_add_nc_u32 v7, 16, v3
	v_cmp_gt_i32_e32 vcc_lo, s34, v32
	s_cmp_eq_u32 s34, 0
	v_dual_lshlrev_b32 v8, 2, v3 :: v_dual_add_nc_u32 v9, 24, v3
	s_cselect_b32 s3, -1, 0
	s_ashr_i32 s11, s10, 31
	v_cndmask_b32_e64 v90, 0, 1, s3
	s_or_b32 s3, s3, vcc_lo
	s_lshl_b64 s[10:11], s[10:11], 3
	s_ashr_i32 s27, s26, 31
	s_ashr_i32 s49, s48, 31
	s_cmp_lg_u32 s34, 0
	v_writelane_b32 v109, s3, 0
	s_cselect_b32 s15, -1, 0
	s_sub_co_i32 s17, s34, 32
	v_cmp_le_i32_e32 vcc_lo, s34, v32
	v_cmp_gt_i32_e64 s18, s17, v3
	v_dual_lshlrev_b32 v4, 3, v34 :: v_dual_bitop2_b32 v13, 2, v8 bitop3:0x54
	v_lshlrev_b32_e32 v15, 3, v3
	v_mul_u32_u24_e32 v14, 33, v34
	s_delay_alu instid0(VALU_DEP_4)
	v_writelane_b32 v109, s18, 1
	v_cmp_gt_i32_e64 s18, s17, v6
	v_dual_lshlrev_b32 v88, 3, v32 :: v_dual_add_nc_u32 v36, s26, v32
	s_lshl_b32 s50, s24, 3
	s_lshl_b32 s52, s24, 4
	s_mul_i32 s54, s24, 24
	s_lshl_b32 s56, s24, 5
	s_and_b32 s19, s15, vcc_lo
	s_mul_i32 s28, s14, s26
	s_add_nc_u64 s[46:47], s[4:5], s[10:11]
	v_cmp_gt_i32_e64 s5, s34, v6
	v_mul_lo_u32 v6, v1, s24
	s_mul_u64 s[44:45], s[8:9], s[6:7]
	s_ashr_i32 s51, s50, 31
	s_ashr_i32 s53, s52, 31
	;; [unrolled: 1-line block ×4, first 2 shown]
	v_lshl_or_b32 v91, v34, 8, v4
	v_and_b32_e32 v10, 0x7fe0, v2
	v_or_b32_e32 v11, 1, v8
	v_cmp_lt_u32_e64 s8, v8, v34
	v_or_b32_e32 v8, 3, v8
	v_lshl_add_u32 v94, v14, 3, v15
	s_ashr_i32 s57, s56, 31
	v_writelane_b32 v109, s18, 2
	v_cmp_gt_i32_e64 s18, s17, v7
	s_xor_b32 s15, s19, -1
	s_ashr_i32 s29, s28, 31
	s_cmp_gt_i32 s16, 0
	v_mul_lo_u32 v38, s14, v36
	v_mad_u32 v40, s24, v3, v34
	s_sub_nc_u64 s[60:61], 0, s[28:29]
	s_cselect_b32 s104, -1, 0
	s_lshl_b64 s[64:65], s[24:25], 6
	s_lshl_b64 s[68:69], s[24:25], 3
	;; [unrolled: 1-line block ×4, first 2 shown]
	s_mul_u64 s[74:75], s[24:25], 24
	s_lshl_b64 s[76:77], s[24:25], 7
	s_mul_u64 s[78:79], s[24:25], 0x90
	s_mul_u64 s[80:81], s[24:25], 0x98
	s_lshl_b64 s[82:83], s[24:25], 8
	s_mul_u64 s[84:85], s[24:25], 0x110
	s_mul_u64 s[86:87], s[24:25], 0x118
	;; [unrolled: 1-line block ×8, first 2 shown]
	s_lshl_b64 s[100:101], s[26:27], 3
	s_load_b256 s[24:31], s[0:1], 0x8
	v_mul_u32_u24_e32 v5, 0x108, v3
	v_cmp_gt_i32_e64 s4, s34, v3
	v_cmp_gt_i32_e64 s6, s34, v7
	v_mul_u32_u24_e32 v12, 0x420, v3
	v_writelane_b32 v109, s18, 3
	v_cmp_eq_u32_e64 s18, 1, v3
	v_mul_i32_i24_e32 v7, 0xffffffe8, v3
	v_mad_u32_u24 v95, v3, 24, v94
	v_lshrrev_b32_e32 v3, 4, v2
	v_cmp_lt_u32_e64 s11, v8, v34
	v_dual_mov_b32 v33, v35 :: v_dual_bitop2_b32 v8, 32, v34 bitop3:0x54
	v_add_nc_u32_e32 v92, v91, v10
	v_cmp_lt_u32_e64 s9, v11, v34
	v_mul_u32_u24_e32 v11, 0x108, v11
	s_delay_alu instid0(VALU_DEP_4) | instskip(SKIP_2) | instid1(VALU_DEP_4)
	v_cmp_gt_i32_e64 s13, s34, v8
	v_lshl_add_u32 v44, v6, 2, v32
	v_dual_lshlrev_b32 v8, 5, v3 :: v_dual_bitop2_b32 v6, 15, v0 bitop3:0x40
	v_dual_add_nc_u32 v105, v4, v11 :: v_dual_bitop2_b32 v0, 48, v0 bitop3:0x40
	v_dual_ashrrev_i32 v39, 31, v38 :: v_dual_ashrrev_i32 v41, 31, v40
	v_cmp_gt_i32_e64 s7, s34, v9
	v_add_nc_u32_e32 v93, 0x2380, v10
	v_cmp_gt_i32_e64 s17, s17, v9
	v_mad_u32_u24 v97, 0x860, v1, v88
	v_lshlrev_b32_e32 v0, 3, v0
	v_or_b32_e32 v9, 0x78, v88
	v_mad_u32_u24 v98, 0x218, v6, v8
	v_mul_i32_i24_e32 v3, 0xffffffe8, v3
	v_sub_nc_u64_e32 v[42:43], 0, v[34:35]
	v_sub_nc_u64_e32 v[46:47], 0, v[40:41]
	;; [unrolled: 1-line block ×3, first 2 shown]
	v_add_nc_u32_e32 v89, 0x2380, v88
	v_cmp_gt_i32_e64 s3, s34, v34
	v_cmp_lt_u32_e64 s10, v13, v34
	v_cmp_gt_u32_e64 s12, 32, v2
	v_dual_ashrrev_i32 v45, 31, v44 :: v_dual_add_nc_u32 v103, v4, v5
	v_add_nc_u32_e32 v33, 0x2180, v88
	v_cmp_gt_u32_e64 s20, 64, v2
	v_mad_u32_u24 v100, 0x218, v6, v9
	v_mad_i32_i24 v101, 0xfffff9b8, v1, v97
	v_dual_ashrrev_i32 v37, 31, v36 :: v_dual_add_nc_u32 v107, v98, v3
	v_add_nc_u32_e32 v102, 0x2380, v15
	v_dual_add_nc_u32 v104, v4, v12 :: v_dual_lshlrev_b32 v34, 3, v34
	v_add_nc_u32_e32 v106, v93, v7
	v_mad_u32_u24 v99, 0x218, v6, v0
	s_sub_nc_u64 s[58:59], 0, s[56:57]
	s_sub_nc_u64 s[62:63], 0, s[48:49]
	s_lshl_b32 s14, s14, 6
	s_and_b32 s15, s2, s15
	s_sub_nc_u64 s[66:67], 0, s[34:35]
	s_lshl_b64 s[38:39], s[38:39], 3
	s_wait_kmcnt 0x0
	s_lshl_b64 s[30:31], s[30:31], 3
	v_writelane_b32 v109, s17, 4
	s_branch .LBB174_4
.LBB174_2:                              ;   in Loop: Header=BB174_4 Depth=1
	s_wait_xcnt 0x0
	s_or_b32 exec_lo, exec_lo, s33
.LBB174_3:                              ;   in Loop: Header=BB174_4 Depth=1
	s_add_co_i32 s22, s22, 0x10000
	s_delay_alu instid0(SALU_CYCLE_1)
	s_cmp_lt_u32 s22, s21
	s_cbranch_scc0 .LBB174_81
.LBB174_4:                              ; =>This Loop Header: Depth=1
                                        ;     Child Loop BB174_69 Depth 2
	s_mul_u64 s[0:1], s[26:27], s[22:23]
	s_mul_u64 vcc, s[42:43], s[22:23]
	s_lshl_b64 s[0:1], s[0:1], 3
	s_lshl_b64 vcc, vcc, 3
	s_add_nc_u64 s[0:1], s[24:25], s[0:1]
	s_add_nc_u64 vcc, s[40:41], vcc
	s_clause 0x1
	global_load_b64 v[0:1], v35, s[0:1]
	global_load_b64 v[2:3], v35, vcc
	s_wait_loadcnt 0x1
	s_wait_xcnt 0x1
	v_cmp_eq_f64_e64 s0, 0, v[0:1]
	s_wait_loadcnt 0x0
	s_wait_xcnt 0x0
	v_cmp_eq_f64_e32 vcc_lo, 1.0, v[2:3]
	s_and_b32 s1, s0, vcc_lo
	s_delay_alu instid0(SALU_CYCLE_1)
	s_and_b32 vcc_lo, exec_lo, s1
	s_cbranch_vccnz .LBB174_3
; %bb.5:                                ;   in Loop: Header=BB174_4 Depth=1
	s_and_b32 vcc_lo, exec_lo, s0
	s_cbranch_vccz .LBB174_7
; %bb.6:                                ;   in Loop: Header=BB174_4 Depth=1
	s_cbranch_execnz .LBB174_3
	s_branch .LBB174_8
.LBB174_7:                              ;   in Loop: Header=BB174_4 Depth=1
.LBB174_8:                              ;   in Loop: Header=BB174_4 Depth=1
	s_lshl_b64 s[0:1], s[22:23], 3
	s_delay_alu instid0(SALU_CYCLE_1)
	s_add_nc_u64 vcc, s[36:37], s[0:1]
	s_add_nc_u64 s[0:1], s[28:29], s[0:1]
	s_clause 0x1
	global_load_b64 v[2:3], v35, vcc
	global_load_b64 v[0:1], v35, s[0:1]
	s_wait_loadcnt 0x1
	v_add_nc_u64_e32 v[2:3], s[38:39], v[2:3]
	s_delay_alu instid0(VALU_DEP_1)
	v_lshl_add_u64 v[16:17], v[38:39], 3, v[2:3]
	s_wait_xcnt 0x0
	s_and_saveexec_b32 s0, s2
	s_cbranch_execz .LBB174_12
; %bb.9:                                ;   in Loop: Header=BB174_4 Depth=1
	v_mov_b64_e32 v[2:3], 0
	s_mov_b32 s1, exec_lo
	v_readlane_b32 s17, v109, 0
	s_and_b32 s17, s1, s17
	s_delay_alu instid0(SALU_CYCLE_1)
	s_mov_b32 exec_lo, s17
	s_cbranch_execz .LBB174_11
; %bb.10:                               ;   in Loop: Header=BB174_4 Depth=1
	flat_load_b64 v[2:3], v[16:17]
.LBB174_11:                             ;   in Loop: Header=BB174_4 Depth=1
	s_wait_xcnt 0x0
	s_or_b32 exec_lo, exec_lo, s1
	s_wait_loadcnt_dscnt 0x0
	ds_store_b64 v89, v[2:3]
.LBB174_12:                             ;   in Loop: Header=BB174_4 Depth=1
	s_or_b32 exec_lo, exec_lo, s0
	s_wait_loadcnt 0x0
	v_add_nc_u64_e32 v[0:1], s[30:31], v[0:1]
	v_cmp_ne_u32_e32 vcc_lo, 1, v90
	s_mov_b32 s0, -1
	s_delay_alu instid0(VALU_DEP_2) | instskip(NEXT) | instid1(VALU_DEP_1)
	v_add_nc_u64_e32 v[0:1], s[100:101], v[0:1]
	v_lshl_add_u64 v[0:1], v[40:41], 3, v[0:1]
	s_delay_alu instid0(VALU_DEP_1)
	v_lshl_add_u64 v[0:1], s[48:49], 3, v[0:1]
	s_cbranch_vccnz .LBB174_14
; %bb.13:                               ;   in Loop: Header=BB174_4 Depth=1
	s_delay_alu instid0(VALU_DEP_1) | instskip(SKIP_1) | instid1(VALU_DEP_1)
	v_lshl_add_u64 v[2:3], s[50:51], 3, v[0:1]
	s_mov_b32 s0, 0
	v_add_nc_u64_e32 v[4:5], s[64:65], v[2:3]
	s_delay_alu instid0(VALU_DEP_1)
	v_add_nc_u64_e32 v[6:7], s[64:65], v[4:5]
	s_clause 0x3
	flat_load_b64 v[8:9], v[0:1]
	flat_load_b64 v[2:3], v[2:3]
	;; [unrolled: 1-line block ×4, first 2 shown]
	s_wait_loadcnt_dscnt 0x303
	ds_store_b64 v103, v[8:9]
	s_wait_loadcnt_dscnt 0x203
	ds_store_b64 v103, v[2:3] offset:2112
	s_wait_loadcnt_dscnt 0x103
	ds_store_b64 v103, v[4:5] offset:4224
	;; [unrolled: 2-line block ×3, first 2 shown]
.LBB174_14:                             ;   in Loop: Header=BB174_4 Depth=1
	s_and_not1_b32 vcc_lo, exec_lo, s0
	s_cbranch_vccnz .LBB174_24
; %bb.15:                               ;   in Loop: Header=BB174_4 Depth=1
	s_wait_xcnt 0x2
	v_lshl_add_u64 v[2:3], v[42:43], 3, v[0:1]
	s_wait_xcnt 0x0
	v_mov_b64_e32 v[6:7], 0
	v_mov_b64_e32 v[4:5], 0
	s_delay_alu instid0(VALU_DEP_3) | instskip(NEXT) | instid1(VALU_DEP_1)
	v_lshl_add_u64 v[2:3], s[34:35], 3, v[2:3]
	v_add_nc_u64_e32 v[2:3], -8, v[2:3]
	s_delay_alu instid0(VALU_DEP_1)
	v_dual_cndmask_b32 v3, v3, v1, s3 :: v_dual_cndmask_b32 v2, v2, v0, s3
	s_and_saveexec_b32 s0, s4
	s_cbranch_execz .LBB174_17
; %bb.16:                               ;   in Loop: Header=BB174_4 Depth=1
	flat_load_b64 v[4:5], v[2:3]
.LBB174_17:                             ;   in Loop: Header=BB174_4 Depth=1
	s_wait_xcnt 0x0
	s_or_b32 exec_lo, exec_lo, s0
	s_wait_loadcnt_dscnt 0x0
	ds_store_b64 v103, v[4:5]
	s_and_saveexec_b32 s0, s5
	s_cbranch_execz .LBB174_19
; %bb.18:                               ;   in Loop: Header=BB174_4 Depth=1
	v_lshl_add_u64 v[4:5], s[50:51], 3, v[2:3]
	flat_load_b64 v[6:7], v[4:5]
.LBB174_19:                             ;   in Loop: Header=BB174_4 Depth=1
	s_wait_xcnt 0x0
	s_or_b32 exec_lo, exec_lo, s0
	v_mov_b64_e32 v[4:5], 0
	v_mov_b64_e32 v[8:9], 0
	s_wait_loadcnt_dscnt 0x0
	ds_store_b64 v103, v[6:7] offset:2112
	s_and_saveexec_b32 s0, s6
	s_cbranch_execz .LBB174_21
; %bb.20:                               ;   in Loop: Header=BB174_4 Depth=1
	v_lshl_add_u64 v[6:7], s[52:53], 3, v[2:3]
	flat_load_b64 v[8:9], v[6:7]
.LBB174_21:                             ;   in Loop: Header=BB174_4 Depth=1
	s_wait_xcnt 0x0
	s_or_b32 exec_lo, exec_lo, s0
	s_wait_loadcnt_dscnt 0x0
	ds_store_b64 v103, v[8:9] offset:4224
	s_and_saveexec_b32 s0, s7
	s_cbranch_execz .LBB174_23
; %bb.22:                               ;   in Loop: Header=BB174_4 Depth=1
	v_lshl_add_u64 v[4:5], s[54:55], 3, v[2:3]
	flat_load_b64 v[4:5], v[4:5]
.LBB174_23:                             ;   in Loop: Header=BB174_4 Depth=1
	s_wait_xcnt 0x0
	s_or_b32 exec_lo, exec_lo, s0
	v_add_nc_u64_e32 v[2:3], v[2:3], v[34:35]
	s_wait_loadcnt_dscnt 0x0
	ds_store_b64 v103, v[4:5] offset:6336
	v_lshl_add_u64 v[2:3], s[66:67], 3, v[2:3]
	s_delay_alu instid0(VALU_DEP_1) | instskip(NEXT) | instid1(VALU_DEP_1)
	v_add_nc_u64_e32 v[2:3], 8, v[2:3]
	v_dual_cndmask_b32 v1, v3, v1, s3 :: v_dual_cndmask_b32 v0, v2, v0, s3
.LBB174_24:                             ;   in Loop: Header=BB174_4 Depth=1
	s_wait_dscnt 0x0
	s_barrier_signal -1
	s_barrier_wait -1
	s_wait_xcnt 0x0
	s_and_saveexec_b32 s0, s8
	s_cbranch_execnz .LBB174_75
; %bb.25:                               ;   in Loop: Header=BB174_4 Depth=1
	s_or_b32 exec_lo, exec_lo, s0
	s_and_saveexec_b32 s0, s9
	s_cbranch_execnz .LBB174_76
.LBB174_26:                             ;   in Loop: Header=BB174_4 Depth=1
	s_or_b32 exec_lo, exec_lo, s0
	s_and_saveexec_b32 s0, s10
	s_cbranch_execnz .LBB174_77
.LBB174_27:                             ;   in Loop: Header=BB174_4 Depth=1
	s_or_b32 exec_lo, exec_lo, s0
	s_and_saveexec_b32 s0, s11
	s_cbranch_execz .LBB174_29
.LBB174_28:                             ;   in Loop: Header=BB174_4 Depth=1
	ds_load_b64 v[2:3], v105 offset:528
	s_wait_dscnt 0x0
	ds_store_b64 v92, v[2:3] offset:24
.LBB174_29:                             ;   in Loop: Header=BB174_4 Depth=1
	s_or_b32 exec_lo, exec_lo, s0
	s_wait_dscnt 0x0
	s_barrier_signal -1
	s_barrier_wait -1
	ds_load_b64 v[10:11], v104
	ds_load_b128 v[2:5], v93
	ds_load_b128 v[6:9], v93 offset:16
	ds_load_b64 v[14:15], v105 offset:528
	v_mov_b64_e32 v[50:51], 0
	s_wait_dscnt 0x2
	v_fma_f64 v[2:3], v[10:11], v[2:3], 0
	ds_load_2addr_b64 v[10:13], v105 offset1:33
	s_wait_dscnt 0x0
	s_barrier_signal -1
	s_barrier_wait -1
	v_fmac_f64_e32 v[2:3], v[10:11], v[4:5]
	s_delay_alu instid0(VALU_DEP_1) | instskip(NEXT) | instid1(VALU_DEP_1)
	v_fmac_f64_e32 v[2:3], v[12:13], v[6:7]
	v_fmac_f64_e32 v[2:3], v[14:15], v[8:9]
	ds_store_b64 v94, v[2:3]
	s_wait_dscnt 0x0
	s_barrier_signal -1
	s_barrier_wait -1
	s_and_saveexec_b32 s0, s12
	s_cbranch_execz .LBB174_31
; %bb.30:                               ;   in Loop: Header=BB174_4 Depth=1
	ds_load_2addr_b64 v[2:5], v91 offset1:1
	ds_load_2addr_b64 v[6:9], v91 offset0:2 offset1:3
	s_wait_dscnt 0x1
	v_add_f64_e32 v[2:3], v[2:3], v[4:5]
	s_wait_dscnt 0x0
	s_delay_alu instid0(VALU_DEP_1) | instskip(NEXT) | instid1(VALU_DEP_1)
	v_add_f64_e32 v[2:3], v[2:3], v[6:7]
	v_add_f64_e32 v[10:11], v[2:3], v[8:9]
	ds_load_2addr_b64 v[2:5], v91 offset0:4 offset1:5
	ds_load_2addr_b64 v[6:9], v91 offset0:6 offset1:7
	s_wait_dscnt 0x1
	v_add_f64_e32 v[2:3], v[10:11], v[2:3]
	s_delay_alu instid0(VALU_DEP_1) | instskip(SKIP_1) | instid1(VALU_DEP_1)
	v_add_f64_e32 v[2:3], v[2:3], v[4:5]
	s_wait_dscnt 0x0
	v_add_f64_e32 v[2:3], v[2:3], v[6:7]
	s_delay_alu instid0(VALU_DEP_1)
	v_add_f64_e32 v[50:51], v[2:3], v[8:9]
.LBB174_31:                             ;   in Loop: Header=BB174_4 Depth=1
	s_or_b32 exec_lo, exec_lo, s0
	v_cmp_ne_u32_e32 vcc_lo, 1, v90
	v_lshl_add_u64 v[2:3], s[56:57], 3, v[0:1]
	s_mov_b32 s0, -1
	s_barrier_signal -1
	s_barrier_wait -1
	s_cbranch_vccnz .LBB174_33
; %bb.32:                               ;   in Loop: Header=BB174_4 Depth=1
	v_lshl_add_u64 v[0:1], s[50:51], 3, v[2:3]
	s_mov_b32 s0, 0
	s_delay_alu instid0(VALU_DEP_1) | instskip(NEXT) | instid1(VALU_DEP_1)
	v_add_nc_u64_e32 v[4:5], s[64:65], v[0:1]
	v_add_nc_u64_e32 v[6:7], s[64:65], v[4:5]
	s_clause 0x3
	flat_load_b64 v[8:9], v[2:3] offset:256
	flat_load_b64 v[0:1], v[0:1] offset:256
	;; [unrolled: 1-line block ×4, first 2 shown]
	s_wait_loadcnt_dscnt 0x303
	ds_store_b64 v103, v[8:9]
	s_wait_loadcnt_dscnt 0x203
	ds_store_b64 v103, v[0:1] offset:2112
	s_wait_loadcnt_dscnt 0x103
	ds_store_b64 v103, v[4:5] offset:4224
	;; [unrolled: 2-line block ×3, first 2 shown]
.LBB174_33:                             ;   in Loop: Header=BB174_4 Depth=1
	s_wait_xcnt 0x2
	v_add_nc_u64_e32 v[0:1], 0x100, v[2:3]
	s_and_not1_b32 vcc_lo, exec_lo, s0
	s_cbranch_vccnz .LBB174_43
; %bb.34:                               ;   in Loop: Header=BB174_4 Depth=1
	v_lshl_add_u64 v[2:3], v[42:43], 3, v[2:3]
	s_wait_xcnt 0x0
	v_mov_b64_e32 v[6:7], 0
	v_mov_b64_e32 v[4:5], 0
	s_delay_alu instid0(VALU_DEP_3) | instskip(NEXT) | instid1(VALU_DEP_1)
	v_lshl_add_u64 v[2:3], s[34:35], 3, v[2:3]
	v_add_nc_u64_e32 v[2:3], -8, v[2:3]
	s_delay_alu instid0(VALU_DEP_1) | instskip(SKIP_3) | instid1(SALU_CYCLE_1)
	v_dual_cndmask_b32 v3, v3, v1, s13 :: v_dual_cndmask_b32 v2, v2, v0, s13
	s_mov_b32 s0, exec_lo
	v_readlane_b32 s1, v109, 1
	s_and_b32 s1, s0, s1
	s_mov_b32 exec_lo, s1
	s_cbranch_execz .LBB174_36
; %bb.35:                               ;   in Loop: Header=BB174_4 Depth=1
	flat_load_b64 v[4:5], v[2:3]
.LBB174_36:                             ;   in Loop: Header=BB174_4 Depth=1
	s_wait_xcnt 0x0
	s_or_b32 exec_lo, exec_lo, s0
	s_wait_loadcnt_dscnt 0x0
	ds_store_b64 v103, v[4:5]
	s_mov_b32 s0, exec_lo
	v_readlane_b32 s1, v109, 2
	s_and_b32 s1, s0, s1
	s_delay_alu instid0(SALU_CYCLE_1)
	s_mov_b32 exec_lo, s1
	s_cbranch_execz .LBB174_38
; %bb.37:                               ;   in Loop: Header=BB174_4 Depth=1
	v_lshl_add_u64 v[4:5], s[50:51], 3, v[2:3]
	flat_load_b64 v[6:7], v[4:5]
.LBB174_38:                             ;   in Loop: Header=BB174_4 Depth=1
	s_wait_xcnt 0x0
	s_or_b32 exec_lo, exec_lo, s0
	v_mov_b64_e32 v[4:5], 0
	v_mov_b64_e32 v[8:9], 0
	s_wait_loadcnt_dscnt 0x0
	ds_store_b64 v103, v[6:7] offset:2112
	s_mov_b32 s0, exec_lo
	v_readlane_b32 s1, v109, 3
	s_and_b32 s1, s0, s1
	s_delay_alu instid0(SALU_CYCLE_1)
	s_mov_b32 exec_lo, s1
	s_cbranch_execz .LBB174_40
; %bb.39:                               ;   in Loop: Header=BB174_4 Depth=1
	v_lshl_add_u64 v[6:7], s[52:53], 3, v[2:3]
	flat_load_b64 v[8:9], v[6:7]
.LBB174_40:                             ;   in Loop: Header=BB174_4 Depth=1
	s_wait_xcnt 0x0
	s_or_b32 exec_lo, exec_lo, s0
	s_wait_loadcnt_dscnt 0x0
	ds_store_b64 v103, v[8:9] offset:4224
	s_mov_b32 s0, exec_lo
	v_readlane_b32 s1, v109, 4
	s_and_b32 s1, s0, s1
	s_delay_alu instid0(SALU_CYCLE_1)
	s_mov_b32 exec_lo, s1
	s_cbranch_execz .LBB174_42
; %bb.41:                               ;   in Loop: Header=BB174_4 Depth=1
	v_lshl_add_u64 v[4:5], s[54:55], 3, v[2:3]
	flat_load_b64 v[4:5], v[4:5]
.LBB174_42:                             ;   in Loop: Header=BB174_4 Depth=1
	s_wait_xcnt 0x0
	s_or_b32 exec_lo, exec_lo, s0
	v_add_nc_u64_e32 v[2:3], v[2:3], v[34:35]
	s_wait_loadcnt_dscnt 0x0
	ds_store_b64 v103, v[4:5] offset:6336
	v_lshl_add_u64 v[2:3], s[66:67], 3, v[2:3]
	s_delay_alu instid0(VALU_DEP_1) | instskip(NEXT) | instid1(VALU_DEP_1)
	v_add_nc_u64_e32 v[2:3], 0x108, v[2:3]
	v_dual_cndmask_b32 v1, v3, v1, s13 :: v_dual_cndmask_b32 v0, v2, v0, s13
.LBB174_43:                             ;   in Loop: Header=BB174_4 Depth=1
	s_wait_dscnt 0x0
	s_barrier_signal -1
	s_barrier_wait -1
	s_wait_xcnt 0x0
	s_and_saveexec_b32 s0, s8
	s_cbranch_execnz .LBB174_78
; %bb.44:                               ;   in Loop: Header=BB174_4 Depth=1
	s_or_b32 exec_lo, exec_lo, s0
	s_and_saveexec_b32 s0, s9
	s_cbranch_execnz .LBB174_79
.LBB174_45:                             ;   in Loop: Header=BB174_4 Depth=1
	s_or_b32 exec_lo, exec_lo, s0
	s_and_saveexec_b32 s0, s10
	s_cbranch_execnz .LBB174_80
.LBB174_46:                             ;   in Loop: Header=BB174_4 Depth=1
	s_or_b32 exec_lo, exec_lo, s0
	s_and_saveexec_b32 s0, s11
	s_cbranch_execz .LBB174_48
.LBB174_47:                             ;   in Loop: Header=BB174_4 Depth=1
	ds_load_b64 v[2:3], v105 offset:528
	s_wait_dscnt 0x0
	ds_store_b64 v92, v[2:3] offset:24
.LBB174_48:                             ;   in Loop: Header=BB174_4 Depth=1
	s_or_b32 exec_lo, exec_lo, s0
	s_wait_dscnt 0x0
	s_barrier_signal -1
	s_barrier_wait -1
	ds_load_b64 v[10:11], v104
	ds_load_b128 v[2:5], v93 offset:256
	ds_load_b128 v[6:9], v93 offset:272
	ds_load_b64 v[14:15], v105 offset:528
	s_wait_dscnt 0x2
	v_fma_f64 v[2:3], v[10:11], v[2:3], 0
	ds_load_2addr_b64 v[10:13], v105 offset1:33
	s_wait_dscnt 0x0
	s_barrier_signal -1
	s_barrier_wait -1
	v_fmac_f64_e32 v[2:3], v[10:11], v[4:5]
	s_delay_alu instid0(VALU_DEP_1) | instskip(NEXT) | instid1(VALU_DEP_1)
	v_fmac_f64_e32 v[2:3], v[12:13], v[6:7]
	v_fmac_f64_e32 v[2:3], v[14:15], v[8:9]
	ds_store_b64 v94, v[2:3]
	s_wait_dscnt 0x0
	s_barrier_signal -1
	s_barrier_wait -1
	s_and_saveexec_b32 s0, s18
	s_cbranch_execz .LBB174_50
; %bb.49:                               ;   in Loop: Header=BB174_4 Depth=1
	ds_load_2addr_b64 v[2:5], v91 offset1:1
	ds_load_2addr_b64 v[6:9], v91 offset0:2 offset1:3
	s_wait_dscnt 0x1
	v_add_f64_e32 v[2:3], v[2:3], v[4:5]
	s_wait_dscnt 0x0
	s_delay_alu instid0(VALU_DEP_1) | instskip(NEXT) | instid1(VALU_DEP_1)
	v_add_f64_e32 v[2:3], v[2:3], v[6:7]
	v_add_f64_e32 v[10:11], v[2:3], v[8:9]
	ds_load_2addr_b64 v[2:5], v91 offset0:4 offset1:5
	ds_load_2addr_b64 v[6:9], v91 offset0:6 offset1:7
	s_wait_dscnt 0x1
	v_add_f64_e32 v[2:3], v[10:11], v[2:3]
	s_delay_alu instid0(VALU_DEP_1) | instskip(SKIP_1) | instid1(VALU_DEP_1)
	v_add_f64_e32 v[2:3], v[2:3], v[4:5]
	s_wait_dscnt 0x0
	v_add_f64_e32 v[2:3], v[2:3], v[6:7]
	s_delay_alu instid0(VALU_DEP_1)
	v_add_f64_e32 v[50:51], v[2:3], v[8:9]
.LBB174_50:                             ;   in Loop: Header=BB174_4 Depth=1
	s_or_b32 exec_lo, exec_lo, s0
	v_cmp_ne_u32_e32 vcc_lo, 1, v90
	v_lshl_add_u64 v[18:19], s[58:59], 3, v[0:1]
	s_mov_b32 s0, -1
	s_barrier_signal -1
	s_barrier_wait -1
	s_cbranch_vccnz .LBB174_52
; %bb.51:                               ;   in Loop: Header=BB174_4 Depth=1
	v_lshl_add_u64 v[0:1], s[50:51], 3, v[18:19]
	s_mov_b32 s0, 0
	s_delay_alu instid0(VALU_DEP_1) | instskip(NEXT) | instid1(VALU_DEP_1)
	v_add_nc_u64_e32 v[2:3], s[64:65], v[0:1]
	v_add_nc_u64_e32 v[4:5], s[64:65], v[2:3]
	s_clause 0x3
	flat_load_b64 v[6:7], v[18:19]
	flat_load_b64 v[0:1], v[0:1]
	;; [unrolled: 1-line block ×4, first 2 shown]
	s_wait_loadcnt_dscnt 0x303
	ds_store_b64 v103, v[6:7]
	s_wait_loadcnt_dscnt 0x203
	ds_store_b64 v103, v[0:1] offset:2112
	s_wait_loadcnt_dscnt 0x103
	ds_store_b64 v103, v[2:3] offset:4224
	;; [unrolled: 2-line block ×3, first 2 shown]
.LBB174_52:                             ;   in Loop: Header=BB174_4 Depth=1
	s_and_not1_b32 vcc_lo, exec_lo, s0
	s_cbranch_vccnz .LBB174_62
; %bb.53:                               ;   in Loop: Header=BB174_4 Depth=1
	s_wait_xcnt 0x2
	v_lshl_add_u64 v[0:1], v[42:43], 3, v[18:19]
	s_wait_xcnt 0x0
	v_mov_b64_e32 v[4:5], 0
	v_mov_b64_e32 v[2:3], 0
	s_delay_alu instid0(VALU_DEP_3) | instskip(NEXT) | instid1(VALU_DEP_1)
	v_lshl_add_u64 v[0:1], s[34:35], 3, v[0:1]
	v_add_nc_u64_e32 v[0:1], s[102:103], v[0:1]
	s_delay_alu instid0(VALU_DEP_1)
	v_dual_cndmask_b32 v1, v1, v19, s13 :: v_dual_cndmask_b32 v0, v0, v18, s13
	s_and_saveexec_b32 s0, s4
	s_cbranch_execz .LBB174_55
; %bb.54:                               ;   in Loop: Header=BB174_4 Depth=1
	flat_load_b64 v[2:3], v[0:1]
.LBB174_55:                             ;   in Loop: Header=BB174_4 Depth=1
	s_wait_xcnt 0x0
	s_or_b32 exec_lo, exec_lo, s0
	s_wait_loadcnt_dscnt 0x0
	ds_store_b64 v103, v[2:3]
	s_and_saveexec_b32 s0, s5
	s_cbranch_execz .LBB174_57
; %bb.56:                               ;   in Loop: Header=BB174_4 Depth=1
	v_lshl_add_u64 v[2:3], s[50:51], 3, v[0:1]
	flat_load_b64 v[4:5], v[2:3]
.LBB174_57:                             ;   in Loop: Header=BB174_4 Depth=1
	s_wait_xcnt 0x0
	s_or_b32 exec_lo, exec_lo, s0
	v_mov_b64_e32 v[2:3], 0
	v_mov_b64_e32 v[6:7], 0
	s_wait_loadcnt_dscnt 0x0
	ds_store_b64 v103, v[4:5] offset:2112
	s_and_saveexec_b32 s0, s6
	s_cbranch_execz .LBB174_59
; %bb.58:                               ;   in Loop: Header=BB174_4 Depth=1
	v_lshl_add_u64 v[4:5], s[52:53], 3, v[0:1]
	flat_load_b64 v[6:7], v[4:5]
.LBB174_59:                             ;   in Loop: Header=BB174_4 Depth=1
	s_wait_xcnt 0x0
	s_or_b32 exec_lo, exec_lo, s0
	s_wait_loadcnt_dscnt 0x0
	ds_store_b64 v103, v[6:7] offset:4224
	s_and_saveexec_b32 s0, s7
	s_cbranch_execz .LBB174_61
; %bb.60:                               ;   in Loop: Header=BB174_4 Depth=1
	v_lshl_add_u64 v[2:3], s[54:55], 3, v[0:1]
	flat_load_b64 v[2:3], v[2:3]
.LBB174_61:                             ;   in Loop: Header=BB174_4 Depth=1
	s_wait_xcnt 0x0
	s_or_b32 exec_lo, exec_lo, s0
	v_add_nc_u64_e32 v[0:1], v[0:1], v[34:35]
	s_wait_loadcnt_dscnt 0x0
	ds_store_b64 v103, v[2:3] offset:6336
	v_lshl_add_u64 v[0:1], s[66:67], 3, v[0:1]
	s_delay_alu instid0(VALU_DEP_1) | instskip(NEXT) | instid1(VALU_DEP_1)
	v_add_nc_u64_e32 v[0:1], 0x108, v[0:1]
	v_dual_cndmask_b32 v19, v1, v19, s13 :: v_dual_cndmask_b32 v18, v0, v18, s13
.LBB174_62:                             ;   in Loop: Header=BB174_4 Depth=1
	s_wait_dscnt 0x0
	s_barrier_signal -1
	s_barrier_wait -1
	s_wait_xcnt 0x2
	ds_load_b64 v[0:1], v103
	s_wait_xcnt 0x1
	ds_load_b64 v[2:3], v106
	s_wait_xcnt 0x0
	ds_load_b64 v[4:5], v103 offset:6336
	ds_load_b64 v[6:7], v103 offset:2112
	;; [unrolled: 1-line block ×4, first 2 shown]
	s_wait_dscnt 0x4
	v_fma_f64 v[20:21], v[0:1], v[2:3], 0
	ds_load_2addr_b64 v[0:3], v102 offset0:8 offset1:16
	s_wait_dscnt 0x0
	v_fmac_f64_e32 v[20:21], v[6:7], v[0:1]
	s_delay_alu instid0(VALU_DEP_1) | instskip(NEXT) | instid1(VALU_DEP_1)
	v_fmac_f64_e32 v[20:21], v[8:9], v[2:3]
	v_fmac_f64_e32 v[20:21], v[4:5], v[10:11]
	ds_load_b128 v[8:11], v93 offset:256
	ds_load_b128 v[0:3], v93 offset:272
	ds_load_2addr_b64 v[12:15], v95 offset1:1
	ds_load_2addr_b64 v[4:7], v95 offset0:2 offset1:3
	s_wait_dscnt 0x0
	s_barrier_signal -1
	s_barrier_wait -1
	ds_store_b64 v94, v[20:21]
	s_wait_dscnt 0x0
	s_barrier_signal -1
	s_barrier_wait -1
	s_and_saveexec_b32 s0, s18
	s_cbranch_execz .LBB174_64
; %bb.63:                               ;   in Loop: Header=BB174_4 Depth=1
	ds_load_2addr_b64 v[20:23], v91 offset1:1
	ds_load_2addr_b64 v[24:27], v91 offset0:2 offset1:3
	s_wait_dscnt 0x1
	v_add_f64_e32 v[20:21], v[50:51], v[20:21]
	s_delay_alu instid0(VALU_DEP_1) | instskip(SKIP_1) | instid1(VALU_DEP_1)
	v_add_f64_e32 v[20:21], v[20:21], v[22:23]
	s_wait_dscnt 0x0
	v_add_f64_e32 v[20:21], v[20:21], v[24:25]
	s_delay_alu instid0(VALU_DEP_1) | instskip(SKIP_4) | instid1(VALU_DEP_1)
	v_add_f64_e32 v[28:29], v[20:21], v[26:27]
	ds_load_2addr_b64 v[20:23], v91 offset0:4 offset1:5
	ds_load_2addr_b64 v[24:27], v91 offset0:6 offset1:7
	s_wait_dscnt 0x1
	v_add_f64_e32 v[20:21], v[28:29], v[20:21]
	v_add_f64_e32 v[20:21], v[20:21], v[22:23]
	s_wait_dscnt 0x0
	s_delay_alu instid0(VALU_DEP_1) | instskip(NEXT) | instid1(VALU_DEP_1)
	v_add_f64_e32 v[20:21], v[20:21], v[24:25]
	v_add_f64_e32 v[50:51], v[20:21], v[26:27]
.LBB174_64:                             ;   in Loop: Header=BB174_4 Depth=1
	s_or_b32 exec_lo, exec_lo, s0
	v_fma_f64 v[8:9], v[12:13], v[8:9], 0
	s_barrier_signal -1
	s_barrier_wait -1
	s_delay_alu instid0(VALU_DEP_1) | instskip(NEXT) | instid1(VALU_DEP_1)
	v_fmac_f64_e32 v[8:9], v[14:15], v[10:11]
	v_fmac_f64_e32 v[8:9], v[4:5], v[0:1]
	s_delay_alu instid0(VALU_DEP_1)
	v_fmac_f64_e32 v[8:9], v[6:7], v[2:3]
	ds_store_b64 v94, v[8:9]
	s_wait_dscnt 0x0
	s_barrier_signal -1
	s_barrier_wait -1
	s_and_saveexec_b32 s0, s12
	s_cbranch_execz .LBB174_66
; %bb.65:                               ;   in Loop: Header=BB174_4 Depth=1
	ds_load_2addr_b64 v[0:3], v91 offset1:1
	ds_load_2addr_b64 v[4:7], v91 offset0:2 offset1:3
	s_wait_dscnt 0x1
	v_add_f64_e32 v[0:1], v[50:51], v[0:1]
	s_delay_alu instid0(VALU_DEP_1) | instskip(SKIP_1) | instid1(VALU_DEP_1)
	v_add_f64_e32 v[0:1], v[0:1], v[2:3]
	s_wait_dscnt 0x0
	v_add_f64_e32 v[0:1], v[0:1], v[4:5]
	s_delay_alu instid0(VALU_DEP_1) | instskip(SKIP_4) | instid1(VALU_DEP_1)
	v_add_f64_e32 v[8:9], v[0:1], v[6:7]
	ds_load_2addr_b64 v[0:3], v91 offset0:4 offset1:5
	ds_load_2addr_b64 v[4:7], v91 offset0:6 offset1:7
	s_wait_dscnt 0x1
	v_add_f64_e32 v[0:1], v[8:9], v[0:1]
	v_add_f64_e32 v[0:1], v[0:1], v[2:3]
	s_wait_dscnt 0x0
	s_delay_alu instid0(VALU_DEP_1) | instskip(NEXT) | instid1(VALU_DEP_1)
	v_add_f64_e32 v[0:1], v[0:1], v[4:5]
	v_add_f64_e32 v[50:51], v[0:1], v[6:7]
.LBB174_66:                             ;   in Loop: Header=BB174_4 Depth=1
	s_or_b32 exec_lo, exec_lo, s0
	s_mul_u64 s[0:1], s[44:45], s[22:23]
	s_and_not1_b32 vcc_lo, exec_lo, s104
	s_lshl_b64 s[0:1], s[0:1], 3
	s_delay_alu instid0(SALU_CYCLE_1)
	s_add_nc_u64 s[0:1], s[46:47], s[0:1]
	s_barrier_signal -1
	s_barrier_wait -1
	s_cbranch_vccnz .LBB174_73
; %bb.67:                               ;   in Loop: Header=BB174_4 Depth=1
	v_lshl_add_u64 v[0:1], s[62:63], 3, v[18:19]
	s_mov_b64 vcc, 0xffffffffffffff00
	v_lshl_add_u64 v[52:53], s[60:61], 3, v[16:17]
	v_mov_b32_e32 v108, v32
	s_mov_b32 s33, s16
	v_lshl_add_u64 v[0:1], v[46:47], 3, v[0:1]
	s_delay_alu instid0(VALU_DEP_1) | instskip(NEXT) | instid1(VALU_DEP_1)
	v_lshl_add_u64 v[0:1], v[44:45], 3, v[0:1]
	v_lshl_add_u64 v[2:3], v[48:49], 3, v[0:1]
	v_add_nc_u64_e32 v[0:1], vcc, v[0:1]
	s_mov_b32 vcc_lo, 0
	s_delay_alu instid0(VALU_DEP_2) | instskip(NEXT) | instid1(VALU_DEP_1)
	v_lshl_add_u64 v[2:3], s[34:35], 3, v[2:3]
	v_add_nc_u64_e32 v[2:3], s[102:103], v[2:3]
	s_delay_alu instid0(VALU_DEP_1)
	v_dual_cndmask_b32 v55, v1, v3, s19 :: v_dual_cndmask_b32 v54, v0, v2, s19
	s_branch .LBB174_69
.LBB174_68:                             ;   in Loop: Header=BB174_69 Depth=2
	s_wait_xcnt 0x0
	s_or_b32 exec_lo, exec_lo, vcc_hi
	v_fmac_f64_e32 v[50:51], v[62:63], v[0:1]
	v_add_nc_u64_e32 v[54:55], s[72:73], v[54:55]
	v_add_nc_u32_e32 v108, 64, v108
	s_add_co_i32 s33, s33, -1
	s_add_co_i32 vcc_lo, vcc_lo, s14
	s_cmp_eq_u32 s33, 0
	s_wait_storecnt 0x0
	s_barrier_signal -1
	s_barrier_wait -1
	s_delay_alu instid0(VALU_DEP_3) | instskip(NEXT) | instid1(VALU_DEP_1)
	v_fmac_f64_e32 v[50:51], v[60:61], v[2:3]
	v_fmac_f64_e32 v[50:51], v[58:59], v[4:5]
	s_delay_alu instid0(VALU_DEP_1) | instskip(NEXT) | instid1(VALU_DEP_1)
	v_fmac_f64_e32 v[50:51], v[56:57], v[6:7]
	v_fmac_f64_e32 v[50:51], v[70:71], v[8:9]
	s_delay_alu instid0(VALU_DEP_1) | instskip(NEXT) | instid1(VALU_DEP_1)
	;; [unrolled: 3-line block ×6, first 2 shown]
	v_fmac_f64_e32 v[50:51], v[80:81], v[26:27]
	v_fmac_f64_e32 v[50:51], v[86:87], v[28:29]
	s_delay_alu instid0(VALU_DEP_1)
	v_fmac_f64_e32 v[50:51], v[84:85], v[30:31]
	s_cbranch_scc1 .LBB174_73
.LBB174_69:                             ;   Parent Loop BB174_4 Depth=1
                                        ; =>  This Inner Loop Header: Depth=2
	s_and_saveexec_b32 s17, s2
	s_cbranch_execz .LBB174_71
; %bb.70:                               ;   in Loop: Header=BB174_69 Depth=2
	s_ashr_i32 vcc_hi, vcc_lo, 31
	s_delay_alu instid0(SALU_CYCLE_1)
	v_lshl_add_u64 v[0:1], vcc, 3, v[52:53]
	flat_load_b64 v[0:1], v[0:1]
	s_wait_loadcnt_dscnt 0x0
	ds_store_b64 v33, v[0:1]
.LBB174_71:                             ;   in Loop: Header=BB174_69 Depth=2
	s_wait_xcnt 0x0
	s_or_b32 exec_lo, exec_lo, s17
	v_add_nc_u64_e32 v[0:1], s[68:69], v[54:55]
	v_add_nc_u64_e32 v[2:3], s[70:71], v[54:55]
	;; [unrolled: 1-line block ×3, first 2 shown]
	s_wait_dscnt 0x0
	s_barrier_signal -1
	s_barrier_wait -1
	s_clause 0x3
	flat_load_b64 v[62:63], v[54:55]
	flat_load_b64 v[60:61], v[0:1]
	;; [unrolled: 1-line block ×4, first 2 shown]
	s_wait_xcnt 0x0
	ds_load_b64 v[4:5], v89
	ds_load_b128 v[0:3], v96
	v_add_nc_u64_e32 v[20:21], s[76:77], v[54:55]
	v_add_nc_u64_e32 v[26:27], s[98:99], v[54:55]
	;; [unrolled: 1-line block ×8, first 2 shown]
	s_wait_loadcnt_dscnt 0x301
	v_mul_f64_e32 v[8:9], v[62:63], v[4:5]
	s_wait_loadcnt 0x2
	v_mul_f64_e32 v[10:11], v[60:61], v[4:5]
	s_wait_loadcnt 0x1
	;; [unrolled: 2-line block ×3, first 2 shown]
	v_mul_f64_e32 v[14:15], v[56:57], v[4:5]
	ds_load_b128 v[4:7], v96 offset:16
	ds_store_2addr_b64 v97, v[8:9], v[10:11] offset1:67
	ds_store_2addr_b64 v97, v[12:13], v[14:15] offset0:134 offset1:201
	s_wait_dscnt 0x0
	s_barrier_signal -1
	s_barrier_wait -1
	ds_load_2addr_b64 v[16:19], v98 offset1:1
	ds_load_2addr_b64 v[22:25], v98 offset0:2 offset1:3
	s_wait_dscnt 0x0
	s_barrier_signal -1
	s_barrier_wait -1
	s_clause 0x3
	flat_load_b64 v[70:71], v[20:21]
	flat_load_b64 v[68:69], v[26:27]
	;; [unrolled: 1-line block ×4, first 2 shown]
	ds_load_b64 v[12:13], v89
	ds_load_b128 v[8:11], v96 offset:128
	v_add_f64_e32 v[16:17], 0, v[16:17]
	s_wait_loadcnt_dscnt 0x301
	s_wait_xcnt 0x3
	v_mul_f64_e32 v[20:21], v[70:71], v[12:13]
	s_wait_loadcnt 0x2
	s_wait_xcnt 0x2
	v_mul_f64_e32 v[26:27], v[68:69], v[12:13]
	s_wait_loadcnt 0x1
	;; [unrolled: 3-line block ×3, first 2 shown]
	s_wait_xcnt 0x0
	v_mul_f64_e32 v[30:31], v[64:65], v[12:13]
	ds_load_b128 v[12:15], v96 offset:144
	ds_store_2addr_b64 v97, v[20:21], v[26:27] offset1:67
	ds_store_2addr_b64 v97, v[28:29], v[30:31] offset0:134 offset1:201
	s_wait_dscnt 0x0
	s_barrier_signal -1
	s_barrier_wait -1
	ds_load_2addr_b64 v[26:29], v98 offset1:1
	ds_load_2addr_b64 v[80:83], v98 offset0:2 offset1:3
	s_wait_dscnt 0x0
	s_barrier_signal -1
	s_barrier_wait -1
	s_clause 0x3
	flat_load_b64 v[78:79], v[72:73]
	flat_load_b64 v[76:77], v[74:75]
	;; [unrolled: 1-line block ×4, first 2 shown]
	v_add_f64_e32 v[30:31], v[16:17], v[18:19]
	ds_load_b128 v[16:19], v96 offset:256
	v_add_f64_e32 v[20:21], 0, v[26:27]
	ds_load_b64 v[26:27], v89
	v_add_f64_e32 v[30:31], v[30:31], v[22:23]
	v_add_f64_e32 v[20:21], v[20:21], v[28:29]
	s_delay_alu instid0(VALU_DEP_2) | instskip(NEXT) | instid1(VALU_DEP_2)
	v_add_f64_e32 v[122:123], v[30:31], v[24:25]
	v_add_f64_e32 v[80:81], v[20:21], v[80:81]
	ds_load_b128 v[20:23], v96 offset:272
	v_add_f64_e32 v[124:125], v[80:81], v[82:83]
	s_wait_loadcnt_dscnt 0x301
	v_mul_f64_e32 v[28:29], v[78:79], v[26:27]
	s_wait_loadcnt 0x2
	s_wait_xcnt 0x1
	v_mul_f64_e32 v[84:85], v[76:77], v[26:27]
	s_wait_loadcnt 0x1
	s_wait_xcnt 0x0
	v_mul_f64_e32 v[86:87], v[74:75], v[26:27]
	s_wait_loadcnt 0x0
	v_mul_f64_e32 v[26:27], v[72:73], v[26:27]
	ds_store_2addr_b64 v97, v[28:29], v[84:85] offset1:67
	ds_store_2addr_b64 v97, v[86:87], v[26:27] offset0:134 offset1:201
	s_wait_dscnt 0x0
	s_barrier_signal -1
	s_barrier_wait -1
	ds_load_2addr_b64 v[26:29], v98 offset1:1
	ds_load_2addr_b64 v[110:113], v98 offset0:2 offset1:3
	v_add_nc_u64_e32 v[84:85], s[88:89], v[54:55]
	v_add_nc_u64_e32 v[86:87], s[94:95], v[54:55]
	s_wait_dscnt 0x0
	s_barrier_signal -1
	s_barrier_wait -1
	s_clause 0x1
	flat_load_b64 v[82:83], v[84:85]
	flat_load_b64 v[80:81], v[86:87]
	v_add_f64_e32 v[24:25], 0, v[26:27]
	v_add_nc_u64_e32 v[26:27], s[90:91], v[54:55]
	s_delay_alu instid0(VALU_DEP_2)
	v_add_f64_e32 v[126:127], v[24:25], v[28:29]
	v_add_nc_u64_e32 v[24:25], s[92:93], v[54:55]
	s_clause 0x1
	flat_load_b64 v[86:87], v[26:27]
	flat_load_b64 v[84:85], v[24:25]
	ds_load_b64 v[28:29], v89
	s_wait_xcnt 0x0
	ds_load_b128 v[24:27], v96 offset:384
	v_add_f64_e32 v[110:111], v[126:127], v[110:111]
	s_delay_alu instid0(VALU_DEP_1)
	v_add_f64_e32 v[110:111], v[110:111], v[112:113]
	s_wait_loadcnt_dscnt 0x301
	v_mul_f64_e32 v[30:31], v[82:83], v[28:29]
	s_wait_loadcnt 0x2
	v_mul_f64_e32 v[114:115], v[80:81], v[28:29]
	ds_store_2addr_b64 v97, v[30:31], v[114:115] offset1:67
	s_wait_loadcnt 0x1
	v_mul_f64_e32 v[30:31], v[86:87], v[28:29]
	s_wait_loadcnt 0x0
	v_mul_f64_e32 v[28:29], v[84:85], v[28:29]
	ds_store_2addr_b64 v97, v[30:31], v[28:29] offset0:134 offset1:201
	ds_load_b128 v[28:31], v96 offset:400
	s_wait_dscnt 0x0
	s_barrier_signal -1
	s_barrier_wait -1
	ds_load_2addr_b64 v[114:117], v98 offset1:1
	ds_load_2addr_b64 v[118:121], v98 offset0:2 offset1:3
	s_wait_dscnt 0x0
	s_barrier_signal -1
	s_barrier_wait -1
	v_add_f64_e32 v[114:115], 0, v[114:115]
	s_delay_alu instid0(VALU_DEP_1) | instskip(NEXT) | instid1(VALU_DEP_1)
	v_add_f64_e32 v[114:115], v[114:115], v[116:117]
	v_add_f64_e32 v[112:113], v[114:115], v[118:119]
	s_delay_alu instid0(VALU_DEP_1)
	v_add_f64_e32 v[112:113], v[112:113], v[120:121]
	ds_store_2addr_b64 v107, v[122:123], v[124:125] offset1:16
	ds_store_2addr_b64 v107, v[110:111], v[112:113] offset0:32 offset1:48
	s_wait_dscnt 0x0
	s_barrier_signal -1
	s_barrier_wait -1
	s_and_saveexec_b32 vcc_hi, s20
	s_cbranch_execz .LBB174_68
; %bb.72:                               ;   in Loop: Header=BB174_69 Depth=2
	ds_load_2addr_b64 v[110:113], v99 offset1:1
	ds_load_2addr_b64 v[114:117], v99 offset0:2 offset1:3
	s_wait_dscnt 0x1
	v_add_f64_e32 v[110:111], v[110:111], v[112:113]
	s_wait_dscnt 0x0
	s_delay_alu instid0(VALU_DEP_1) | instskip(NEXT) | instid1(VALU_DEP_1)
	v_add_f64_e32 v[110:111], v[110:111], v[114:115]
	v_add_f64_e32 v[118:119], v[110:111], v[116:117]
	ds_load_2addr_b64 v[110:113], v99 offset0:4 offset1:5
	ds_load_2addr_b64 v[114:117], v99 offset0:6 offset1:7
	s_wait_dscnt 0x1
	v_add_f64_e32 v[110:111], v[118:119], v[110:111]
	s_delay_alu instid0(VALU_DEP_1) | instskip(SKIP_1) | instid1(VALU_DEP_1)
	v_add_f64_e32 v[110:111], v[110:111], v[112:113]
	s_wait_dscnt 0x0
	v_add_f64_e32 v[110:111], v[110:111], v[114:115]
	s_delay_alu instid0(VALU_DEP_1) | instskip(SKIP_4) | instid1(VALU_DEP_1)
	v_add_f64_e32 v[118:119], v[110:111], v[116:117]
	ds_load_2addr_b64 v[110:113], v99 offset0:8 offset1:9
	ds_load_2addr_b64 v[114:117], v99 offset0:10 offset1:11
	s_wait_dscnt 0x1
	v_add_f64_e32 v[110:111], v[118:119], v[110:111]
	v_add_f64_e32 v[110:111], v[110:111], v[112:113]
	s_wait_dscnt 0x0
	s_delay_alu instid0(VALU_DEP_1) | instskip(NEXT) | instid1(VALU_DEP_1)
	v_add_f64_e32 v[110:111], v[110:111], v[114:115]
	v_add_f64_e32 v[114:115], v[110:111], v[116:117]
	ds_load_2addr_b64 v[110:113], v99 offset0:12 offset1:13
	ds_load_b64 v[116:117], v99 offset:112
	s_wait_dscnt 0x1
	v_add_f64_e32 v[110:111], v[114:115], v[110:111]
	s_delay_alu instid0(VALU_DEP_1) | instskip(SKIP_4) | instid1(VALU_DEP_1)
	v_add_f64_e32 v[110:111], v[110:111], v[112:113]
	ds_load_b64 v[112:113], v100
	s_wait_dscnt 0x1
	v_add_f64_e32 v[110:111], v[110:111], v[116:117]
	s_wait_dscnt 0x0
	v_add_f64_e32 v[110:111], v[110:111], v[112:113]
	global_store_b64 v108, v[110:111], s[0:1] scale_offset
	s_branch .LBB174_68
.LBB174_73:                             ;   in Loop: Header=BB174_4 Depth=1
	ds_store_b64 v101, v[50:51]
	s_wait_dscnt 0x0
	s_barrier_signal -1
	s_barrier_wait -1
	s_and_saveexec_b32 s33, s15
	s_cbranch_execz .LBB174_2
; %bb.74:                               ;   in Loop: Header=BB174_4 Depth=1
	ds_load_2addr_b64 v[0:3], v88 offset1:67
	s_wait_dscnt 0x0
	v_add_f64_e32 v[4:5], v[0:1], v[2:3]
	ds_load_2addr_b64 v[0:3], v88 offset0:134 offset1:201
	s_wait_dscnt 0x0
	v_add_f64_e32 v[0:1], v[4:5], v[0:1]
	s_delay_alu instid0(VALU_DEP_1)
	v_add_f64_e32 v[0:1], v[0:1], v[2:3]
	v_lshl_add_u64 v[2:3], v[36:37], 3, s[0:1]
	global_store_b64 v[2:3], v[0:1], off
	s_branch .LBB174_2
.LBB174_75:                             ;   in Loop: Header=BB174_4 Depth=1
	ds_load_b64 v[2:3], v104
	s_wait_dscnt 0x0
	ds_store_b64 v92, v[2:3]
	s_or_b32 exec_lo, exec_lo, s0
	s_and_saveexec_b32 s0, s9
	s_cbranch_execz .LBB174_26
.LBB174_76:                             ;   in Loop: Header=BB174_4 Depth=1
	ds_load_b64 v[2:3], v105
	s_wait_dscnt 0x0
	ds_store_b64 v92, v[2:3] offset:8
	s_or_b32 exec_lo, exec_lo, s0
	s_and_saveexec_b32 s0, s10
	s_cbranch_execz .LBB174_27
.LBB174_77:                             ;   in Loop: Header=BB174_4 Depth=1
	ds_load_b64 v[2:3], v105 offset:264
	s_wait_dscnt 0x0
	ds_store_b64 v92, v[2:3] offset:16
	s_or_b32 exec_lo, exec_lo, s0
	s_and_saveexec_b32 s0, s11
	s_cbranch_execnz .LBB174_28
	s_branch .LBB174_29
.LBB174_78:                             ;   in Loop: Header=BB174_4 Depth=1
	ds_load_b64 v[2:3], v104
	s_wait_dscnt 0x0
	ds_store_b64 v92, v[2:3]
	s_or_b32 exec_lo, exec_lo, s0
	s_and_saveexec_b32 s0, s9
	s_cbranch_execz .LBB174_45
.LBB174_79:                             ;   in Loop: Header=BB174_4 Depth=1
	ds_load_b64 v[2:3], v105
	s_wait_dscnt 0x0
	ds_store_b64 v92, v[2:3] offset:8
	s_or_b32 exec_lo, exec_lo, s0
	s_and_saveexec_b32 s0, s10
	s_cbranch_execz .LBB174_46
.LBB174_80:                             ;   in Loop: Header=BB174_4 Depth=1
	ds_load_b64 v[2:3], v105 offset:264
	s_wait_dscnt 0x0
	ds_store_b64 v92, v[2:3] offset:16
	s_or_b32 exec_lo, exec_lo, s0
	s_and_saveexec_b32 s0, s11
	s_cbranch_execnz .LBB174_47
	s_branch .LBB174_48
.LBB174_81:
	s_sendmsg sendmsg(MSG_DEALLOC_VGPRS)
	s_endpgm
	.section	.rodata,"a",@progbits
	.p2align	6, 0x0
	.amdhsa_kernel _ZL26rocblas_hemvn_kernel_lowerILb0ELi64ELi4ELi33ELi32ELi16EiPKdPKS1_PdEviT6_lT7_lT5_lS6_lS7_lS5_lT8_i
		.amdhsa_group_segment_fixed_size 9600
		.amdhsa_private_segment_fixed_size 0
		.amdhsa_kernarg_size 376
		.amdhsa_user_sgpr_count 2
		.amdhsa_user_sgpr_dispatch_ptr 0
		.amdhsa_user_sgpr_queue_ptr 0
		.amdhsa_user_sgpr_kernarg_segment_ptr 1
		.amdhsa_user_sgpr_dispatch_id 0
		.amdhsa_user_sgpr_kernarg_preload_length 0
		.amdhsa_user_sgpr_kernarg_preload_offset 0
		.amdhsa_user_sgpr_private_segment_size 0
		.amdhsa_wavefront_size32 1
		.amdhsa_uses_dynamic_stack 0
		.amdhsa_enable_private_segment 0
		.amdhsa_system_sgpr_workgroup_id_x 1
		.amdhsa_system_sgpr_workgroup_id_y 0
		.amdhsa_system_sgpr_workgroup_id_z 1
		.amdhsa_system_sgpr_workgroup_info 0
		.amdhsa_system_vgpr_workitem_id 1
		.amdhsa_next_free_vgpr 128
		.amdhsa_next_free_sgpr 105
		.amdhsa_named_barrier_count 0
		.amdhsa_reserve_vcc 1
		.amdhsa_float_round_mode_32 0
		.amdhsa_float_round_mode_16_64 0
		.amdhsa_float_denorm_mode_32 3
		.amdhsa_float_denorm_mode_16_64 3
		.amdhsa_fp16_overflow 0
		.amdhsa_memory_ordered 1
		.amdhsa_forward_progress 1
		.amdhsa_inst_pref_size 45
		.amdhsa_round_robin_scheduling 0
		.amdhsa_exception_fp_ieee_invalid_op 0
		.amdhsa_exception_fp_denorm_src 0
		.amdhsa_exception_fp_ieee_div_zero 0
		.amdhsa_exception_fp_ieee_overflow 0
		.amdhsa_exception_fp_ieee_underflow 0
		.amdhsa_exception_fp_ieee_inexact 0
		.amdhsa_exception_int_div_zero 0
	.end_amdhsa_kernel
	.section	.text._ZL26rocblas_hemvn_kernel_lowerILb0ELi64ELi4ELi33ELi32ELi16EiPKdPKS1_PdEviT6_lT7_lT5_lS6_lS7_lS5_lT8_i,"axG",@progbits,_ZL26rocblas_hemvn_kernel_lowerILb0ELi64ELi4ELi33ELi32ELi16EiPKdPKS1_PdEviT6_lT7_lT5_lS6_lS7_lS5_lT8_i,comdat
.Lfunc_end174:
	.size	_ZL26rocblas_hemvn_kernel_lowerILb0ELi64ELi4ELi33ELi32ELi16EiPKdPKS1_PdEviT6_lT7_lT5_lS6_lS7_lS5_lT8_i, .Lfunc_end174-_ZL26rocblas_hemvn_kernel_lowerILb0ELi64ELi4ELi33ELi32ELi16EiPKdPKS1_PdEviT6_lT7_lT5_lS6_lS7_lS5_lT8_i
                                        ; -- End function
	.set _ZL26rocblas_hemvn_kernel_lowerILb0ELi64ELi4ELi33ELi32ELi16EiPKdPKS1_PdEviT6_lT7_lT5_lS6_lS7_lS5_lT8_i.num_vgpr, 128
	.set _ZL26rocblas_hemvn_kernel_lowerILb0ELi64ELi4ELi33ELi32ELi16EiPKdPKS1_PdEviT6_lT7_lT5_lS6_lS7_lS5_lT8_i.num_agpr, 0
	.set _ZL26rocblas_hemvn_kernel_lowerILb0ELi64ELi4ELi33ELi32ELi16EiPKdPKS1_PdEviT6_lT7_lT5_lS6_lS7_lS5_lT8_i.numbered_sgpr, 105
	.set _ZL26rocblas_hemvn_kernel_lowerILb0ELi64ELi4ELi33ELi32ELi16EiPKdPKS1_PdEviT6_lT7_lT5_lS6_lS7_lS5_lT8_i.num_named_barrier, 0
	.set _ZL26rocblas_hemvn_kernel_lowerILb0ELi64ELi4ELi33ELi32ELi16EiPKdPKS1_PdEviT6_lT7_lT5_lS6_lS7_lS5_lT8_i.private_seg_size, 0
	.set _ZL26rocblas_hemvn_kernel_lowerILb0ELi64ELi4ELi33ELi32ELi16EiPKdPKS1_PdEviT6_lT7_lT5_lS6_lS7_lS5_lT8_i.uses_vcc, 1
	.set _ZL26rocblas_hemvn_kernel_lowerILb0ELi64ELi4ELi33ELi32ELi16EiPKdPKS1_PdEviT6_lT7_lT5_lS6_lS7_lS5_lT8_i.uses_flat_scratch, 1
	.set _ZL26rocblas_hemvn_kernel_lowerILb0ELi64ELi4ELi33ELi32ELi16EiPKdPKS1_PdEviT6_lT7_lT5_lS6_lS7_lS5_lT8_i.has_dyn_sized_stack, 0
	.set _ZL26rocblas_hemvn_kernel_lowerILb0ELi64ELi4ELi33ELi32ELi16EiPKdPKS1_PdEviT6_lT7_lT5_lS6_lS7_lS5_lT8_i.has_recursion, 0
	.set _ZL26rocblas_hemvn_kernel_lowerILb0ELi64ELi4ELi33ELi32ELi16EiPKdPKS1_PdEviT6_lT7_lT5_lS6_lS7_lS5_lT8_i.has_indirect_call, 0
	.section	.AMDGPU.csdata,"",@progbits
; Kernel info:
; codeLenInByte = 5688
; TotalNumSgprs: 107
; NumVgprs: 128
; ScratchSize: 0
; MemoryBound: 0
; FloatMode: 240
; IeeeMode: 1
; LDSByteSize: 9600 bytes/workgroup (compile time only)
; SGPRBlocks: 0
; VGPRBlocks: 7
; NumSGPRsForWavesPerEU: 107
; NumVGPRsForWavesPerEU: 128
; NamedBarCnt: 0
; Occupancy: 8
; WaveLimiterHint : 1
; COMPUTE_PGM_RSRC2:SCRATCH_EN: 0
; COMPUTE_PGM_RSRC2:USER_SGPR: 2
; COMPUTE_PGM_RSRC2:TRAP_HANDLER: 0
; COMPUTE_PGM_RSRC2:TGID_X_EN: 1
; COMPUTE_PGM_RSRC2:TGID_Y_EN: 0
; COMPUTE_PGM_RSRC2:TGID_Z_EN: 1
; COMPUTE_PGM_RSRC2:TIDIG_COMP_CNT: 1
	.section	.text._ZL36rocblas_hemvn_kernel_lower_block_sumILi64EiPKdPKPddEviT1_lS5_lT2_lT0_lPT3_i,"axG",@progbits,_ZL36rocblas_hemvn_kernel_lower_block_sumILi64EiPKdPKPddEviT1_lS5_lT2_lT0_lPT3_i,comdat
	.globl	_ZL36rocblas_hemvn_kernel_lower_block_sumILi64EiPKdPKPddEviT1_lS5_lT2_lT0_lPT3_i ; -- Begin function _ZL36rocblas_hemvn_kernel_lower_block_sumILi64EiPKdPKPddEviT1_lS5_lT2_lT0_lPT3_i
	.p2align	8
	.type	_ZL36rocblas_hemvn_kernel_lower_block_sumILi64EiPKdPKPddEviT1_lS5_lT2_lT0_lPT3_i,@function
_ZL36rocblas_hemvn_kernel_lower_block_sumILi64EiPKdPKPddEviT1_lS5_lT2_lT0_lPT3_i: ; @_ZL36rocblas_hemvn_kernel_lower_block_sumILi64EiPKdPKPddEviT1_lS5_lT2_lT0_lPT3_i
; %bb.0:
	s_load_b32 s3, s[0:1], 0x50
	s_bfe_u32 s2, ttmp6, 0x40014
	s_lshr_b32 s4, ttmp7, 16
	s_add_co_i32 s2, s2, 1
	s_bfe_u32 s6, ttmp6, 0x40008
	s_mul_i32 s5, s4, s2
	s_getreg_b32 s2, hwreg(HW_REG_IB_STS2, 6, 4)
	s_add_co_i32 s6, s6, s5
	s_cmp_eq_u32 s2, 0
	s_mov_b32 s17, 0
	s_cselect_b32 s16, s4, s6
	s_wait_kmcnt 0x0
	s_cmp_ge_u32 s16, s3
	s_cbranch_scc1 .LBB175_24
; %bb.1:
	s_clause 0x1
	s_load_b32 s20, s[0:1], 0x0
	s_load_b32 s21, s[0:1], 0x38
	s_bfe_u32 s4, ttmp6, 0x4000c
	s_and_b32 s5, ttmp6, 15
	s_add_co_i32 s4, s4, 1
	s_clause 0x1
	s_load_b64 s[18:19], s[0:1], 0x48
	s_load_b128 s[12:15], s[0:1], 0x28
	s_mul_i32 s4, ttmp9, s4
	v_mov_b32_e32 v12, 0
	s_add_co_i32 s5, s5, s4
	s_cmp_eq_u32 s2, 0
	s_cselect_b32 s24, ttmp9, s5
	s_load_b256 s[4:11], s[0:1], 0x8
	v_lshl_or_b32 v1, s24, 6, v0
	s_wait_kmcnt 0x0
	s_delay_alu instid0(VALU_DEP_1) | instskip(SKIP_3) | instid1(SALU_CYCLE_1)
	v_mad_u32 v2, s20, s24, v1
	v_mul_lo_u32 v0, s21, v1
	v_cmp_gt_i32_e64 s2, s20, v1
	s_ashr_i32 s21, s20, 31
	s_lshl_b64 s[20:21], s[20:21], 3
	s_lshl_b64 s[14:15], s[14:15], 3
	v_dual_ashrrev_i32 v3, 31, v2 :: v_dual_ashrrev_i32 v1, 31, v0
	s_delay_alu instid0(VALU_DEP_1)
	v_lshl_add_u64 v[2:3], v[2:3], 3, s[18:19]
	s_add_nc_u64 s[18:19], s[0:1], 0x58
	s_branch .LBB175_4
.LBB175_2:                              ;   in Loop: Header=BB175_4 Depth=1
	s_wait_xcnt 0x0
	s_or_b32 exec_lo, exec_lo, s22
.LBB175_3:                              ;   in Loop: Header=BB175_4 Depth=1
	s_add_co_i32 s16, s16, 0x10000
	s_delay_alu instid0(SALU_CYCLE_1)
	s_cmp_lt_u32 s16, s3
	s_cbranch_scc0 .LBB175_24
.LBB175_4:                              ; =>This Loop Header: Depth=1
                                        ;     Child Loop BB175_15 Depth 2
	s_mul_u64 s[0:1], s[6:7], s[16:17]
	s_wait_xcnt 0x0
	s_mul_u64 s[22:23], s[10:11], s[16:17]
	s_lshl_b64 s[0:1], s[0:1], 3
	s_lshl_b64 s[22:23], s[22:23], 3
	s_add_nc_u64 s[0:1], s[4:5], s[0:1]
	s_add_nc_u64 s[22:23], s[8:9], s[22:23]
	s_clause 0x1
	global_load_b64 v[4:5], v12, s[0:1]
	global_load_b64 v[6:7], v12, s[22:23]
	s_wait_loadcnt 0x1
	v_cmp_eq_f64_e32 vcc_lo, 0, v[4:5]
	s_wait_loadcnt 0x0
	s_wait_xcnt 0x1
	v_cmp_eq_f64_e64 s0, 1.0, v[6:7]
	s_and_b32 s0, vcc_lo, s0
	s_delay_alu instid0(SALU_CYCLE_1)
	s_and_b32 vcc_lo, exec_lo, s0
	s_cbranch_vccnz .LBB175_3
; %bb.5:                                ;   in Loop: Header=BB175_4 Depth=1
	v_cmp_neq_f64_e32 vcc_lo, 0, v[4:5]
	s_lshl_b64 s[0:1], s[16:17], 3
	s_delay_alu instid0(SALU_CYCLE_1)
	s_add_nc_u64 s[0:1], s[12:13], s[0:1]
	s_load_b64 s[0:1], s[0:1], 0x0
	s_wait_kmcnt 0x0
	s_wait_xcnt 0x0
	s_add_nc_u64 s[0:1], s[0:1], s[14:15]
	s_cbranch_vccnz .LBB175_10
; %bb.6:                                ;   in Loop: Header=BB175_4 Depth=1
	s_mov_b32 s22, 0
	s_mov_b32 s25, 0
                                        ; implicit-def: $vgpr8_vgpr9
	s_and_saveexec_b32 s23, s2
	s_cbranch_execz .LBB175_11
; %bb.7:                                ;   in Loop: Header=BB175_4 Depth=1
	v_cmp_eq_f64_e32 vcc_lo, 0, v[6:7]
	v_mov_b64_e32 v[8:9], 0
	s_cbranch_vccnz .LBB175_9
; %bb.8:                                ;   in Loop: Header=BB175_4 Depth=1
	v_lshl_add_u64 v[8:9], v[0:1], 3, s[0:1]
	flat_load_b64 v[8:9], v[8:9]
	s_wait_loadcnt_dscnt 0x0
	s_wait_xcnt 0x0
	v_mul_f64_e32 v[8:9], v[6:7], v[8:9]
.LBB175_9:                              ;   in Loop: Header=BB175_4 Depth=1
	s_mov_b32 s25, exec_lo
	s_or_b32 exec_lo, exec_lo, s23
	s_delay_alu instid0(SALU_CYCLE_1)
	s_and_b32 vcc_lo, exec_lo, s22
	s_cbranch_vccnz .LBB175_12
	s_branch .LBB175_21
.LBB175_10:                             ;   in Loop: Header=BB175_4 Depth=1
	s_mov_b32 s25, 0
                                        ; implicit-def: $vgpr8_vgpr9
	s_cbranch_execnz .LBB175_12
	s_branch .LBB175_21
.LBB175_11:                             ;   in Loop: Header=BB175_4 Depth=1
	s_or_b32 exec_lo, exec_lo, s23
	s_delay_alu instid0(SALU_CYCLE_1)
	s_and_b32 vcc_lo, exec_lo, s22
	s_cbranch_vccz .LBB175_21
.LBB175_12:                             ;   in Loop: Header=BB175_4 Depth=1
                                        ; implicit-def: $vgpr8_vgpr9
	s_and_saveexec_b32 s26, s2
	s_cbranch_execz .LBB175_20
; %bb.13:                               ;   in Loop: Header=BB175_4 Depth=1
	s_load_b32 s22, s[18:19], 0x0
	v_mov_b64_e32 v[10:11], 0
	s_wait_kmcnt 0x0
	s_cmp_ge_i32 s24, s22
	s_cbranch_scc1 .LBB175_16
; %bb.14:                               ;   in Loop: Header=BB175_4 Depth=1
	s_mov_b32 s23, s17
	v_mov_b64_e32 v[10:11], 0
	s_mul_u64 s[28:29], s[20:21], s[22:23]
	s_mov_b32 s23, s24
	v_mad_nc_u64_u32 v[8:9], s28, s16, v[2:3]
	s_delay_alu instid0(VALU_DEP_1)
	v_mad_u32 v9, s29, s16, v9
.LBB175_15:                             ;   Parent Loop BB175_4 Depth=1
                                        ; =>  This Inner Loop Header: Depth=2
	global_load_b64 v[14:15], v[8:9], off
	s_wait_xcnt 0x0
	v_add_nc_u64_e32 v[8:9], s[20:21], v[8:9]
	s_add_co_i32 s23, s23, 1
	s_delay_alu instid0(SALU_CYCLE_1)
	s_cmp_ge_i32 s23, s22
	s_wait_loadcnt 0x0
	v_add_f64_e32 v[10:11], v[10:11], v[14:15]
	s_cbranch_scc0 .LBB175_15
.LBB175_16:                             ;   in Loop: Header=BB175_4 Depth=1
	v_cmp_eq_f64_e32 vcc_lo, 0, v[6:7]
	s_cbranch_vccz .LBB175_23
; %bb.17:                               ;   in Loop: Header=BB175_4 Depth=1
	s_delay_alu instid0(VALU_DEP_2)
	v_mul_f64_e32 v[8:9], v[4:5], v[10:11]
	s_cbranch_execnz .LBB175_19
.LBB175_18:                             ;   in Loop: Header=BB175_4 Depth=1
	v_lshl_add_u64 v[8:9], v[0:1], 3, s[0:1]
	flat_load_b64 v[8:9], v[8:9]
	s_wait_loadcnt_dscnt 0x0
	s_wait_xcnt 0x0
	v_mul_f64_e32 v[8:9], v[6:7], v[8:9]
	s_delay_alu instid0(VALU_DEP_1)
	v_fmac_f64_e32 v[8:9], v[4:5], v[10:11]
.LBB175_19:                             ;   in Loop: Header=BB175_4 Depth=1
	s_or_b32 s25, s25, exec_lo
.LBB175_20:                             ;   in Loop: Header=BB175_4 Depth=1
	s_or_b32 exec_lo, exec_lo, s26
.LBB175_21:                             ;   in Loop: Header=BB175_4 Depth=1
	s_and_saveexec_b32 s22, s25
	s_cbranch_execz .LBB175_2
; %bb.22:                               ;   in Loop: Header=BB175_4 Depth=1
	v_lshl_add_u64 v[4:5], v[0:1], 3, s[0:1]
	flat_store_b64 v[4:5], v[8:9]
	s_branch .LBB175_2
.LBB175_23:                             ;   in Loop: Header=BB175_4 Depth=1
                                        ; implicit-def: $vgpr8_vgpr9
	s_branch .LBB175_18
.LBB175_24:
	s_endpgm
	.section	.rodata,"a",@progbits
	.p2align	6, 0x0
	.amdhsa_kernel _ZL36rocblas_hemvn_kernel_lower_block_sumILi64EiPKdPKPddEviT1_lS5_lT2_lT0_lPT3_i
		.amdhsa_group_segment_fixed_size 0
		.amdhsa_private_segment_fixed_size 0
		.amdhsa_kernarg_size 344
		.amdhsa_user_sgpr_count 2
		.amdhsa_user_sgpr_dispatch_ptr 0
		.amdhsa_user_sgpr_queue_ptr 0
		.amdhsa_user_sgpr_kernarg_segment_ptr 1
		.amdhsa_user_sgpr_dispatch_id 0
		.amdhsa_user_sgpr_kernarg_preload_length 0
		.amdhsa_user_sgpr_kernarg_preload_offset 0
		.amdhsa_user_sgpr_private_segment_size 0
		.amdhsa_wavefront_size32 1
		.amdhsa_uses_dynamic_stack 0
		.amdhsa_enable_private_segment 0
		.amdhsa_system_sgpr_workgroup_id_x 1
		.amdhsa_system_sgpr_workgroup_id_y 0
		.amdhsa_system_sgpr_workgroup_id_z 1
		.amdhsa_system_sgpr_workgroup_info 0
		.amdhsa_system_vgpr_workitem_id 0
		.amdhsa_next_free_vgpr 16
		.amdhsa_next_free_sgpr 30
		.amdhsa_named_barrier_count 0
		.amdhsa_reserve_vcc 1
		.amdhsa_float_round_mode_32 0
		.amdhsa_float_round_mode_16_64 0
		.amdhsa_float_denorm_mode_32 3
		.amdhsa_float_denorm_mode_16_64 3
		.amdhsa_fp16_overflow 0
		.amdhsa_memory_ordered 1
		.amdhsa_forward_progress 1
		.amdhsa_inst_pref_size 6
		.amdhsa_round_robin_scheduling 0
		.amdhsa_exception_fp_ieee_invalid_op 0
		.amdhsa_exception_fp_denorm_src 0
		.amdhsa_exception_fp_ieee_div_zero 0
		.amdhsa_exception_fp_ieee_overflow 0
		.amdhsa_exception_fp_ieee_underflow 0
		.amdhsa_exception_fp_ieee_inexact 0
		.amdhsa_exception_int_div_zero 0
	.end_amdhsa_kernel
	.section	.text._ZL36rocblas_hemvn_kernel_lower_block_sumILi64EiPKdPKPddEviT1_lS5_lT2_lT0_lPT3_i,"axG",@progbits,_ZL36rocblas_hemvn_kernel_lower_block_sumILi64EiPKdPKPddEviT1_lS5_lT2_lT0_lPT3_i,comdat
.Lfunc_end175:
	.size	_ZL36rocblas_hemvn_kernel_lower_block_sumILi64EiPKdPKPddEviT1_lS5_lT2_lT0_lPT3_i, .Lfunc_end175-_ZL36rocblas_hemvn_kernel_lower_block_sumILi64EiPKdPKPddEviT1_lS5_lT2_lT0_lPT3_i
                                        ; -- End function
	.set _ZL36rocblas_hemvn_kernel_lower_block_sumILi64EiPKdPKPddEviT1_lS5_lT2_lT0_lPT3_i.num_vgpr, 16
	.set _ZL36rocblas_hemvn_kernel_lower_block_sumILi64EiPKdPKPddEviT1_lS5_lT2_lT0_lPT3_i.num_agpr, 0
	.set _ZL36rocblas_hemvn_kernel_lower_block_sumILi64EiPKdPKPddEviT1_lS5_lT2_lT0_lPT3_i.numbered_sgpr, 30
	.set _ZL36rocblas_hemvn_kernel_lower_block_sumILi64EiPKdPKPddEviT1_lS5_lT2_lT0_lPT3_i.num_named_barrier, 0
	.set _ZL36rocblas_hemvn_kernel_lower_block_sumILi64EiPKdPKPddEviT1_lS5_lT2_lT0_lPT3_i.private_seg_size, 0
	.set _ZL36rocblas_hemvn_kernel_lower_block_sumILi64EiPKdPKPddEviT1_lS5_lT2_lT0_lPT3_i.uses_vcc, 1
	.set _ZL36rocblas_hemvn_kernel_lower_block_sumILi64EiPKdPKPddEviT1_lS5_lT2_lT0_lPT3_i.uses_flat_scratch, 0
	.set _ZL36rocblas_hemvn_kernel_lower_block_sumILi64EiPKdPKPddEviT1_lS5_lT2_lT0_lPT3_i.has_dyn_sized_stack, 0
	.set _ZL36rocblas_hemvn_kernel_lower_block_sumILi64EiPKdPKPddEviT1_lS5_lT2_lT0_lPT3_i.has_recursion, 0
	.set _ZL36rocblas_hemvn_kernel_lower_block_sumILi64EiPKdPKPddEviT1_lS5_lT2_lT0_lPT3_i.has_indirect_call, 0
	.section	.AMDGPU.csdata,"",@progbits
; Kernel info:
; codeLenInByte = 736
; TotalNumSgprs: 32
; NumVgprs: 16
; ScratchSize: 0
; MemoryBound: 0
; FloatMode: 240
; IeeeMode: 1
; LDSByteSize: 0 bytes/workgroup (compile time only)
; SGPRBlocks: 0
; VGPRBlocks: 0
; NumSGPRsForWavesPerEU: 32
; NumVGPRsForWavesPerEU: 16
; NamedBarCnt: 0
; Occupancy: 16
; WaveLimiterHint : 1
; COMPUTE_PGM_RSRC2:SCRATCH_EN: 0
; COMPUTE_PGM_RSRC2:USER_SGPR: 2
; COMPUTE_PGM_RSRC2:TRAP_HANDLER: 0
; COMPUTE_PGM_RSRC2:TGID_X_EN: 1
; COMPUTE_PGM_RSRC2:TGID_Y_EN: 0
; COMPUTE_PGM_RSRC2:TGID_Z_EN: 1
; COMPUTE_PGM_RSRC2:TIDIG_COMP_CNT: 0
	.section	.text._ZL26rocblas_hemvn_kernel_lowerILb0ELi64ELi4ELi33ELi32ELi16EldPKPKdPdEviT6_lT7_lT5_lS6_lS7_lS5_lT8_i,"axG",@progbits,_ZL26rocblas_hemvn_kernel_lowerILb0ELi64ELi4ELi33ELi32ELi16EldPKPKdPdEviT6_lT7_lT5_lS6_lS7_lS5_lT8_i,comdat
	.globl	_ZL26rocblas_hemvn_kernel_lowerILb0ELi64ELi4ELi33ELi32ELi16EldPKPKdPdEviT6_lT7_lT5_lS6_lS7_lS5_lT8_i ; -- Begin function _ZL26rocblas_hemvn_kernel_lowerILb0ELi64ELi4ELi33ELi32ELi16EldPKPKdPdEviT6_lT7_lT5_lS6_lS7_lS5_lT8_i
	.p2align	8
	.type	_ZL26rocblas_hemvn_kernel_lowerILb0ELi64ELi4ELi33ELi32ELi16EldPKPKdPdEviT6_lT7_lT5_lS6_lS7_lS5_lT8_i,@function
_ZL26rocblas_hemvn_kernel_lowerILb0ELi64ELi4ELi33ELi32ELi16EldPKPKdPdEviT6_lT7_lT5_lS6_lS7_lS5_lT8_i: ; @_ZL26rocblas_hemvn_kernel_lowerILb0ELi64ELi4ELi33ELi32ELi16EldPKPKdPdEviT6_lT7_lT5_lS6_lS7_lS5_lT8_i
; %bb.0:
	s_clause 0x1
	s_load_b64 s[2:3], s[0:1], 0x84
	s_load_b32 s19, s[0:1], 0x70
	s_bfe_u32 s4, ttmp6, 0x40014
	s_lshr_b32 s5, ttmp7, 16
	s_add_co_i32 s4, s4, 1
	s_bfe_u32 s6, ttmp6, 0x40008
	s_mul_i32 s4, s5, s4
	s_getreg_b32 s8, hwreg(HW_REG_IB_STS2, 6, 4)
	s_add_co_i32 s6, s6, s4
	s_mov_b32 s31, 0
	s_wait_kmcnt 0x0
	s_lshr_b32 s4, s2, 16
	s_and_b32 s2, s2, 0xffff
	s_and_b32 s3, s3, 0xffff
	s_mul_i32 s2, s4, s2
	s_cmp_eq_u32 s8, 0
	s_mul_i32 s2, s2, s3
	s_cselect_b32 s28, s5, s6
	s_cmp_lg_u32 s2, 0x100
	s_cselect_b32 s2, -1, 0
	s_cmp_ge_u32 s28, s19
	s_cselect_b32 s3, -1, 0
	s_delay_alu instid0(SALU_CYCLE_1) | instskip(NEXT) | instid1(SALU_CYCLE_1)
	s_or_b32 s2, s2, s3
	s_and_b32 vcc_lo, exec_lo, s2
	s_cbranch_vccnz .LBB176_81
; %bb.1:
	s_clause 0x2
	s_load_b64 s[4:5], s[0:1], 0x8
	s_load_b64 s[10:11], s[0:1], 0x58
	s_load_b32 s6, s[0:1], 0x0
	s_add_nc_u64 s[12:13], s[0:1], 0x78
	s_clause 0x4
	s_load_b128 s[20:23], s[0:1], 0x18
	s_load_b64 s[88:89], s[0:1], 0x28
	s_load_b128 s[24:27], s[0:1], 0x38
	s_load_b64 s[34:35], s[0:1], 0x48
	s_load_b64 s[2:3], s[0:1], 0x68
	s_load_b32 s30, s[12:13], 0x0
	s_wait_xcnt 0x0
	s_bfe_u32 s0, ttmp6, 0x4000c
	v_and_b32_e32 v32, 0x3ff, v0
	v_bfe_u32 v1, v0, 10, 10
	v_dual_mov_b32 v35, 0 :: v_dual_bitop2_b32 v34, 31, v0 bitop3:0x40
	s_add_co_i32 s0, s0, 1
	s_and_b32 s1, ttmp6, 15
	s_mul_i32 s7, ttmp9, s0
	v_lshl_add_u32 v4, v1, 6, v32
	v_dual_lshlrev_b32 v33, 3, v32 :: v_dual_lshlrev_b32 v5, 3, v34
	s_add_co_i32 s1, s1, s7
	v_mul_u32_u24_e32 v14, 33, v34
	s_delay_alu instid0(VALU_DEP_3)
	v_and_b32_e32 v10, 0x7fe0, v4
	s_wait_kmcnt 0x0
	v_cmp_neq_f64_e64 s9, s[4:5], 0
	v_cmp_neq_f64_e64 s10, s[10:11], 1.0
	s_ashr_i32 s7, s6, 31
	s_cmp_eq_u32 s8, 0
	v_lshl_or_b32 v88, v34, 8, v5
	s_cselect_b32 s98, ttmp9, s1
	s_lshr_b32 s1, s7, 26
	v_lshrrev_b32_e32 v2, 5, v4
	s_add_co_i32 s1, s6, s1
	v_cmp_eq_f64_e64 s33, s[4:5], 0
	s_and_not1_b32 s1, s1, 63
	s_add_co_i32 s5, s30, -1
	s_lshl_b32 s94, s98, 6
	s_sub_co_i32 s1, s6, s1
	v_add_nc_u32_e32 v89, v88, v10
	v_dual_lshlrev_b32 v8, 2, v2 :: v_dual_add_nc_u32 v9, 24, v2
	v_mad_nc_u64_u32 v[38:39], s88, v2, v[34:35]
	v_dual_add_nc_u32 v3, 8, v2 :: v_dual_add_nc_u32 v40, s94, v32
	s_delay_alu instid0(VALU_DEP_3) | instskip(SKIP_2) | instid1(VALU_DEP_2)
	v_dual_lshlrev_b32 v15, 3, v2 :: v_dual_bitop2_b32 v11, 1, v8 bitop3:0x54
	s_mul_i32 s4, s6, s98
	s_mul_u64 s[38:39], s[30:31], s[6:7]
	v_dual_ashrrev_i32 v41, 31, v40 :: v_dual_add_nc_u32 v7, 16, v2
	s_delay_alu instid0(VALU_DEP_2)
	v_lshl_add_u32 v91, v14, 3, v15
	v_add_nc_u32_e32 v86, 0x2380, v33
	v_mul_u32_u24_e32 v6, 0x108, v2
	v_mad_u32 v39, s89, v2, v39
	v_mul_u32_u24_e32 v12, 0x420, v2
	v_or_b32_e32 v13, 2, v8
	v_cmp_eq_u32_e64 s16, 1, v2
	s_or_b32 s99, s9, s10
	s_cmp_eq_u32 s98, s5
	v_mad_u32_u24 v92, v2, 24, v91
	s_cselect_b32 s40, s1, 0
	v_mul_u64_e32 v[42:43], s[34:35], v[40:41]
	v_cmp_gt_i32_e32 vcc_lo, s40, v32
	s_cmp_eq_u32 s40, 0
	v_add_nc_u32_e32 v90, 0x2380, v10
	s_cselect_b32 s6, -1, 0
	s_ashr_i32 s5, s4, 31
	s_ashr_i32 s95, s94, 31
	s_lshl_b64 s[4:5], s[4:5], 3
	s_or_b32 s100, s6, vcc_lo
	s_cmp_lg_u32 s40, 0
	s_add_nc_u64 s[44:45], s[2:3], s[4:5]
	s_cselect_b32 s17, -1, 0
	s_sub_co_i32 s15, s40, 32
	v_cmp_gt_i32_e64 s2, s40, v2
	v_cmp_gt_i32_e64 s3, s40, v3
	v_cmp_gt_i32_e64 s4, s40, v7
	v_cmp_gt_i32_e64 s12, s15, v2
	v_cmp_gt_i32_e64 s13, s15, v3
	v_cmp_gt_i32_e64 s14, s15, v7
	v_mul_i32_i24_e32 v7, 0xffffffe8, v2
	v_dual_mov_b32 v3, v35 :: v_dual_lshlrev_b32 v2, 2, v1
	v_cndmask_b32_e64 v87, 0, 1, s6
	v_cmp_lt_u32_e64 s6, v8, v34
	v_dual_add_nc_u32 v101, v5, v6 :: v_dual_bitop2_b32 v8, 3, v8 bitop3:0x54
	s_delay_alu instid0(VALU_DEP_4) | instskip(SKIP_2) | instid1(VALU_DEP_4)
	v_mul_u64_e32 v[46:47], s[88:89], v[2:3]
	v_cmp_gt_i32_e64 s5, s40, v9
	v_cmp_gt_i32_e64 s15, s15, v9
	v_cmp_lt_u32_e64 s9, v8, v34
	v_dual_add_nc_u32 v104, v90, v7 :: v_dual_bitop2_b32 v9, 15, v0 bitop3:0x40
	v_and_b32_e32 v0, 48, v0
	v_or_b32_e32 v8, 32, v34
	v_cmp_lt_u32_e64 s7, v11, v34
	v_mul_u32_u24_e32 v11, 0x108, v11
	v_cmp_le_i32_e32 vcc_lo, s40, v32
	v_lshlrev_b32_e32 v0, 3, v0
	v_cmp_gt_i32_e64 s11, s40, v8
	s_delay_alu instid0(VALU_DEP_4) | instskip(SKIP_3) | instid1(VALU_DEP_4)
	v_dual_lshrrev_b32 v8, 4, v4 :: v_dual_add_nc_u32 v103, v5, v11
	v_sub_nc_u64_e32 v[36:37], 0, v[34:35]
	v_cmp_gt_i32_e64 s1, s40, v34
	v_cmp_lt_u32_e64 s8, v13, v34
	v_dual_lshlrev_b32 v2, 5, v8 :: v_dual_lshlrev_b32 v34, 3, v34
	v_mad_u32_u24 v95, 0x860, v1, v33
	v_or_b32_e32 v3, 0x78, v33
	v_cmp_eq_u32_e64 s0, 0, v1
	s_delay_alu instid0(VALU_DEP_4)
	v_mad_u32_u24 v96, 0x218, v9, v2
	v_mul_i32_i24_e32 v2, 0xffffffe8, v8
	s_and_b32 s17, s17, vcc_lo
	v_sub_nc_u64_e32 v[44:45], 0, v[38:39]
	s_lshl_b64 s[46:47], s[88:89], 6
	s_lshl_b64 s[48:49], s[88:89], 7
	s_ashr_i32 s41, s40, 31
	v_cmp_gt_u32_e64 s10, 32, v4
	s_lshl_b64 s[50:51], s[88:89], 5
	s_xor_b32 s29, s17, -1
	v_add_nc_u32_e32 v93, 0x2180, v33
	v_lshl_add_u32 v94, v1, 5, 0x2180
	v_cmp_gt_u32_e64 s18, 64, v4
	v_mad_u32_u24 v97, 0x218, v9, v0
	v_mad_u32_u24 v98, 0x218, v9, v3
	v_mad_i32_i24 v99, 0xfffff9b8, v1, v95
	v_add_nc_u32_e32 v100, 0x2380, v15
	v_dual_add_nc_u32 v102, v5, v12 :: v_dual_add_nc_u32 v105, v96, v2
	s_mul_u64 s[42:43], s[88:89], s[94:95]
	s_mul_u64 s[54:55], s[34:35], s[94:95]
	s_cmp_gt_i32 s98, 0
	s_mul_u64 s[36:37], s[88:89], 0xc0
	s_sub_nc_u64 s[52:53], 0, s[50:51]
	s_sub_nc_u64 s[54:55], 0, s[54:55]
	s_cselect_b32 s101, -1, 0
	s_sub_nc_u64 s[56:57], 0, s[42:43]
	s_and_b32 s102, s0, s29
	s_sub_nc_u64 s[58:59], 0, s[40:41]
	s_lshl_b64 s[60:61], s[88:89], 3
	s_lshl_b64 s[62:63], s[88:89], 4
	;; [unrolled: 1-line block ×3, first 2 shown]
	s_mul_u64 s[66:67], s[88:89], 24
	s_mul_u64 s[68:69], s[88:89], 0x90
	s_mul_u64 s[70:71], s[88:89], 0x98
	s_lshl_b64 s[72:73], s[88:89], 8
	s_mul_u64 s[74:75], s[88:89], 0x110
	s_mul_u64 s[76:77], s[88:89], 0x118
	;; [unrolled: 1-line block ×8, first 2 shown]
	s_mov_b64 s[90:91], 0xfffffffffffffef8
	s_mov_b64 s[92:93], 0xffffffffffffff00
	s_lshl_b64 s[26:27], s[26:27], 3
	s_lshl_b64 s[22:23], s[22:23], 3
	;; [unrolled: 1-line block ×3, first 2 shown]
	s_branch .LBB176_4
.LBB176_2:                              ;   in Loop: Header=BB176_4 Depth=1
	s_wait_xcnt 0x0
	s_or_b32 exec_lo, exec_lo, s29
.LBB176_3:                              ;   in Loop: Header=BB176_4 Depth=1
	s_add_co_i32 s28, s28, 0x10000
	s_delay_alu instid0(SALU_CYCLE_1)
	s_cmp_lt_u32 s28, s19
	s_cbranch_scc0 .LBB176_81
.LBB176_4:                              ; =>This Loop Header: Depth=1
                                        ;     Child Loop BB176_69 Depth 2
	s_and_not1_b32 vcc_lo, exec_lo, s99
	s_cbranch_vccnz .LBB176_3
; %bb.5:                                ;   in Loop: Header=BB176_4 Depth=1
	s_and_b32 vcc_lo, exec_lo, s33
	s_cbranch_vccz .LBB176_7
; %bb.6:                                ;   in Loop: Header=BB176_4 Depth=1
	s_cbranch_execnz .LBB176_3
	s_branch .LBB176_8
.LBB176_7:                              ;   in Loop: Header=BB176_4 Depth=1
.LBB176_8:                              ;   in Loop: Header=BB176_4 Depth=1
	v_mov_b32_e32 v0, s28
	s_clause 0x1
	global_load_b64 v[2:3], v0, s[24:25] scale_offset
	global_load_b64 v[0:1], v0, s[20:21] scale_offset
	s_wait_loadcnt 0x1
	v_add_nc_u64_e32 v[2:3], s[26:27], v[2:3]
	s_delay_alu instid0(VALU_DEP_1)
	v_lshl_add_u64 v[16:17], v[42:43], 3, v[2:3]
	s_wait_xcnt 0x0
	s_and_saveexec_b32 s29, s0
	s_cbranch_execz .LBB176_12
; %bb.9:                                ;   in Loop: Header=BB176_4 Depth=1
	v_mov_b64_e32 v[2:3], 0
	s_and_saveexec_b32 s30, s100
	s_cbranch_execz .LBB176_11
; %bb.10:                               ;   in Loop: Header=BB176_4 Depth=1
	flat_load_b64 v[2:3], v[16:17]
.LBB176_11:                             ;   in Loop: Header=BB176_4 Depth=1
	s_wait_xcnt 0x0
	s_or_b32 exec_lo, exec_lo, s30
	s_wait_loadcnt_dscnt 0x0
	ds_store_b64 v86, v[2:3]
.LBB176_12:                             ;   in Loop: Header=BB176_4 Depth=1
	s_or_b32 exec_lo, exec_lo, s29
	s_wait_loadcnt 0x0
	v_add_nc_u64_e32 v[0:1], s[22:23], v[0:1]
	v_cmp_ne_u32_e32 vcc_lo, 1, v87
	s_mov_b32 s29, s31
	s_mov_b32 s30, -1
	s_delay_alu instid0(VALU_DEP_2) | instskip(NEXT) | instid1(VALU_DEP_1)
	v_add_nc_u64_e32 v[0:1], s[94:95], v[0:1]
	v_lshl_add_u64 v[0:1], v[38:39], 3, v[0:1]
	s_delay_alu instid0(VALU_DEP_1)
	v_lshl_add_u64 v[0:1], s[42:43], 3, v[0:1]
	s_cbranch_vccnz .LBB176_14
; %bb.13:                               ;   in Loop: Header=BB176_4 Depth=1
	s_delay_alu instid0(VALU_DEP_1) | instskip(SKIP_1) | instid1(VALU_DEP_1)
	v_add_nc_u64_e32 v[2:3], s[46:47], v[0:1]
	s_mov_b32 s30, 0
	v_add_nc_u64_e32 v[4:5], s[46:47], v[2:3]
	s_delay_alu instid0(VALU_DEP_1)
	v_add_nc_u64_e32 v[6:7], s[46:47], v[4:5]
	s_clause 0x3
	flat_load_b64 v[8:9], v[0:1]
	flat_load_b64 v[2:3], v[2:3]
	;; [unrolled: 1-line block ×4, first 2 shown]
	s_wait_loadcnt_dscnt 0x303
	ds_store_b64 v101, v[8:9]
	s_wait_loadcnt_dscnt 0x203
	ds_store_b64 v101, v[2:3] offset:2112
	s_wait_loadcnt_dscnt 0x103
	ds_store_b64 v101, v[4:5] offset:4224
	;; [unrolled: 2-line block ×3, first 2 shown]
.LBB176_14:                             ;   in Loop: Header=BB176_4 Depth=1
	s_and_not1_b32 vcc_lo, exec_lo, s30
	s_cbranch_vccnz .LBB176_24
; %bb.15:                               ;   in Loop: Header=BB176_4 Depth=1
	s_wait_xcnt 0x2
	v_lshl_add_u64 v[2:3], v[36:37], 3, v[0:1]
	s_wait_xcnt 0x0
	v_mov_b64_e32 v[6:7], 0
	v_mov_b64_e32 v[4:5], 0
	s_delay_alu instid0(VALU_DEP_3) | instskip(NEXT) | instid1(VALU_DEP_1)
	v_lshl_add_u64 v[2:3], s[40:41], 3, v[2:3]
	v_add_nc_u64_e32 v[2:3], -8, v[2:3]
	s_delay_alu instid0(VALU_DEP_1)
	v_dual_cndmask_b32 v3, v3, v1, s1 :: v_dual_cndmask_b32 v2, v2, v0, s1
	s_and_saveexec_b32 s30, s2
	s_cbranch_execz .LBB176_17
; %bb.16:                               ;   in Loop: Header=BB176_4 Depth=1
	flat_load_b64 v[4:5], v[2:3]
.LBB176_17:                             ;   in Loop: Header=BB176_4 Depth=1
	s_wait_xcnt 0x0
	s_or_b32 exec_lo, exec_lo, s30
	s_wait_loadcnt_dscnt 0x0
	ds_store_b64 v101, v[4:5]
	s_and_saveexec_b32 s30, s3
	s_cbranch_execz .LBB176_19
; %bb.18:                               ;   in Loop: Header=BB176_4 Depth=1
	v_add_nc_u64_e32 v[4:5], s[46:47], v[2:3]
	flat_load_b64 v[6:7], v[4:5]
.LBB176_19:                             ;   in Loop: Header=BB176_4 Depth=1
	s_wait_xcnt 0x0
	s_or_b32 exec_lo, exec_lo, s30
	v_mov_b64_e32 v[4:5], 0
	v_mov_b64_e32 v[8:9], 0
	s_wait_loadcnt_dscnt 0x0
	ds_store_b64 v101, v[6:7] offset:2112
	s_and_saveexec_b32 s30, s4
	s_cbranch_execz .LBB176_21
; %bb.20:                               ;   in Loop: Header=BB176_4 Depth=1
	v_add_nc_u64_e32 v[6:7], s[48:49], v[2:3]
	flat_load_b64 v[8:9], v[6:7]
.LBB176_21:                             ;   in Loop: Header=BB176_4 Depth=1
	s_wait_xcnt 0x0
	s_or_b32 exec_lo, exec_lo, s30
	s_wait_loadcnt_dscnt 0x0
	ds_store_b64 v101, v[8:9] offset:4224
	s_and_saveexec_b32 s30, s5
	s_cbranch_execz .LBB176_23
; %bb.22:                               ;   in Loop: Header=BB176_4 Depth=1
	v_add_nc_u64_e32 v[4:5], s[36:37], v[2:3]
	flat_load_b64 v[4:5], v[4:5]
.LBB176_23:                             ;   in Loop: Header=BB176_4 Depth=1
	s_wait_xcnt 0x0
	s_or_b32 exec_lo, exec_lo, s30
	v_add_nc_u64_e32 v[2:3], v[2:3], v[34:35]
	s_wait_loadcnt_dscnt 0x0
	ds_store_b64 v101, v[4:5] offset:6336
	v_lshl_add_u64 v[2:3], s[58:59], 3, v[2:3]
	s_delay_alu instid0(VALU_DEP_1) | instskip(NEXT) | instid1(VALU_DEP_1)
	v_add_nc_u64_e32 v[2:3], 8, v[2:3]
	v_dual_cndmask_b32 v1, v3, v1, s1 :: v_dual_cndmask_b32 v0, v2, v0, s1
.LBB176_24:                             ;   in Loop: Header=BB176_4 Depth=1
	s_wait_dscnt 0x0
	s_barrier_signal -1
	s_barrier_wait -1
	s_wait_xcnt 0x0
	s_and_saveexec_b32 s30, s6
	s_cbranch_execnz .LBB176_75
; %bb.25:                               ;   in Loop: Header=BB176_4 Depth=1
	s_or_b32 exec_lo, exec_lo, s30
	s_and_saveexec_b32 s30, s7
	s_cbranch_execnz .LBB176_76
.LBB176_26:                             ;   in Loop: Header=BB176_4 Depth=1
	s_or_b32 exec_lo, exec_lo, s30
	s_and_saveexec_b32 s30, s8
	s_cbranch_execnz .LBB176_77
.LBB176_27:                             ;   in Loop: Header=BB176_4 Depth=1
	s_or_b32 exec_lo, exec_lo, s30
	s_and_saveexec_b32 s30, s9
	s_cbranch_execz .LBB176_29
.LBB176_28:                             ;   in Loop: Header=BB176_4 Depth=1
	ds_load_b64 v[2:3], v103 offset:528
	s_wait_dscnt 0x0
	ds_store_b64 v89, v[2:3] offset:24
.LBB176_29:                             ;   in Loop: Header=BB176_4 Depth=1
	s_or_b32 exec_lo, exec_lo, s30
	s_wait_dscnt 0x0
	s_barrier_signal -1
	s_barrier_wait -1
	ds_load_b64 v[10:11], v102
	ds_load_b128 v[2:5], v90
	ds_load_b128 v[6:9], v90 offset:16
	ds_load_b64 v[14:15], v103 offset:528
	v_mov_b64_e32 v[48:49], 0
	s_wait_dscnt 0x2
	v_fma_f64 v[2:3], v[10:11], v[2:3], 0
	ds_load_2addr_b64 v[10:13], v103 offset1:33
	s_wait_dscnt 0x0
	s_barrier_signal -1
	s_barrier_wait -1
	v_fmac_f64_e32 v[2:3], v[10:11], v[4:5]
	s_delay_alu instid0(VALU_DEP_1) | instskip(NEXT) | instid1(VALU_DEP_1)
	v_fmac_f64_e32 v[2:3], v[12:13], v[6:7]
	v_fmac_f64_e32 v[2:3], v[14:15], v[8:9]
	ds_store_b64 v91, v[2:3]
	s_wait_dscnt 0x0
	s_barrier_signal -1
	s_barrier_wait -1
	s_and_saveexec_b32 s30, s10
	s_cbranch_execz .LBB176_31
; %bb.30:                               ;   in Loop: Header=BB176_4 Depth=1
	ds_load_2addr_b64 v[2:5], v88 offset1:1
	ds_load_2addr_b64 v[6:9], v88 offset0:2 offset1:3
	s_wait_dscnt 0x1
	v_add_f64_e32 v[2:3], v[2:3], v[4:5]
	s_wait_dscnt 0x0
	s_delay_alu instid0(VALU_DEP_1) | instskip(NEXT) | instid1(VALU_DEP_1)
	v_add_f64_e32 v[2:3], v[2:3], v[6:7]
	v_add_f64_e32 v[10:11], v[2:3], v[8:9]
	ds_load_2addr_b64 v[2:5], v88 offset0:4 offset1:5
	ds_load_2addr_b64 v[6:9], v88 offset0:6 offset1:7
	s_wait_dscnt 0x1
	v_add_f64_e32 v[2:3], v[10:11], v[2:3]
	s_delay_alu instid0(VALU_DEP_1) | instskip(SKIP_1) | instid1(VALU_DEP_1)
	v_add_f64_e32 v[2:3], v[2:3], v[4:5]
	s_wait_dscnt 0x0
	v_add_f64_e32 v[2:3], v[2:3], v[6:7]
	s_delay_alu instid0(VALU_DEP_1)
	v_add_f64_e32 v[48:49], v[2:3], v[8:9]
.LBB176_31:                             ;   in Loop: Header=BB176_4 Depth=1
	s_or_b32 exec_lo, exec_lo, s30
	v_cmp_ne_u32_e32 vcc_lo, 1, v87
	v_lshl_add_u64 v[2:3], s[50:51], 3, v[0:1]
	s_mov_b32 s30, -1
	s_barrier_signal -1
	s_barrier_wait -1
	s_cbranch_vccnz .LBB176_33
; %bb.32:                               ;   in Loop: Header=BB176_4 Depth=1
	v_add_nc_u64_e32 v[0:1], s[46:47], v[2:3]
	s_mov_b32 s30, 0
	s_delay_alu instid0(VALU_DEP_1) | instskip(NEXT) | instid1(VALU_DEP_1)
	v_add_nc_u64_e32 v[4:5], s[46:47], v[0:1]
	v_add_nc_u64_e32 v[6:7], s[46:47], v[4:5]
	s_clause 0x3
	flat_load_b64 v[8:9], v[2:3] offset:256
	flat_load_b64 v[0:1], v[0:1] offset:256
	;; [unrolled: 1-line block ×4, first 2 shown]
	s_wait_loadcnt_dscnt 0x303
	ds_store_b64 v101, v[8:9]
	s_wait_loadcnt_dscnt 0x203
	ds_store_b64 v101, v[0:1] offset:2112
	s_wait_loadcnt_dscnt 0x103
	ds_store_b64 v101, v[4:5] offset:4224
	;; [unrolled: 2-line block ×3, first 2 shown]
.LBB176_33:                             ;   in Loop: Header=BB176_4 Depth=1
	s_wait_xcnt 0x2
	v_add_nc_u64_e32 v[0:1], 0x100, v[2:3]
	s_and_not1_b32 vcc_lo, exec_lo, s30
	s_cbranch_vccnz .LBB176_43
; %bb.34:                               ;   in Loop: Header=BB176_4 Depth=1
	v_lshl_add_u64 v[2:3], v[36:37], 3, v[2:3]
	s_wait_xcnt 0x0
	v_mov_b64_e32 v[6:7], 0
	v_mov_b64_e32 v[4:5], 0
	s_delay_alu instid0(VALU_DEP_3) | instskip(NEXT) | instid1(VALU_DEP_1)
	v_lshl_add_u64 v[2:3], s[40:41], 3, v[2:3]
	v_add_nc_u64_e32 v[2:3], -8, v[2:3]
	s_delay_alu instid0(VALU_DEP_1)
	v_dual_cndmask_b32 v3, v3, v1, s11 :: v_dual_cndmask_b32 v2, v2, v0, s11
	s_and_saveexec_b32 s30, s12
	s_cbranch_execz .LBB176_36
; %bb.35:                               ;   in Loop: Header=BB176_4 Depth=1
	flat_load_b64 v[4:5], v[2:3]
.LBB176_36:                             ;   in Loop: Header=BB176_4 Depth=1
	s_wait_xcnt 0x0
	s_or_b32 exec_lo, exec_lo, s30
	s_wait_loadcnt_dscnt 0x0
	ds_store_b64 v101, v[4:5]
	s_and_saveexec_b32 s30, s13
	s_cbranch_execz .LBB176_38
; %bb.37:                               ;   in Loop: Header=BB176_4 Depth=1
	v_add_nc_u64_e32 v[4:5], s[46:47], v[2:3]
	flat_load_b64 v[6:7], v[4:5]
.LBB176_38:                             ;   in Loop: Header=BB176_4 Depth=1
	s_wait_xcnt 0x0
	s_or_b32 exec_lo, exec_lo, s30
	v_mov_b64_e32 v[4:5], 0
	v_mov_b64_e32 v[8:9], 0
	s_wait_loadcnt_dscnt 0x0
	ds_store_b64 v101, v[6:7] offset:2112
	s_and_saveexec_b32 s30, s14
	s_cbranch_execz .LBB176_40
; %bb.39:                               ;   in Loop: Header=BB176_4 Depth=1
	v_add_nc_u64_e32 v[6:7], s[48:49], v[2:3]
	flat_load_b64 v[8:9], v[6:7]
.LBB176_40:                             ;   in Loop: Header=BB176_4 Depth=1
	s_wait_xcnt 0x0
	s_or_b32 exec_lo, exec_lo, s30
	s_wait_loadcnt_dscnt 0x0
	ds_store_b64 v101, v[8:9] offset:4224
	s_and_saveexec_b32 s30, s15
	s_cbranch_execz .LBB176_42
; %bb.41:                               ;   in Loop: Header=BB176_4 Depth=1
	v_add_nc_u64_e32 v[4:5], s[36:37], v[2:3]
	flat_load_b64 v[4:5], v[4:5]
.LBB176_42:                             ;   in Loop: Header=BB176_4 Depth=1
	s_wait_xcnt 0x0
	s_or_b32 exec_lo, exec_lo, s30
	v_add_nc_u64_e32 v[2:3], v[2:3], v[34:35]
	s_wait_loadcnt_dscnt 0x0
	ds_store_b64 v101, v[4:5] offset:6336
	v_lshl_add_u64 v[2:3], s[58:59], 3, v[2:3]
	s_delay_alu instid0(VALU_DEP_1) | instskip(NEXT) | instid1(VALU_DEP_1)
	v_add_nc_u64_e32 v[2:3], 0x108, v[2:3]
	v_dual_cndmask_b32 v1, v3, v1, s11 :: v_dual_cndmask_b32 v0, v2, v0, s11
.LBB176_43:                             ;   in Loop: Header=BB176_4 Depth=1
	s_wait_dscnt 0x0
	s_barrier_signal -1
	s_barrier_wait -1
	s_wait_xcnt 0x0
	s_and_saveexec_b32 s30, s6
	s_cbranch_execnz .LBB176_78
; %bb.44:                               ;   in Loop: Header=BB176_4 Depth=1
	s_or_b32 exec_lo, exec_lo, s30
	s_and_saveexec_b32 s30, s7
	s_cbranch_execnz .LBB176_79
.LBB176_45:                             ;   in Loop: Header=BB176_4 Depth=1
	s_or_b32 exec_lo, exec_lo, s30
	s_and_saveexec_b32 s30, s8
	s_cbranch_execnz .LBB176_80
.LBB176_46:                             ;   in Loop: Header=BB176_4 Depth=1
	s_or_b32 exec_lo, exec_lo, s30
	s_and_saveexec_b32 s30, s9
	s_cbranch_execz .LBB176_48
.LBB176_47:                             ;   in Loop: Header=BB176_4 Depth=1
	ds_load_b64 v[2:3], v103 offset:528
	s_wait_dscnt 0x0
	ds_store_b64 v89, v[2:3] offset:24
.LBB176_48:                             ;   in Loop: Header=BB176_4 Depth=1
	s_or_b32 exec_lo, exec_lo, s30
	s_wait_dscnt 0x0
	s_barrier_signal -1
	s_barrier_wait -1
	ds_load_b64 v[10:11], v102
	ds_load_b128 v[2:5], v90 offset:256
	ds_load_b128 v[6:9], v90 offset:272
	ds_load_b64 v[14:15], v103 offset:528
	s_wait_dscnt 0x2
	v_fma_f64 v[2:3], v[10:11], v[2:3], 0
	ds_load_2addr_b64 v[10:13], v103 offset1:33
	s_wait_dscnt 0x0
	s_barrier_signal -1
	s_barrier_wait -1
	v_fmac_f64_e32 v[2:3], v[10:11], v[4:5]
	s_delay_alu instid0(VALU_DEP_1) | instskip(NEXT) | instid1(VALU_DEP_1)
	v_fmac_f64_e32 v[2:3], v[12:13], v[6:7]
	v_fmac_f64_e32 v[2:3], v[14:15], v[8:9]
	ds_store_b64 v91, v[2:3]
	s_wait_dscnt 0x0
	s_barrier_signal -1
	s_barrier_wait -1
	s_and_saveexec_b32 s30, s16
	s_cbranch_execz .LBB176_50
; %bb.49:                               ;   in Loop: Header=BB176_4 Depth=1
	ds_load_2addr_b64 v[2:5], v88 offset1:1
	ds_load_2addr_b64 v[6:9], v88 offset0:2 offset1:3
	s_wait_dscnt 0x1
	v_add_f64_e32 v[2:3], v[2:3], v[4:5]
	s_wait_dscnt 0x0
	s_delay_alu instid0(VALU_DEP_1) | instskip(NEXT) | instid1(VALU_DEP_1)
	v_add_f64_e32 v[2:3], v[2:3], v[6:7]
	v_add_f64_e32 v[10:11], v[2:3], v[8:9]
	ds_load_2addr_b64 v[2:5], v88 offset0:4 offset1:5
	ds_load_2addr_b64 v[6:9], v88 offset0:6 offset1:7
	s_wait_dscnt 0x1
	v_add_f64_e32 v[2:3], v[10:11], v[2:3]
	s_delay_alu instid0(VALU_DEP_1) | instskip(SKIP_1) | instid1(VALU_DEP_1)
	v_add_f64_e32 v[2:3], v[2:3], v[4:5]
	s_wait_dscnt 0x0
	v_add_f64_e32 v[2:3], v[2:3], v[6:7]
	s_delay_alu instid0(VALU_DEP_1)
	v_add_f64_e32 v[48:49], v[2:3], v[8:9]
.LBB176_50:                             ;   in Loop: Header=BB176_4 Depth=1
	s_or_b32 exec_lo, exec_lo, s30
	v_cmp_ne_u32_e32 vcc_lo, 1, v87
	v_lshl_add_u64 v[18:19], s[52:53], 3, v[0:1]
	s_mov_b32 s30, -1
	s_barrier_signal -1
	s_barrier_wait -1
	s_cbranch_vccnz .LBB176_52
; %bb.51:                               ;   in Loop: Header=BB176_4 Depth=1
	v_add_nc_u64_e32 v[0:1], s[46:47], v[18:19]
	s_mov_b32 s30, 0
	s_delay_alu instid0(VALU_DEP_1) | instskip(NEXT) | instid1(VALU_DEP_1)
	v_add_nc_u64_e32 v[2:3], s[46:47], v[0:1]
	v_add_nc_u64_e32 v[4:5], s[46:47], v[2:3]
	s_clause 0x3
	flat_load_b64 v[6:7], v[18:19]
	flat_load_b64 v[0:1], v[0:1]
	;; [unrolled: 1-line block ×4, first 2 shown]
	s_wait_loadcnt_dscnt 0x303
	ds_store_b64 v101, v[6:7]
	s_wait_loadcnt_dscnt 0x203
	ds_store_b64 v101, v[0:1] offset:2112
	s_wait_loadcnt_dscnt 0x103
	ds_store_b64 v101, v[2:3] offset:4224
	;; [unrolled: 2-line block ×3, first 2 shown]
.LBB176_52:                             ;   in Loop: Header=BB176_4 Depth=1
	s_and_not1_b32 vcc_lo, exec_lo, s30
	s_cbranch_vccnz .LBB176_62
; %bb.53:                               ;   in Loop: Header=BB176_4 Depth=1
	s_wait_xcnt 0x2
	v_lshl_add_u64 v[0:1], v[36:37], 3, v[18:19]
	s_wait_xcnt 0x0
	v_mov_b64_e32 v[4:5], 0
	v_mov_b64_e32 v[2:3], 0
	s_delay_alu instid0(VALU_DEP_3) | instskip(NEXT) | instid1(VALU_DEP_1)
	v_lshl_add_u64 v[0:1], s[40:41], 3, v[0:1]
	v_add_nc_u64_e32 v[0:1], s[90:91], v[0:1]
	s_delay_alu instid0(VALU_DEP_1)
	v_dual_cndmask_b32 v1, v1, v19, s11 :: v_dual_cndmask_b32 v0, v0, v18, s11
	s_and_saveexec_b32 s30, s2
	s_cbranch_execz .LBB176_55
; %bb.54:                               ;   in Loop: Header=BB176_4 Depth=1
	flat_load_b64 v[2:3], v[0:1]
.LBB176_55:                             ;   in Loop: Header=BB176_4 Depth=1
	s_wait_xcnt 0x0
	s_or_b32 exec_lo, exec_lo, s30
	s_wait_loadcnt_dscnt 0x0
	ds_store_b64 v101, v[2:3]
	s_and_saveexec_b32 s30, s3
	s_cbranch_execz .LBB176_57
; %bb.56:                               ;   in Loop: Header=BB176_4 Depth=1
	v_add_nc_u64_e32 v[2:3], s[46:47], v[0:1]
	flat_load_b64 v[4:5], v[2:3]
.LBB176_57:                             ;   in Loop: Header=BB176_4 Depth=1
	s_wait_xcnt 0x0
	s_or_b32 exec_lo, exec_lo, s30
	v_mov_b64_e32 v[2:3], 0
	v_mov_b64_e32 v[6:7], 0
	s_wait_loadcnt_dscnt 0x0
	ds_store_b64 v101, v[4:5] offset:2112
	s_and_saveexec_b32 s30, s4
	s_cbranch_execz .LBB176_59
; %bb.58:                               ;   in Loop: Header=BB176_4 Depth=1
	v_add_nc_u64_e32 v[4:5], s[48:49], v[0:1]
	flat_load_b64 v[6:7], v[4:5]
.LBB176_59:                             ;   in Loop: Header=BB176_4 Depth=1
	s_wait_xcnt 0x0
	s_or_b32 exec_lo, exec_lo, s30
	s_wait_loadcnt_dscnt 0x0
	ds_store_b64 v101, v[6:7] offset:4224
	s_and_saveexec_b32 s30, s5
	s_cbranch_execz .LBB176_61
; %bb.60:                               ;   in Loop: Header=BB176_4 Depth=1
	v_add_nc_u64_e32 v[2:3], s[36:37], v[0:1]
	flat_load_b64 v[2:3], v[2:3]
.LBB176_61:                             ;   in Loop: Header=BB176_4 Depth=1
	s_wait_xcnt 0x0
	s_or_b32 exec_lo, exec_lo, s30
	v_add_nc_u64_e32 v[0:1], v[0:1], v[34:35]
	s_wait_loadcnt_dscnt 0x0
	ds_store_b64 v101, v[2:3] offset:6336
	v_lshl_add_u64 v[0:1], s[58:59], 3, v[0:1]
	s_delay_alu instid0(VALU_DEP_1) | instskip(NEXT) | instid1(VALU_DEP_1)
	v_add_nc_u64_e32 v[0:1], 0x108, v[0:1]
	v_dual_cndmask_b32 v19, v1, v19, s11 :: v_dual_cndmask_b32 v18, v0, v18, s11
.LBB176_62:                             ;   in Loop: Header=BB176_4 Depth=1
	s_wait_dscnt 0x0
	s_barrier_signal -1
	s_barrier_wait -1
	s_wait_xcnt 0x2
	ds_load_b64 v[0:1], v101
	s_wait_xcnt 0x1
	ds_load_b64 v[2:3], v104
	s_wait_xcnt 0x0
	ds_load_b64 v[4:5], v101 offset:6336
	ds_load_b64 v[6:7], v101 offset:2112
	;; [unrolled: 1-line block ×4, first 2 shown]
	s_wait_dscnt 0x4
	v_fma_f64 v[20:21], v[0:1], v[2:3], 0
	ds_load_2addr_b64 v[0:3], v100 offset0:8 offset1:16
	s_wait_dscnt 0x0
	v_fmac_f64_e32 v[20:21], v[6:7], v[0:1]
	s_delay_alu instid0(VALU_DEP_1) | instskip(NEXT) | instid1(VALU_DEP_1)
	v_fmac_f64_e32 v[20:21], v[8:9], v[2:3]
	v_fmac_f64_e32 v[20:21], v[4:5], v[10:11]
	ds_load_b128 v[8:11], v90 offset:256
	ds_load_b128 v[0:3], v90 offset:272
	ds_load_2addr_b64 v[12:15], v92 offset1:1
	ds_load_2addr_b64 v[4:7], v92 offset0:2 offset1:3
	s_wait_dscnt 0x0
	s_barrier_signal -1
	s_barrier_wait -1
	ds_store_b64 v91, v[20:21]
	s_wait_dscnt 0x0
	s_barrier_signal -1
	s_barrier_wait -1
	s_and_saveexec_b32 s30, s16
	s_cbranch_execz .LBB176_64
; %bb.63:                               ;   in Loop: Header=BB176_4 Depth=1
	ds_load_2addr_b64 v[20:23], v88 offset1:1
	ds_load_2addr_b64 v[24:27], v88 offset0:2 offset1:3
	s_wait_dscnt 0x1
	v_add_f64_e32 v[20:21], v[48:49], v[20:21]
	s_delay_alu instid0(VALU_DEP_1) | instskip(SKIP_1) | instid1(VALU_DEP_1)
	v_add_f64_e32 v[20:21], v[20:21], v[22:23]
	s_wait_dscnt 0x0
	v_add_f64_e32 v[20:21], v[20:21], v[24:25]
	s_delay_alu instid0(VALU_DEP_1) | instskip(SKIP_4) | instid1(VALU_DEP_1)
	v_add_f64_e32 v[28:29], v[20:21], v[26:27]
	ds_load_2addr_b64 v[20:23], v88 offset0:4 offset1:5
	ds_load_2addr_b64 v[24:27], v88 offset0:6 offset1:7
	s_wait_dscnt 0x1
	v_add_f64_e32 v[20:21], v[28:29], v[20:21]
	v_add_f64_e32 v[20:21], v[20:21], v[22:23]
	s_wait_dscnt 0x0
	s_delay_alu instid0(VALU_DEP_1) | instskip(NEXT) | instid1(VALU_DEP_1)
	v_add_f64_e32 v[20:21], v[20:21], v[24:25]
	v_add_f64_e32 v[48:49], v[20:21], v[26:27]
.LBB176_64:                             ;   in Loop: Header=BB176_4 Depth=1
	s_or_b32 exec_lo, exec_lo, s30
	v_fma_f64 v[8:9], v[12:13], v[8:9], 0
	s_barrier_signal -1
	s_barrier_wait -1
	s_delay_alu instid0(VALU_DEP_1) | instskip(NEXT) | instid1(VALU_DEP_1)
	v_fmac_f64_e32 v[8:9], v[14:15], v[10:11]
	v_fmac_f64_e32 v[8:9], v[4:5], v[0:1]
	s_delay_alu instid0(VALU_DEP_1)
	v_fmac_f64_e32 v[8:9], v[6:7], v[2:3]
	ds_store_b64 v91, v[8:9]
	s_wait_dscnt 0x0
	s_barrier_signal -1
	s_barrier_wait -1
	s_and_saveexec_b32 s30, s10
	s_cbranch_execz .LBB176_66
; %bb.65:                               ;   in Loop: Header=BB176_4 Depth=1
	ds_load_2addr_b64 v[0:3], v88 offset1:1
	ds_load_2addr_b64 v[4:7], v88 offset0:2 offset1:3
	s_wait_dscnt 0x1
	v_add_f64_e32 v[0:1], v[48:49], v[0:1]
	s_delay_alu instid0(VALU_DEP_1) | instskip(SKIP_1) | instid1(VALU_DEP_1)
	v_add_f64_e32 v[0:1], v[0:1], v[2:3]
	s_wait_dscnt 0x0
	v_add_f64_e32 v[0:1], v[0:1], v[4:5]
	s_delay_alu instid0(VALU_DEP_1) | instskip(SKIP_4) | instid1(VALU_DEP_1)
	v_add_f64_e32 v[8:9], v[0:1], v[6:7]
	ds_load_2addr_b64 v[0:3], v88 offset0:4 offset1:5
	ds_load_2addr_b64 v[4:7], v88 offset0:6 offset1:7
	s_wait_dscnt 0x1
	v_add_f64_e32 v[0:1], v[8:9], v[0:1]
	v_add_f64_e32 v[0:1], v[0:1], v[2:3]
	s_wait_dscnt 0x0
	s_delay_alu instid0(VALU_DEP_1) | instskip(NEXT) | instid1(VALU_DEP_1)
	v_add_f64_e32 v[0:1], v[0:1], v[4:5]
	v_add_f64_e32 v[48:49], v[0:1], v[6:7]
.LBB176_66:                             ;   in Loop: Header=BB176_4 Depth=1
	s_or_b32 exec_lo, exec_lo, s30
	s_mul_u64 s[96:97], s[38:39], s[28:29]
	s_and_not1_b32 vcc_lo, exec_lo, s101
	s_lshl_b64 s[96:97], s[96:97], 3
	s_delay_alu instid0(SALU_CYCLE_1)
	s_add_nc_u64 s[96:97], s[44:45], s[96:97]
	s_barrier_signal -1
	s_barrier_wait -1
	s_cbranch_vccnz .LBB176_73
; %bb.67:                               ;   in Loop: Header=BB176_4 Depth=1
	v_lshl_add_u64 v[0:1], s[56:57], 3, v[18:19]
	v_dual_mov_b32 v3, v35 :: v_dual_lshlrev_b32 v2, 3, v32
	v_lshl_add_u64 v[50:51], s[54:55], 3, v[16:17]
	s_mov_b32 s30, 0
	s_delay_alu instid0(VALU_DEP_3) | instskip(SKIP_1) | instid1(VALU_DEP_1)
	v_lshl_add_u64 v[0:1], v[44:45], 3, v[0:1]
	s_mov_b32 s29, s98
	v_lshl_add_u64 v[0:1], v[46:47], 3, v[0:1]
	s_delay_alu instid0(VALU_DEP_1) | instskip(SKIP_1) | instid1(VALU_DEP_1)
	v_add_nc_u64_e32 v[2:3], v[0:1], v[2:3]
	v_lshl_add_u64 v[0:1], s[40:41], 3, v[0:1]
	v_add_nc_u64_e32 v[0:1], s[90:91], v[0:1]
	s_delay_alu instid0(VALU_DEP_3) | instskip(NEXT) | instid1(VALU_DEP_1)
	v_add_nc_u64_e32 v[2:3], s[92:93], v[2:3]
	v_dual_cndmask_b32 v53, v3, v1, s17 :: v_dual_cndmask_b32 v52, v2, v0, s17
	s_branch .LBB176_69
.LBB176_68:                             ;   in Loop: Header=BB176_69 Depth=2
	s_wait_xcnt 0x0
	s_or_b32 exec_lo, exec_lo, s103
	v_fmac_f64_e32 v[48:49], v[60:61], v[0:1]
	v_add_nc_u64_e32 v[52:53], s[64:65], v[52:53]
	s_add_co_i32 s29, s29, -1
	s_add_co_i32 s30, s30, 64
	s_cmp_eq_u32 s29, 0
	s_wait_storecnt 0x0
	s_barrier_signal -1
	s_barrier_wait -1
	s_delay_alu instid0(VALU_DEP_2) | instskip(NEXT) | instid1(VALU_DEP_1)
	v_fmac_f64_e32 v[48:49], v[58:59], v[2:3]
	v_fmac_f64_e32 v[48:49], v[56:57], v[4:5]
	s_delay_alu instid0(VALU_DEP_1) | instskip(NEXT) | instid1(VALU_DEP_1)
	v_fmac_f64_e32 v[48:49], v[54:55], v[6:7]
	v_fmac_f64_e32 v[48:49], v[68:69], v[8:9]
	s_delay_alu instid0(VALU_DEP_1) | instskip(NEXT) | instid1(VALU_DEP_1)
	;; [unrolled: 3-line block ×6, first 2 shown]
	v_fmac_f64_e32 v[48:49], v[78:79], v[26:27]
	v_fmac_f64_e32 v[48:49], v[84:85], v[28:29]
	s_delay_alu instid0(VALU_DEP_1)
	v_fmac_f64_e32 v[48:49], v[82:83], v[30:31]
	s_cbranch_scc1 .LBB176_73
.LBB176_69:                             ;   Parent Loop BB176_4 Depth=1
                                        ; =>  This Inner Loop Header: Depth=2
	s_and_saveexec_b32 s103, s0
	s_cbranch_execz .LBB176_71
; %bb.70:                               ;   in Loop: Header=BB176_69 Depth=2
	s_mul_u64 vcc, s[34:35], s[30:31]
	s_delay_alu instid0(SALU_CYCLE_1)
	v_lshl_add_u64 v[0:1], vcc, 3, v[50:51]
	flat_load_b64 v[0:1], v[0:1]
	s_wait_loadcnt_dscnt 0x0
	ds_store_b64 v93, v[0:1]
.LBB176_71:                             ;   in Loop: Header=BB176_69 Depth=2
	s_wait_xcnt 0x0
	s_or_b32 exec_lo, exec_lo, s103
	v_add_nc_u64_e32 v[0:1], s[60:61], v[52:53]
	v_add_nc_u64_e32 v[2:3], s[62:63], v[52:53]
	;; [unrolled: 1-line block ×3, first 2 shown]
	s_wait_dscnt 0x0
	s_barrier_signal -1
	s_barrier_wait -1
	s_clause 0x3
	flat_load_b64 v[60:61], v[52:53]
	flat_load_b64 v[58:59], v[0:1]
	;; [unrolled: 1-line block ×4, first 2 shown]
	s_wait_xcnt 0x0
	ds_load_b64 v[4:5], v86
	ds_load_b128 v[0:3], v94
	v_add_nc_u64_e32 v[16:17], s[48:49], v[52:53]
	v_add_nc_u64_e32 v[18:19], s[88:89], v[52:53]
	;; [unrolled: 1-line block ×12, first 2 shown]
	s_wait_loadcnt_dscnt 0x301
	v_mul_f64_e32 v[8:9], v[60:61], v[4:5]
	s_wait_loadcnt 0x2
	v_mul_f64_e32 v[10:11], v[58:59], v[4:5]
	s_wait_loadcnt 0x1
	;; [unrolled: 2-line block ×3, first 2 shown]
	v_mul_f64_e32 v[14:15], v[54:55], v[4:5]
	ds_load_b128 v[4:7], v94 offset:16
	ds_store_2addr_b64 v95, v[8:9], v[10:11] offset1:67
	ds_store_2addr_b64 v95, v[12:13], v[14:15] offset0:134 offset1:201
	s_wait_dscnt 0x0
	s_barrier_signal -1
	s_barrier_wait -1
	ds_load_2addr_b64 v[106:109], v96 offset1:1
	ds_load_2addr_b64 v[110:113], v96 offset0:2 offset1:3
	s_wait_dscnt 0x0
	s_barrier_signal -1
	s_barrier_wait -1
	s_clause 0x3
	flat_load_b64 v[68:69], v[16:17]
	flat_load_b64 v[66:67], v[18:19]
	;; [unrolled: 1-line block ×4, first 2 shown]
	ds_load_b64 v[12:13], v86
	ds_load_b128 v[8:11], v94 offset:128
	v_add_f64_e32 v[106:107], 0, v[106:107]
	s_delay_alu instid0(VALU_DEP_1) | instskip(NEXT) | instid1(VALU_DEP_1)
	v_add_f64_e32 v[106:107], v[106:107], v[108:109]
	v_add_f64_e32 v[106:107], v[106:107], v[110:111]
	s_delay_alu instid0(VALU_DEP_1)
	v_add_f64_e32 v[106:107], v[106:107], v[112:113]
	s_wait_loadcnt_dscnt 0x301
	s_wait_xcnt 0x3
	v_mul_f64_e32 v[16:17], v[68:69], v[12:13]
	s_wait_loadcnt 0x2
	s_wait_xcnt 0x2
	v_mul_f64_e32 v[18:19], v[66:67], v[12:13]
	s_wait_loadcnt 0x1
	;; [unrolled: 3-line block ×3, first 2 shown]
	s_wait_xcnt 0x0
	v_mul_f64_e32 v[22:23], v[62:63], v[12:13]
	ds_load_b128 v[12:15], v94 offset:144
	ds_store_2addr_b64 v95, v[16:17], v[18:19] offset1:67
	ds_store_2addr_b64 v95, v[20:21], v[22:23] offset0:134 offset1:201
	s_wait_dscnt 0x0
	s_barrier_signal -1
	s_barrier_wait -1
	ds_load_2addr_b64 v[114:117], v96 offset1:1
	ds_load_2addr_b64 v[118:121], v96 offset0:2 offset1:3
	s_wait_dscnt 0x0
	s_barrier_signal -1
	s_barrier_wait -1
	s_clause 0x3
	flat_load_b64 v[76:77], v[24:25]
	flat_load_b64 v[74:75], v[26:27]
	;; [unrolled: 1-line block ×4, first 2 shown]
	ds_load_b64 v[20:21], v86
	ds_load_b128 v[16:19], v94 offset:256
	v_add_f64_e32 v[114:115], 0, v[114:115]
	s_delay_alu instid0(VALU_DEP_1) | instskip(NEXT) | instid1(VALU_DEP_1)
	v_add_f64_e32 v[108:109], v[114:115], v[116:117]
	v_add_f64_e32 v[108:109], v[108:109], v[118:119]
	s_delay_alu instid0(VALU_DEP_1)
	v_add_f64_e32 v[108:109], v[108:109], v[120:121]
	s_wait_loadcnt_dscnt 0x301
	s_wait_xcnt 0x3
	v_mul_f64_e32 v[24:25], v[76:77], v[20:21]
	s_wait_loadcnt 0x2
	s_wait_xcnt 0x2
	v_mul_f64_e32 v[26:27], v[74:75], v[20:21]
	s_wait_loadcnt 0x1
	;; [unrolled: 3-line block ×3, first 2 shown]
	s_wait_xcnt 0x0
	v_mul_f64_e32 v[30:31], v[70:71], v[20:21]
	ds_load_b128 v[20:23], v94 offset:272
	ds_store_2addr_b64 v95, v[24:25], v[26:27] offset1:67
	ds_store_2addr_b64 v95, v[28:29], v[30:31] offset0:134 offset1:201
	s_wait_dscnt 0x0
	s_barrier_signal -1
	s_barrier_wait -1
	ds_load_2addr_b64 v[122:125], v96 offset1:1
	ds_load_2addr_b64 v[126:129], v96 offset0:2 offset1:3
	s_wait_dscnt 0x0
	s_barrier_signal -1
	s_barrier_wait -1
	s_clause 0x3
	flat_load_b64 v[80:81], v[78:79]
	flat_load_b64 v[78:79], v[82:83]
	;; [unrolled: 1-line block ×4, first 2 shown]
	ds_load_b64 v[28:29], v86
	ds_load_b128 v[24:27], v94 offset:384
	v_add_f64_e32 v[122:123], 0, v[122:123]
	s_delay_alu instid0(VALU_DEP_1) | instskip(NEXT) | instid1(VALU_DEP_1)
	v_add_f64_e32 v[114:115], v[122:123], v[124:125]
	v_add_f64_e32 v[110:111], v[114:115], v[126:127]
	s_delay_alu instid0(VALU_DEP_1)
	v_add_f64_e32 v[110:111], v[110:111], v[128:129]
	s_wait_loadcnt_dscnt 0x301
	s_wait_xcnt 0x0
	v_mul_f64_e32 v[130:131], v[80:81], v[28:29]
	s_wait_loadcnt 0x2
	v_mul_f64_e32 v[132:133], v[78:79], v[28:29]
	s_wait_loadcnt 0x1
	;; [unrolled: 2-line block ×3, first 2 shown]
	v_mul_f64_e32 v[136:137], v[82:83], v[28:29]
	ds_load_b128 v[28:31], v94 offset:400
	ds_store_2addr_b64 v95, v[130:131], v[132:133] offset1:67
	ds_store_2addr_b64 v95, v[134:135], v[136:137] offset0:134 offset1:201
	s_wait_dscnt 0x0
	s_barrier_signal -1
	s_barrier_wait -1
	ds_load_2addr_b64 v[130:133], v96 offset1:1
	ds_load_2addr_b64 v[134:137], v96 offset0:2 offset1:3
	s_wait_dscnt 0x0
	s_barrier_signal -1
	s_barrier_wait -1
	v_add_f64_e32 v[130:131], 0, v[130:131]
	s_delay_alu instid0(VALU_DEP_1) | instskip(NEXT) | instid1(VALU_DEP_1)
	v_add_f64_e32 v[116:117], v[130:131], v[132:133]
	v_add_f64_e32 v[114:115], v[116:117], v[134:135]
	s_delay_alu instid0(VALU_DEP_1)
	v_add_f64_e32 v[112:113], v[114:115], v[136:137]
	ds_store_2addr_b64 v105, v[106:107], v[108:109] offset1:16
	ds_store_2addr_b64 v105, v[110:111], v[112:113] offset0:32 offset1:48
	s_wait_dscnt 0x0
	s_barrier_signal -1
	s_barrier_wait -1
	s_and_saveexec_b32 s103, s18
	s_cbranch_execz .LBB176_68
; %bb.72:                               ;   in Loop: Header=BB176_69 Depth=2
	ds_load_2addr_b64 v[106:109], v97 offset1:1
	ds_load_2addr_b64 v[110:113], v97 offset0:2 offset1:3
	s_wait_dscnt 0x1
	v_add_f64_e32 v[106:107], v[106:107], v[108:109]
	s_wait_dscnt 0x0
	s_delay_alu instid0(VALU_DEP_1) | instskip(NEXT) | instid1(VALU_DEP_1)
	v_add_f64_e32 v[106:107], v[106:107], v[110:111]
	v_add_f64_e32 v[114:115], v[106:107], v[112:113]
	ds_load_2addr_b64 v[106:109], v97 offset0:4 offset1:5
	ds_load_2addr_b64 v[110:113], v97 offset0:6 offset1:7
	s_wait_dscnt 0x1
	v_add_f64_e32 v[106:107], v[114:115], v[106:107]
	s_delay_alu instid0(VALU_DEP_1) | instskip(SKIP_1) | instid1(VALU_DEP_1)
	v_add_f64_e32 v[106:107], v[106:107], v[108:109]
	s_wait_dscnt 0x0
	v_add_f64_e32 v[106:107], v[106:107], v[110:111]
	s_delay_alu instid0(VALU_DEP_1) | instskip(SKIP_4) | instid1(VALU_DEP_1)
	v_add_f64_e32 v[114:115], v[106:107], v[112:113]
	ds_load_2addr_b64 v[106:109], v97 offset0:8 offset1:9
	ds_load_2addr_b64 v[110:113], v97 offset0:10 offset1:11
	s_wait_dscnt 0x1
	v_add_f64_e32 v[106:107], v[114:115], v[106:107]
	v_add_f64_e32 v[106:107], v[106:107], v[108:109]
	s_wait_dscnt 0x0
	s_delay_alu instid0(VALU_DEP_1) | instskip(NEXT) | instid1(VALU_DEP_1)
	v_add_f64_e32 v[106:107], v[106:107], v[110:111]
	v_add_f64_e32 v[110:111], v[106:107], v[112:113]
	ds_load_2addr_b64 v[106:109], v97 offset0:12 offset1:13
	ds_load_b64 v[112:113], v97 offset:112
	s_wait_dscnt 0x1
	v_add_f64_e32 v[106:107], v[110:111], v[106:107]
	s_delay_alu instid0(VALU_DEP_1) | instskip(SKIP_4) | instid1(VALU_DEP_1)
	v_add_f64_e32 v[106:107], v[106:107], v[108:109]
	ds_load_b64 v[108:109], v98
	s_wait_dscnt 0x1
	v_add_f64_e32 v[106:107], v[106:107], v[112:113]
	s_wait_dscnt 0x0
	v_add_f64_e32 v[106:107], v[106:107], v[108:109]
	v_add_nc_u32_e32 v108, s30, v32
	global_store_b64 v108, v[106:107], s[96:97] scale_offset
	s_branch .LBB176_68
.LBB176_73:                             ;   in Loop: Header=BB176_4 Depth=1
	ds_store_b64 v99, v[48:49]
	s_wait_dscnt 0x0
	s_barrier_signal -1
	s_barrier_wait -1
	s_and_saveexec_b32 s29, s102
	s_cbranch_execz .LBB176_2
; %bb.74:                               ;   in Loop: Header=BB176_4 Depth=1
	ds_load_2addr_b64 v[0:3], v33 offset1:67
	s_wait_dscnt 0x0
	v_add_f64_e32 v[4:5], v[0:1], v[2:3]
	ds_load_2addr_b64 v[0:3], v33 offset0:134 offset1:201
	s_wait_dscnt 0x0
	v_add_f64_e32 v[0:1], v[4:5], v[0:1]
	s_delay_alu instid0(VALU_DEP_1)
	v_add_f64_e32 v[0:1], v[0:1], v[2:3]
	v_lshl_add_u64 v[2:3], v[40:41], 3, s[96:97]
	global_store_b64 v[2:3], v[0:1], off
	s_branch .LBB176_2
.LBB176_75:                             ;   in Loop: Header=BB176_4 Depth=1
	ds_load_b64 v[2:3], v102
	s_wait_dscnt 0x0
	ds_store_b64 v89, v[2:3]
	s_or_b32 exec_lo, exec_lo, s30
	s_and_saveexec_b32 s30, s7
	s_cbranch_execz .LBB176_26
.LBB176_76:                             ;   in Loop: Header=BB176_4 Depth=1
	ds_load_b64 v[2:3], v103
	s_wait_dscnt 0x0
	ds_store_b64 v89, v[2:3] offset:8
	s_or_b32 exec_lo, exec_lo, s30
	s_and_saveexec_b32 s30, s8
	s_cbranch_execz .LBB176_27
.LBB176_77:                             ;   in Loop: Header=BB176_4 Depth=1
	ds_load_b64 v[2:3], v103 offset:264
	s_wait_dscnt 0x0
	ds_store_b64 v89, v[2:3] offset:16
	s_or_b32 exec_lo, exec_lo, s30
	s_and_saveexec_b32 s30, s9
	s_cbranch_execnz .LBB176_28
	s_branch .LBB176_29
.LBB176_78:                             ;   in Loop: Header=BB176_4 Depth=1
	ds_load_b64 v[2:3], v102
	s_wait_dscnt 0x0
	ds_store_b64 v89, v[2:3]
	s_or_b32 exec_lo, exec_lo, s30
	s_and_saveexec_b32 s30, s7
	s_cbranch_execz .LBB176_45
.LBB176_79:                             ;   in Loop: Header=BB176_4 Depth=1
	ds_load_b64 v[2:3], v103
	s_wait_dscnt 0x0
	ds_store_b64 v89, v[2:3] offset:8
	s_or_b32 exec_lo, exec_lo, s30
	s_and_saveexec_b32 s30, s8
	s_cbranch_execz .LBB176_46
.LBB176_80:                             ;   in Loop: Header=BB176_4 Depth=1
	ds_load_b64 v[2:3], v103 offset:264
	s_wait_dscnt 0x0
	ds_store_b64 v89, v[2:3] offset:16
	s_or_b32 exec_lo, exec_lo, s30
	s_and_saveexec_b32 s30, s9
	s_cbranch_execnz .LBB176_47
	s_branch .LBB176_48
.LBB176_81:
	s_sendmsg sendmsg(MSG_DEALLOC_VGPRS)
	s_endpgm
	.section	.rodata,"a",@progbits
	.p2align	6, 0x0
	.amdhsa_kernel _ZL26rocblas_hemvn_kernel_lowerILb0ELi64ELi4ELi33ELi32ELi16EldPKPKdPdEviT6_lT7_lT5_lS6_lS7_lS5_lT8_i
		.amdhsa_group_segment_fixed_size 9600
		.amdhsa_private_segment_fixed_size 0
		.amdhsa_kernarg_size 376
		.amdhsa_user_sgpr_count 2
		.amdhsa_user_sgpr_dispatch_ptr 0
		.amdhsa_user_sgpr_queue_ptr 0
		.amdhsa_user_sgpr_kernarg_segment_ptr 1
		.amdhsa_user_sgpr_dispatch_id 0
		.amdhsa_user_sgpr_kernarg_preload_length 0
		.amdhsa_user_sgpr_kernarg_preload_offset 0
		.amdhsa_user_sgpr_private_segment_size 0
		.amdhsa_wavefront_size32 1
		.amdhsa_uses_dynamic_stack 0
		.amdhsa_enable_private_segment 0
		.amdhsa_system_sgpr_workgroup_id_x 1
		.amdhsa_system_sgpr_workgroup_id_y 0
		.amdhsa_system_sgpr_workgroup_id_z 1
		.amdhsa_system_sgpr_workgroup_info 0
		.amdhsa_system_vgpr_workitem_id 1
		.amdhsa_next_free_vgpr 138
		.amdhsa_next_free_sgpr 104
		.amdhsa_named_barrier_count 0
		.amdhsa_reserve_vcc 1
		.amdhsa_float_round_mode_32 0
		.amdhsa_float_round_mode_16_64 0
		.amdhsa_float_denorm_mode_32 3
		.amdhsa_float_denorm_mode_16_64 3
		.amdhsa_fp16_overflow 0
		.amdhsa_memory_ordered 1
		.amdhsa_forward_progress 1
		.amdhsa_inst_pref_size 43
		.amdhsa_round_robin_scheduling 0
		.amdhsa_exception_fp_ieee_invalid_op 0
		.amdhsa_exception_fp_denorm_src 0
		.amdhsa_exception_fp_ieee_div_zero 0
		.amdhsa_exception_fp_ieee_overflow 0
		.amdhsa_exception_fp_ieee_underflow 0
		.amdhsa_exception_fp_ieee_inexact 0
		.amdhsa_exception_int_div_zero 0
	.end_amdhsa_kernel
	.section	.text._ZL26rocblas_hemvn_kernel_lowerILb0ELi64ELi4ELi33ELi32ELi16EldPKPKdPdEviT6_lT7_lT5_lS6_lS7_lS5_lT8_i,"axG",@progbits,_ZL26rocblas_hemvn_kernel_lowerILb0ELi64ELi4ELi33ELi32ELi16EldPKPKdPdEviT6_lT7_lT5_lS6_lS7_lS5_lT8_i,comdat
.Lfunc_end176:
	.size	_ZL26rocblas_hemvn_kernel_lowerILb0ELi64ELi4ELi33ELi32ELi16EldPKPKdPdEviT6_lT7_lT5_lS6_lS7_lS5_lT8_i, .Lfunc_end176-_ZL26rocblas_hemvn_kernel_lowerILb0ELi64ELi4ELi33ELi32ELi16EldPKPKdPdEviT6_lT7_lT5_lS6_lS7_lS5_lT8_i
                                        ; -- End function
	.set _ZL26rocblas_hemvn_kernel_lowerILb0ELi64ELi4ELi33ELi32ELi16EldPKPKdPdEviT6_lT7_lT5_lS6_lS7_lS5_lT8_i.num_vgpr, 138
	.set _ZL26rocblas_hemvn_kernel_lowerILb0ELi64ELi4ELi33ELi32ELi16EldPKPKdPdEviT6_lT7_lT5_lS6_lS7_lS5_lT8_i.num_agpr, 0
	.set _ZL26rocblas_hemvn_kernel_lowerILb0ELi64ELi4ELi33ELi32ELi16EldPKPKdPdEviT6_lT7_lT5_lS6_lS7_lS5_lT8_i.numbered_sgpr, 104
	.set _ZL26rocblas_hemvn_kernel_lowerILb0ELi64ELi4ELi33ELi32ELi16EldPKPKdPdEviT6_lT7_lT5_lS6_lS7_lS5_lT8_i.num_named_barrier, 0
	.set _ZL26rocblas_hemvn_kernel_lowerILb0ELi64ELi4ELi33ELi32ELi16EldPKPKdPdEviT6_lT7_lT5_lS6_lS7_lS5_lT8_i.private_seg_size, 0
	.set _ZL26rocblas_hemvn_kernel_lowerILb0ELi64ELi4ELi33ELi32ELi16EldPKPKdPdEviT6_lT7_lT5_lS6_lS7_lS5_lT8_i.uses_vcc, 1
	.set _ZL26rocblas_hemvn_kernel_lowerILb0ELi64ELi4ELi33ELi32ELi16EldPKPKdPdEviT6_lT7_lT5_lS6_lS7_lS5_lT8_i.uses_flat_scratch, 1
	.set _ZL26rocblas_hemvn_kernel_lowerILb0ELi64ELi4ELi33ELi32ELi16EldPKPKdPdEviT6_lT7_lT5_lS6_lS7_lS5_lT8_i.has_dyn_sized_stack, 0
	.set _ZL26rocblas_hemvn_kernel_lowerILb0ELi64ELi4ELi33ELi32ELi16EldPKPKdPdEviT6_lT7_lT5_lS6_lS7_lS5_lT8_i.has_recursion, 0
	.set _ZL26rocblas_hemvn_kernel_lowerILb0ELi64ELi4ELi33ELi32ELi16EldPKPKdPdEviT6_lT7_lT5_lS6_lS7_lS5_lT8_i.has_indirect_call, 0
	.section	.AMDGPU.csdata,"",@progbits
; Kernel info:
; codeLenInByte = 5412
; TotalNumSgprs: 106
; NumVgprs: 138
; ScratchSize: 0
; MemoryBound: 0
; FloatMode: 240
; IeeeMode: 1
; LDSByteSize: 9600 bytes/workgroup (compile time only)
; SGPRBlocks: 0
; VGPRBlocks: 8
; NumSGPRsForWavesPerEU: 106
; NumVGPRsForWavesPerEU: 138
; NamedBarCnt: 0
; Occupancy: 7
; WaveLimiterHint : 1
; COMPUTE_PGM_RSRC2:SCRATCH_EN: 0
; COMPUTE_PGM_RSRC2:USER_SGPR: 2
; COMPUTE_PGM_RSRC2:TRAP_HANDLER: 0
; COMPUTE_PGM_RSRC2:TGID_X_EN: 1
; COMPUTE_PGM_RSRC2:TGID_Y_EN: 0
; COMPUTE_PGM_RSRC2:TGID_Z_EN: 1
; COMPUTE_PGM_RSRC2:TIDIG_COMP_CNT: 1
	.section	.text._ZL36rocblas_hemvn_kernel_lower_block_sumILi64EldPKPddEviT1_lS3_lT2_lT0_lPT3_i,"axG",@progbits,_ZL36rocblas_hemvn_kernel_lower_block_sumILi64EldPKPddEviT1_lS3_lT2_lT0_lPT3_i,comdat
	.globl	_ZL36rocblas_hemvn_kernel_lower_block_sumILi64EldPKPddEviT1_lS3_lT2_lT0_lPT3_i ; -- Begin function _ZL36rocblas_hemvn_kernel_lower_block_sumILi64EldPKPddEviT1_lS3_lT2_lT0_lPT3_i
	.p2align	8
	.type	_ZL36rocblas_hemvn_kernel_lower_block_sumILi64EldPKPddEviT1_lS3_lT2_lT0_lPT3_i,@function
_ZL36rocblas_hemvn_kernel_lower_block_sumILi64EldPKPddEviT1_lS3_lT2_lT0_lPT3_i: ; @_ZL36rocblas_hemvn_kernel_lower_block_sumILi64EldPKPddEviT1_lS3_lT2_lT0_lPT3_i
; %bb.0:
	s_load_b32 s3, s[0:1], 0x50
	s_bfe_u32 s2, ttmp6, 0x40014
	s_lshr_b32 s4, ttmp7, 16
	s_add_co_i32 s2, s2, 1
	s_bfe_u32 s6, ttmp6, 0x40008
	s_mul_i32 s5, s4, s2
	s_getreg_b32 s2, hwreg(HW_REG_IB_STS2, 6, 4)
	s_add_co_i32 s6, s6, s5
	s_cmp_eq_u32 s2, 0
	s_mov_b32 s5, 0
	s_cselect_b32 s4, s4, s6
	s_wait_kmcnt 0x0
	s_cmp_ge_u32 s4, s3
	s_cbranch_scc1 .LBB177_25
; %bb.1:
	s_clause 0x2
	s_load_b64 s[6:7], s[0:1], 0x8
	s_load_b64 s[8:9], s[0:1], 0x18
	s_load_b32 s12, s[0:1], 0x0
	s_bfe_u32 s13, ttmp6, 0x4000c
	s_and_b32 s14, ttmp6, 15
	s_add_co_i32 s13, s13, 1
	s_load_b128 s[16:19], s[0:1], 0x30
	s_mul_i32 s13, ttmp9, s13
	s_delay_alu instid0(SALU_CYCLE_1)
	s_add_co_i32 s14, s14, s13
	s_wait_kmcnt 0x0
	v_cmp_neq_f64_e64 s10, s[6:7], 0
	v_cmp_neq_f64_e64 s11, s[8:9], 1.0
	v_cmp_eq_f64_e64 s22, s[8:9], 0
	v_cmp_eq_f64_e64 s23, s[6:7], 0
	v_cmp_neq_f64_e64 s24, s[8:9], 0
	s_or_b32 s20, s10, s11
	s_cmp_eq_u32 s2, 0
	s_load_b64 s[10:11], s[0:1], 0x28
	s_cselect_b32 s21, ttmp9, s14
	s_load_b64 s[14:15], s[0:1], 0x48
	v_lshl_or_b32 v2, s21, 6, v0
	s_ashr_i32 s13, s12, 31
	s_wait_xcnt 0x0
	s_add_nc_u64 s[0:1], s[0:1], 0x58
	s_delay_alu instid0(VALU_DEP_1)
	v_mad_u32 v4, s12, s21, v2
	v_ashrrev_i32_e32 v3, 31, v2
	v_cmp_gt_i32_e64 s2, s12, v2
	s_lshl_b64 s[12:13], s[12:13], 3
	v_ashrrev_i32_e32 v5, 31, v4
	v_mul_u64_e32 v[0:1], s[18:19], v[2:3]
	s_wait_kmcnt 0x0
	s_delay_alu instid0(VALU_DEP_2)
	v_lshl_add_u64 v[2:3], v[4:5], 3, s[14:15]
	s_lshl_b64 s[14:15], s[16:17], 3
	s_branch .LBB177_4
.LBB177_2:                              ;   in Loop: Header=BB177_4 Depth=1
	s_wait_xcnt 0x0
	s_or_b32 exec_lo, exec_lo, s18
.LBB177_3:                              ;   in Loop: Header=BB177_4 Depth=1
	s_add_co_i32 s4, s4, 0x10000
	s_delay_alu instid0(SALU_CYCLE_1)
	s_cmp_lt_u32 s4, s3
	s_cbranch_scc0 .LBB177_25
.LBB177_4:                              ; =>This Loop Header: Depth=1
                                        ;     Child Loop BB177_16 Depth 2
	s_and_not1_b32 vcc_lo, exec_lo, s20
	s_cbranch_vccnz .LBB177_3
; %bb.5:                                ;   in Loop: Header=BB177_4 Depth=1
	s_lshl_b64 s[16:17], s[4:5], 3
	s_and_not1_b32 vcc_lo, exec_lo, s23
	s_add_nc_u64 s[16:17], s[10:11], s[16:17]
	s_load_b64 s[16:17], s[16:17], 0x0
	s_wait_kmcnt 0x0
	s_wait_xcnt 0x0
	s_add_nc_u64 s[16:17], s[16:17], s[14:15]
	s_cbranch_vccnz .LBB177_9
; %bb.6:                                ;   in Loop: Header=BB177_4 Depth=1
	s_mov_b32 s18, 0
	s_mov_b32 s25, 0
                                        ; implicit-def: $vgpr4_vgpr5
	s_and_saveexec_b32 s19, s2
	s_cbranch_execz .LBB177_10
; %bb.7:                                ;   in Loop: Header=BB177_4 Depth=1
	s_and_not1_b32 vcc_lo, exec_lo, s24
	s_cbranch_vccnz .LBB177_11
; %bb.8:                                ;   in Loop: Header=BB177_4 Depth=1
	s_delay_alu instid0(VALU_DEP_2)
	v_lshl_add_u64 v[4:5], v[0:1], 3, s[16:17]
	flat_load_b64 v[4:5], v[4:5]
	s_wait_loadcnt_dscnt 0x0
	s_wait_xcnt 0x0
	v_mul_f64_e32 v[4:5], s[8:9], v[4:5]
	s_branch .LBB177_12
.LBB177_9:                              ;   in Loop: Header=BB177_4 Depth=1
	s_mov_b32 s25, 0
                                        ; implicit-def: $vgpr4_vgpr5
	s_cbranch_execnz .LBB177_13
	s_branch .LBB177_23
.LBB177_10:                             ;   in Loop: Header=BB177_4 Depth=1
	s_or_b32 exec_lo, exec_lo, s19
	s_delay_alu instid0(SALU_CYCLE_1)
	s_and_b32 vcc_lo, exec_lo, s18
	s_cbranch_vccnz .LBB177_13
	s_branch .LBB177_23
.LBB177_11:                             ;   in Loop: Header=BB177_4 Depth=1
	v_mov_b64_e32 v[4:5], 0
.LBB177_12:                             ;   in Loop: Header=BB177_4 Depth=1
	s_mov_b32 s25, exec_lo
	s_or_b32 exec_lo, exec_lo, s19
	s_delay_alu instid0(SALU_CYCLE_1)
	s_and_b32 vcc_lo, exec_lo, s18
	s_cbranch_vccz .LBB177_23
.LBB177_13:                             ;   in Loop: Header=BB177_4 Depth=1
                                        ; implicit-def: $vgpr4_vgpr5
	s_and_saveexec_b32 s26, s2
	s_cbranch_execz .LBB177_22
; %bb.14:                               ;   in Loop: Header=BB177_4 Depth=1
	s_load_b32 s18, s[0:1], 0x0
	v_mov_b64_e32 v[6:7], 0
	s_wait_kmcnt 0x0
	s_cmp_ge_i32 s21, s18
	s_cbranch_scc1 .LBB177_17
; %bb.15:                               ;   in Loop: Header=BB177_4 Depth=1
	s_mov_b32 s19, s5
	v_mov_b64_e32 v[6:7], 0
	s_mul_u64 s[28:29], s[12:13], s[18:19]
	s_mov_b32 s19, s21
	v_mad_nc_u64_u32 v[4:5], s28, s4, v[2:3]
	s_delay_alu instid0(VALU_DEP_1)
	v_mad_u32 v5, s29, s4, v5
.LBB177_16:                             ;   Parent Loop BB177_4 Depth=1
                                        ; =>  This Inner Loop Header: Depth=2
	global_load_b64 v[8:9], v[4:5], off
	s_wait_xcnt 0x0
	v_add_nc_u64_e32 v[4:5], s[12:13], v[4:5]
	s_add_co_i32 s19, s19, 1
	s_delay_alu instid0(SALU_CYCLE_1)
	s_cmp_ge_i32 s19, s18
	s_wait_loadcnt 0x0
	v_add_f64_e32 v[6:7], v[6:7], v[8:9]
	s_cbranch_scc0 .LBB177_16
.LBB177_17:                             ;   in Loop: Header=BB177_4 Depth=1
	s_and_b32 vcc_lo, exec_lo, s22
	s_mov_b32 s18, -1
                                        ; implicit-def: $vgpr4_vgpr5
	s_cbranch_vccz .LBB177_19
; %bb.18:                               ;   in Loop: Header=BB177_4 Depth=1
	s_delay_alu instid0(VALU_DEP_1)
	v_mul_f64_e32 v[4:5], s[6:7], v[6:7]
	s_mov_b32 s18, 0
.LBB177_19:                             ;   in Loop: Header=BB177_4 Depth=1
	s_delay_alu instid0(SALU_CYCLE_1)
	s_and_not1_b32 vcc_lo, exec_lo, s18
	s_cbranch_vccnz .LBB177_21
; %bb.20:                               ;   in Loop: Header=BB177_4 Depth=1
	s_delay_alu instid0(VALU_DEP_3) | instskip(SKIP_4) | instid1(VALU_DEP_1)
	v_lshl_add_u64 v[4:5], v[0:1], 3, s[16:17]
	flat_load_b64 v[4:5], v[4:5]
	s_wait_loadcnt_dscnt 0x0
	s_wait_xcnt 0x0
	v_mul_f64_e32 v[4:5], s[8:9], v[4:5]
	v_fmac_f64_e32 v[4:5], s[6:7], v[6:7]
.LBB177_21:                             ;   in Loop: Header=BB177_4 Depth=1
	s_or_b32 s25, s25, exec_lo
.LBB177_22:                             ;   in Loop: Header=BB177_4 Depth=1
	s_or_b32 exec_lo, exec_lo, s26
.LBB177_23:                             ;   in Loop: Header=BB177_4 Depth=1
	s_and_saveexec_b32 s18, s25
	s_cbranch_execz .LBB177_2
; %bb.24:                               ;   in Loop: Header=BB177_4 Depth=1
	s_delay_alu instid0(VALU_DEP_2)
	v_lshl_add_u64 v[6:7], v[0:1], 3, s[16:17]
	flat_store_b64 v[6:7], v[4:5]
	s_branch .LBB177_2
.LBB177_25:
	s_endpgm
	.section	.rodata,"a",@progbits
	.p2align	6, 0x0
	.amdhsa_kernel _ZL36rocblas_hemvn_kernel_lower_block_sumILi64EldPKPddEviT1_lS3_lT2_lT0_lPT3_i
		.amdhsa_group_segment_fixed_size 0
		.amdhsa_private_segment_fixed_size 0
		.amdhsa_kernarg_size 344
		.amdhsa_user_sgpr_count 2
		.amdhsa_user_sgpr_dispatch_ptr 0
		.amdhsa_user_sgpr_queue_ptr 0
		.amdhsa_user_sgpr_kernarg_segment_ptr 1
		.amdhsa_user_sgpr_dispatch_id 0
		.amdhsa_user_sgpr_kernarg_preload_length 0
		.amdhsa_user_sgpr_kernarg_preload_offset 0
		.amdhsa_user_sgpr_private_segment_size 0
		.amdhsa_wavefront_size32 1
		.amdhsa_uses_dynamic_stack 0
		.amdhsa_enable_private_segment 0
		.amdhsa_system_sgpr_workgroup_id_x 1
		.amdhsa_system_sgpr_workgroup_id_y 0
		.amdhsa_system_sgpr_workgroup_id_z 1
		.amdhsa_system_sgpr_workgroup_info 0
		.amdhsa_system_vgpr_workitem_id 0
		.amdhsa_next_free_vgpr 10
		.amdhsa_next_free_sgpr 30
		.amdhsa_named_barrier_count 0
		.amdhsa_reserve_vcc 1
		.amdhsa_float_round_mode_32 0
		.amdhsa_float_round_mode_16_64 0
		.amdhsa_float_denorm_mode_32 3
		.amdhsa_float_denorm_mode_16_64 3
		.amdhsa_fp16_overflow 0
		.amdhsa_memory_ordered 1
		.amdhsa_forward_progress 1
		.amdhsa_inst_pref_size 6
		.amdhsa_round_robin_scheduling 0
		.amdhsa_exception_fp_ieee_invalid_op 0
		.amdhsa_exception_fp_denorm_src 0
		.amdhsa_exception_fp_ieee_div_zero 0
		.amdhsa_exception_fp_ieee_overflow 0
		.amdhsa_exception_fp_ieee_underflow 0
		.amdhsa_exception_fp_ieee_inexact 0
		.amdhsa_exception_int_div_zero 0
	.end_amdhsa_kernel
	.section	.text._ZL36rocblas_hemvn_kernel_lower_block_sumILi64EldPKPddEviT1_lS3_lT2_lT0_lPT3_i,"axG",@progbits,_ZL36rocblas_hemvn_kernel_lower_block_sumILi64EldPKPddEviT1_lS3_lT2_lT0_lPT3_i,comdat
.Lfunc_end177:
	.size	_ZL36rocblas_hemvn_kernel_lower_block_sumILi64EldPKPddEviT1_lS3_lT2_lT0_lPT3_i, .Lfunc_end177-_ZL36rocblas_hemvn_kernel_lower_block_sumILi64EldPKPddEviT1_lS3_lT2_lT0_lPT3_i
                                        ; -- End function
	.set _ZL36rocblas_hemvn_kernel_lower_block_sumILi64EldPKPddEviT1_lS3_lT2_lT0_lPT3_i.num_vgpr, 10
	.set _ZL36rocblas_hemvn_kernel_lower_block_sumILi64EldPKPddEviT1_lS3_lT2_lT0_lPT3_i.num_agpr, 0
	.set _ZL36rocblas_hemvn_kernel_lower_block_sumILi64EldPKPddEviT1_lS3_lT2_lT0_lPT3_i.numbered_sgpr, 30
	.set _ZL36rocblas_hemvn_kernel_lower_block_sumILi64EldPKPddEviT1_lS3_lT2_lT0_lPT3_i.num_named_barrier, 0
	.set _ZL36rocblas_hemvn_kernel_lower_block_sumILi64EldPKPddEviT1_lS3_lT2_lT0_lPT3_i.private_seg_size, 0
	.set _ZL36rocblas_hemvn_kernel_lower_block_sumILi64EldPKPddEviT1_lS3_lT2_lT0_lPT3_i.uses_vcc, 1
	.set _ZL36rocblas_hemvn_kernel_lower_block_sumILi64EldPKPddEviT1_lS3_lT2_lT0_lPT3_i.uses_flat_scratch, 0
	.set _ZL36rocblas_hemvn_kernel_lower_block_sumILi64EldPKPddEviT1_lS3_lT2_lT0_lPT3_i.has_dyn_sized_stack, 0
	.set _ZL36rocblas_hemvn_kernel_lower_block_sumILi64EldPKPddEviT1_lS3_lT2_lT0_lPT3_i.has_recursion, 0
	.set _ZL36rocblas_hemvn_kernel_lower_block_sumILi64EldPKPddEviT1_lS3_lT2_lT0_lPT3_i.has_indirect_call, 0
	.section	.AMDGPU.csdata,"",@progbits
; Kernel info:
; codeLenInByte = 716
; TotalNumSgprs: 32
; NumVgprs: 10
; ScratchSize: 0
; MemoryBound: 0
; FloatMode: 240
; IeeeMode: 1
; LDSByteSize: 0 bytes/workgroup (compile time only)
; SGPRBlocks: 0
; VGPRBlocks: 0
; NumSGPRsForWavesPerEU: 32
; NumVGPRsForWavesPerEU: 10
; NamedBarCnt: 0
; Occupancy: 16
; WaveLimiterHint : 1
; COMPUTE_PGM_RSRC2:SCRATCH_EN: 0
; COMPUTE_PGM_RSRC2:USER_SGPR: 2
; COMPUTE_PGM_RSRC2:TRAP_HANDLER: 0
; COMPUTE_PGM_RSRC2:TGID_X_EN: 1
; COMPUTE_PGM_RSRC2:TGID_Y_EN: 0
; COMPUTE_PGM_RSRC2:TGID_Z_EN: 1
; COMPUTE_PGM_RSRC2:TIDIG_COMP_CNT: 0
	.section	.text._ZL26rocblas_hemvn_kernel_lowerILb0ELi64ELi4ELi33ELi32ELi16EidPKPKdPdEviT6_lT7_lT5_lS6_lS7_lS5_lT8_i,"axG",@progbits,_ZL26rocblas_hemvn_kernel_lowerILb0ELi64ELi4ELi33ELi32ELi16EidPKPKdPdEviT6_lT7_lT5_lS6_lS7_lS5_lT8_i,comdat
	.globl	_ZL26rocblas_hemvn_kernel_lowerILb0ELi64ELi4ELi33ELi32ELi16EidPKPKdPdEviT6_lT7_lT5_lS6_lS7_lS5_lT8_i ; -- Begin function _ZL26rocblas_hemvn_kernel_lowerILb0ELi64ELi4ELi33ELi32ELi16EidPKPKdPdEviT6_lT7_lT5_lS6_lS7_lS5_lT8_i
	.p2align	8
	.type	_ZL26rocblas_hemvn_kernel_lowerILb0ELi64ELi4ELi33ELi32ELi16EidPKPKdPdEviT6_lT7_lT5_lS6_lS7_lS5_lT8_i,@function
_ZL26rocblas_hemvn_kernel_lowerILb0ELi64ELi4ELi33ELi32ELi16EidPKPKdPdEviT6_lT7_lT5_lS6_lS7_lS5_lT8_i: ; @_ZL26rocblas_hemvn_kernel_lowerILb0ELi64ELi4ELi33ELi32ELi16EidPKPKdPdEviT6_lT7_lT5_lS6_lS7_lS5_lT8_i
; %bb.0:
	s_clause 0x1
	s_load_b64 s[2:3], s[0:1], 0x84
	s_load_b32 s19, s[0:1], 0x70
	s_bfe_u32 s4, ttmp6, 0x40014
	s_lshr_b32 s5, ttmp7, 16
	s_add_co_i32 s4, s4, 1
	s_bfe_u32 s6, ttmp6, 0x40008
	s_mul_i32 s4, s5, s4
	s_getreg_b32 s8, hwreg(HW_REG_IB_STS2, 6, 4)
	s_add_co_i32 s6, s6, s4
	s_mov_b32 s29, 0
	s_wait_kmcnt 0x0
	s_lshr_b32 s4, s2, 16
	s_and_b32 s2, s2, 0xffff
	s_and_b32 s3, s3, 0xffff
	s_mul_i32 s2, s4, s2
	s_cmp_eq_u32 s8, 0
	s_mul_i32 s2, s2, s3
	s_cselect_b32 s28, s5, s6
	s_cmp_lg_u32 s2, 0x100
	s_cselect_b32 s2, -1, 0
	s_cmp_ge_u32 s28, s19
	s_cselect_b32 s3, -1, 0
	s_delay_alu instid0(SALU_CYCLE_1) | instskip(NEXT) | instid1(SALU_CYCLE_1)
	s_or_b32 s2, s2, s3
	s_and_b32 vcc_lo, exec_lo, s2
	s_cbranch_vccnz .LBB178_81
; %bb.1:
	s_clause 0x7
	s_load_b64 s[4:5], s[0:1], 0x8
	s_load_b64 s[10:11], s[0:1], 0x58
	s_load_b32 s6, s[0:1], 0x0
	s_load_b128 s[20:23], s[0:1], 0x18
	s_load_b32 s88, s[0:1], 0x28
	s_load_b128 s[24:27], s[0:1], 0x38
	s_load_b32 s18, s[0:1], 0x48
	s_load_b64 s[2:3], s[0:1], 0x68
	s_add_nc_u64 s[12:13], s[0:1], 0x78
	s_wait_xcnt 0x0
	s_bfe_u32 s0, ttmp6, 0x4000c
	s_load_b32 s14, s[12:13], 0x0
	s_add_co_i32 s0, s0, 1
	s_and_b32 s1, ttmp6, 15
	s_mul_i32 s7, ttmp9, s0
	v_and_b32_e32 v32, 0x3ff, v0
	v_bfe_u32 v1, v0, 10, 10
	s_add_co_i32 s1, s1, s7
	v_dual_mov_b32 v35, 0 :: v_dual_bitop2_b32 v34, 31, v0 bitop3:0x40
	s_delay_alu instid0(VALU_DEP_3) | instskip(NEXT) | instid1(VALU_DEP_3)
	v_lshlrev_b32_e32 v88, 3, v32
	v_lshl_add_u32 v2, v1, 6, v32
	s_mov_b32 s15, s29
	s_delay_alu instid0(VALU_DEP_3)
	v_lshlrev_b32_e32 v3, 3, v34
	v_mul_u32_u24_e32 v14, 33, v34
	s_wait_kmcnt 0x0
	v_cmp_neq_f64_e64 s9, s[4:5], 0
	v_cmp_neq_f64_e64 s10, s[10:11], 1.0
	s_ashr_i32 s7, s6, 31
	s_ashr_i32 s89, s88, 31
	s_cmp_eq_u32 s8, 0
	v_cmp_eq_f64_e64 s100, s[4:5], 0
	s_cselect_b32 s33, ttmp9, s1
	s_lshr_b32 s1, s7, 26
	s_add_co_i32 s5, s14, -1
	s_add_co_i32 s1, s6, s1
	s_lshl_b32 s94, s33, 6
	s_and_not1_b32 s1, s1, 63
	v_dual_lshrrev_b32 v4, 5, v2 :: v_dual_add_nc_u32 v36, s94, v32
	s_sub_co_i32 s1, s6, s1
	s_mul_i32 s4, s6, s33
	s_mul_i32 s36, s88, s94
	s_delay_alu instid0(VALU_DEP_1)
	v_dual_lshlrev_b32 v8, 2, v4 :: v_dual_add_nc_u32 v9, 24, v4
	v_dual_add_nc_u32 v6, 8, v4 :: v_dual_add_nc_u32 v7, 16, v4
	s_mul_u64 s[34:35], s[14:15], s[6:7]
	v_lshl_or_b32 v91, v34, 8, v3
	v_and_b32_e32 v10, 0x7fe0, v2
	v_or_b32_e32 v11, 1, v8
	v_cmp_lt_u32_e64 s6, v8, v34
	v_or_b32_e32 v13, 2, v8
	v_dual_mov_b32 v33, v35 :: v_dual_bitop2_b32 v8, 3, v8 bitop3:0x54
	v_lshlrev_b32_e32 v15, 3, v4
	v_mad_u32 v38, s88, v4, v34
	v_mul_u32_u24_e32 v5, 0x108, v4
	v_mul_u32_u24_e32 v12, 0x420, v4
	s_or_b32 s101, s9, s10
	s_cmp_eq_u32 s33, s5
	v_cmp_lt_u32_e64 s9, v8, v34
	s_cselect_b32 s38, s1, 0
	v_or_b32_e32 v8, 32, v34
	v_cmp_gt_i32_e32 vcc_lo, s38, v32
	s_cmp_eq_u32 s38, 0
	v_lshl_add_u32 v94, v14, 3, v15
	s_cselect_b32 s1, -1, 0
	s_ashr_i32 s5, s4, 31
	s_ashr_i32 s95, s94, 31
	;; [unrolled: 1-line block ×3, first 2 shown]
	s_lshl_b64 s[4:5], s[4:5], 3
	s_or_b32 s102, s1, vcc_lo
	s_cmp_lg_u32 s38, 0
	s_add_nc_u64 s[40:41], s[2:3], s[4:5]
	s_cselect_b32 s17, -1, 0
	s_sub_co_i32 s15, s38, 32
	v_cmp_gt_i32_e64 s3, s38, v6
	v_cmp_gt_i32_e64 s13, s15, v6
	v_mul_lo_u32 v6, v1, s88
	v_cmp_gt_i32_e64 s2, s38, v4
	v_cmp_gt_i32_e64 s4, s38, v7
	;; [unrolled: 1-line block ×4, first 2 shown]
	v_cmp_eq_u32_e64 s16, 1, v4
	v_mul_i32_i24_e32 v7, 0xffffffe8, v4
	v_mad_u32_u24 v95, v4, 24, v94
	v_lshrrev_b32_e32 v4, 4, v2
	v_mul_lo_u32 v40, s18, v36
	v_add_nc_u32_e32 v92, v91, v10
	v_cmp_lt_u32_e64 s7, v11, v34
	v_mul_u32_u24_e32 v11, 0x108, v11
	v_add_nc_u32_e32 v93, 0x2380, v10
	v_cmp_gt_i32_e64 s11, s38, v8
	v_cmp_le_i32_e32 vcc_lo, s38, v32
	v_lshl_add_u32 v44, v6, 2, v32
	v_and_b32_e32 v6, 15, v0
	v_dual_add_nc_u32 v105, v3, v11 :: v_dual_bitop2_b32 v0, 48, v0 bitop3:0x40
	v_dual_lshlrev_b32 v8, 5, v4 :: v_dual_add_nc_u32 v106, v93, v7
	v_dual_ashrrev_i32 v39, 31, v38 :: v_dual_ashrrev_i32 v41, 31, v40
	s_mul_i32 s30, s88, 24
	s_lshl_b32 s42, s88, 3
	s_lshl_b32 s44, s88, 4
	v_cmp_gt_i32_e64 s5, s38, v9
	s_lshl_b32 s46, s88, 5
	v_cmp_gt_i32_e64 s15, s15, v9
	s_and_b32 s17, s17, vcc_lo
	s_mul_i32 s50, s18, s94
	v_mad_u32_u24 v97, 0x860, v1, v88
	v_lshlrev_b32_e32 v0, 3, v0
	v_or_b32_e32 v9, 0x78, v88
	v_mad_u32_u24 v98, 0x218, v6, v8
	v_mul_i32_i24_e32 v4, 0xffffffe8, v4
	s_ashr_i32 s43, s42, 31
	s_ashr_i32 s45, s44, 31
	;; [unrolled: 1-line block ×5, first 2 shown]
	s_xor_b32 s54, s17, -1
	s_ashr_i32 s51, s50, 31
	v_cmp_eq_u32_e64 s0, 0, v1
	v_sub_nc_u64_e32 v[42:43], 0, v[34:35]
	s_cmp_gt_i32 s33, 0
	v_sub_nc_u64_e32 v[46:47], 0, v[38:39]
	v_sub_nc_u64_e32 v[48:49], 0, v[32:33]
	v_add_nc_u32_e32 v89, 0x2380, v88
	v_cndmask_b32_e64 v90, 0, 1, s1
	v_cmp_gt_i32_e64 s1, s38, v34
	v_cmp_lt_u32_e64 s8, v13, v34
	v_cmp_gt_u32_e64 s10, 32, v2
	s_cselect_b32 s103, -1, 0
	v_dual_ashrrev_i32 v45, 31, v44 :: v_dual_add_nc_u32 v103, v3, v5
	s_lshl_b32 s104, s18, 6
	v_add_nc_u32_e32 v33, 0x2180, v88
	v_lshl_add_u32 v96, v1, 5, 0x2180
	v_cmp_gt_u32_e64 s18, 64, v2
	v_mad_u32_u24 v99, 0x218, v6, v0
	v_mad_u32_u24 v100, 0x218, v6, v9
	v_mad_i32_i24 v101, 0xfffff9b8, v1, v97
	v_dual_ashrrev_i32 v37, 31, v36 :: v_dual_lshlrev_b32 v34, 3, v34
	v_add_nc_u32_e32 v102, 0x2380, v15
	v_add_nc_u32_e32 v104, v3, v12
	;; [unrolled: 1-line block ×3, first 2 shown]
	s_sub_nc_u64 s[48:49], 0, s[46:47]
	s_sub_nc_u64 s[50:51], 0, s[50:51]
	;; [unrolled: 1-line block ×3, first 2 shown]
	s_and_b32 vcc_hi, s0, s54
	s_lshl_b64 s[54:55], s[88:89], 6
	s_sub_nc_u64 s[56:57], 0, s[38:39]
	s_lshl_b64 s[58:59], s[88:89], 3
	s_lshl_b64 s[60:61], s[88:89], 4
	;; [unrolled: 1-line block ×3, first 2 shown]
	s_mul_u64 s[64:65], s[88:89], 24
	s_lshl_b64 s[66:67], s[88:89], 7
	s_mul_u64 s[68:69], s[88:89], 0x90
	s_mul_u64 s[70:71], s[88:89], 0x98
	s_lshl_b64 s[72:73], s[88:89], 8
	s_mul_u64 s[74:75], s[88:89], 0x110
	s_mul_u64 s[76:77], s[88:89], 0x118
	;; [unrolled: 1-line block ×8, first 2 shown]
	s_mov_b64 s[90:91], 0xfffffffffffffef8
	s_lshl_b64 s[94:95], s[94:95], 3
	s_lshl_b64 s[26:27], s[26:27], 3
	s_lshl_b64 s[22:23], s[22:23], 3
	s_branch .LBB178_4
.LBB178_2:                              ;   in Loop: Header=BB178_4 Depth=1
	s_wait_xcnt 0x0
	s_or_b32 exec_lo, exec_lo, s98
.LBB178_3:                              ;   in Loop: Header=BB178_4 Depth=1
	s_add_co_i32 s28, s28, 0x10000
	s_delay_alu instid0(SALU_CYCLE_1)
	s_cmp_lt_u32 s28, s19
	s_cbranch_scc0 .LBB178_81
.LBB178_4:                              ; =>This Loop Header: Depth=1
                                        ;     Child Loop BB178_69 Depth 2
	s_and_not1_b32 vcc_lo, exec_lo, s101
	s_cbranch_vccnz .LBB178_3
; %bb.5:                                ;   in Loop: Header=BB178_4 Depth=1
	s_and_b32 vcc_lo, exec_lo, s100
	s_cbranch_vccz .LBB178_7
; %bb.6:                                ;   in Loop: Header=BB178_4 Depth=1
	s_cbranch_execnz .LBB178_3
	s_branch .LBB178_8
.LBB178_7:                              ;   in Loop: Header=BB178_4 Depth=1
.LBB178_8:                              ;   in Loop: Header=BB178_4 Depth=1
	v_mov_b32_e32 v0, s28
	s_clause 0x1
	global_load_b64 v[2:3], v0, s[24:25] scale_offset
	global_load_b64 v[0:1], v0, s[20:21] scale_offset
	s_wait_loadcnt 0x1
	v_add_nc_u64_e32 v[2:3], s[26:27], v[2:3]
	s_delay_alu instid0(VALU_DEP_1)
	v_lshl_add_u64 v[16:17], v[40:41], 3, v[2:3]
	s_wait_xcnt 0x0
	s_and_saveexec_b32 s96, s0
	s_cbranch_execz .LBB178_12
; %bb.9:                                ;   in Loop: Header=BB178_4 Depth=1
	v_mov_b64_e32 v[2:3], 0
	s_and_saveexec_b32 s92, s102
	s_cbranch_execz .LBB178_11
; %bb.10:                               ;   in Loop: Header=BB178_4 Depth=1
	flat_load_b64 v[2:3], v[16:17]
.LBB178_11:                             ;   in Loop: Header=BB178_4 Depth=1
	s_wait_xcnt 0x0
	s_or_b32 exec_lo, exec_lo, s92
	s_wait_loadcnt_dscnt 0x0
	ds_store_b64 v89, v[2:3]
.LBB178_12:                             ;   in Loop: Header=BB178_4 Depth=1
	s_or_b32 exec_lo, exec_lo, s96
	s_wait_loadcnt 0x0
	v_add_nc_u64_e32 v[0:1], s[22:23], v[0:1]
	v_cmp_ne_u32_e32 vcc_lo, 1, v90
	s_mov_b32 s96, -1
	s_delay_alu instid0(VALU_DEP_2) | instskip(NEXT) | instid1(VALU_DEP_1)
	v_add_nc_u64_e32 v[0:1], s[94:95], v[0:1]
	v_lshl_add_u64 v[0:1], v[38:39], 3, v[0:1]
	s_delay_alu instid0(VALU_DEP_1)
	v_lshl_add_u64 v[0:1], s[36:37], 3, v[0:1]
	s_cbranch_vccnz .LBB178_14
; %bb.13:                               ;   in Loop: Header=BB178_4 Depth=1
	s_delay_alu instid0(VALU_DEP_1) | instskip(SKIP_1) | instid1(VALU_DEP_1)
	v_lshl_add_u64 v[2:3], s[42:43], 3, v[0:1]
	s_mov_b32 s96, 0
	v_add_nc_u64_e32 v[4:5], s[54:55], v[2:3]
	s_delay_alu instid0(VALU_DEP_1)
	v_add_nc_u64_e32 v[6:7], s[54:55], v[4:5]
	s_clause 0x3
	flat_load_b64 v[8:9], v[0:1]
	flat_load_b64 v[2:3], v[2:3]
	;; [unrolled: 1-line block ×4, first 2 shown]
	s_wait_loadcnt_dscnt 0x303
	ds_store_b64 v103, v[8:9]
	s_wait_loadcnt_dscnt 0x203
	ds_store_b64 v103, v[2:3] offset:2112
	s_wait_loadcnt_dscnt 0x103
	ds_store_b64 v103, v[4:5] offset:4224
	;; [unrolled: 2-line block ×3, first 2 shown]
.LBB178_14:                             ;   in Loop: Header=BB178_4 Depth=1
	s_and_not1_b32 vcc_lo, exec_lo, s96
	s_cbranch_vccnz .LBB178_24
; %bb.15:                               ;   in Loop: Header=BB178_4 Depth=1
	s_wait_xcnt 0x2
	v_lshl_add_u64 v[2:3], v[42:43], 3, v[0:1]
	s_wait_xcnt 0x0
	v_mov_b64_e32 v[6:7], 0
	v_mov_b64_e32 v[4:5], 0
	s_delay_alu instid0(VALU_DEP_3) | instskip(NEXT) | instid1(VALU_DEP_1)
	v_lshl_add_u64 v[2:3], s[38:39], 3, v[2:3]
	v_add_nc_u64_e32 v[2:3], -8, v[2:3]
	s_delay_alu instid0(VALU_DEP_1)
	v_dual_cndmask_b32 v3, v3, v1, s1 :: v_dual_cndmask_b32 v2, v2, v0, s1
	s_and_saveexec_b32 s92, s2
	s_cbranch_execz .LBB178_17
; %bb.16:                               ;   in Loop: Header=BB178_4 Depth=1
	flat_load_b64 v[4:5], v[2:3]
.LBB178_17:                             ;   in Loop: Header=BB178_4 Depth=1
	s_wait_xcnt 0x0
	s_or_b32 exec_lo, exec_lo, s92
	s_wait_loadcnt_dscnt 0x0
	ds_store_b64 v103, v[4:5]
	s_and_saveexec_b32 s92, s3
	s_cbranch_execz .LBB178_19
; %bb.18:                               ;   in Loop: Header=BB178_4 Depth=1
	v_lshl_add_u64 v[4:5], s[42:43], 3, v[2:3]
	flat_load_b64 v[6:7], v[4:5]
.LBB178_19:                             ;   in Loop: Header=BB178_4 Depth=1
	s_wait_xcnt 0x0
	s_or_b32 exec_lo, exec_lo, s92
	v_mov_b64_e32 v[4:5], 0
	v_mov_b64_e32 v[8:9], 0
	s_wait_loadcnt_dscnt 0x0
	ds_store_b64 v103, v[6:7] offset:2112
	s_and_saveexec_b32 s92, s4
	s_cbranch_execz .LBB178_21
; %bb.20:                               ;   in Loop: Header=BB178_4 Depth=1
	v_lshl_add_u64 v[6:7], s[44:45], 3, v[2:3]
	flat_load_b64 v[8:9], v[6:7]
.LBB178_21:                             ;   in Loop: Header=BB178_4 Depth=1
	s_wait_xcnt 0x0
	s_or_b32 exec_lo, exec_lo, s92
	s_wait_loadcnt_dscnt 0x0
	ds_store_b64 v103, v[8:9] offset:4224
	s_and_saveexec_b32 s92, s5
	s_cbranch_execz .LBB178_23
; %bb.22:                               ;   in Loop: Header=BB178_4 Depth=1
	v_lshl_add_u64 v[4:5], s[30:31], 3, v[2:3]
	flat_load_b64 v[4:5], v[4:5]
.LBB178_23:                             ;   in Loop: Header=BB178_4 Depth=1
	s_wait_xcnt 0x0
	s_or_b32 exec_lo, exec_lo, s92
	v_add_nc_u64_e32 v[2:3], v[2:3], v[34:35]
	s_wait_loadcnt_dscnt 0x0
	ds_store_b64 v103, v[4:5] offset:6336
	v_lshl_add_u64 v[2:3], s[56:57], 3, v[2:3]
	s_delay_alu instid0(VALU_DEP_1) | instskip(NEXT) | instid1(VALU_DEP_1)
	v_add_nc_u64_e32 v[2:3], 8, v[2:3]
	v_dual_cndmask_b32 v1, v3, v1, s1 :: v_dual_cndmask_b32 v0, v2, v0, s1
.LBB178_24:                             ;   in Loop: Header=BB178_4 Depth=1
	s_wait_dscnt 0x0
	s_barrier_signal -1
	s_barrier_wait -1
	s_wait_xcnt 0x0
	s_and_saveexec_b32 s92, s6
	s_cbranch_execnz .LBB178_75
; %bb.25:                               ;   in Loop: Header=BB178_4 Depth=1
	s_or_b32 exec_lo, exec_lo, s92
	s_and_saveexec_b32 s92, s7
	s_cbranch_execnz .LBB178_76
.LBB178_26:                             ;   in Loop: Header=BB178_4 Depth=1
	s_or_b32 exec_lo, exec_lo, s92
	s_and_saveexec_b32 s92, s8
	s_cbranch_execnz .LBB178_77
.LBB178_27:                             ;   in Loop: Header=BB178_4 Depth=1
	s_or_b32 exec_lo, exec_lo, s92
	s_and_saveexec_b32 s92, s9
	s_cbranch_execz .LBB178_29
.LBB178_28:                             ;   in Loop: Header=BB178_4 Depth=1
	ds_load_b64 v[2:3], v105 offset:528
	s_wait_dscnt 0x0
	ds_store_b64 v92, v[2:3] offset:24
.LBB178_29:                             ;   in Loop: Header=BB178_4 Depth=1
	s_or_b32 exec_lo, exec_lo, s92
	s_wait_dscnt 0x0
	s_barrier_signal -1
	s_barrier_wait -1
	ds_load_b64 v[10:11], v104
	ds_load_b128 v[2:5], v93
	ds_load_b128 v[6:9], v93 offset:16
	ds_load_b64 v[14:15], v105 offset:528
	v_mov_b64_e32 v[50:51], 0
	s_wait_dscnt 0x2
	v_fma_f64 v[2:3], v[10:11], v[2:3], 0
	ds_load_2addr_b64 v[10:13], v105 offset1:33
	s_wait_dscnt 0x0
	s_barrier_signal -1
	s_barrier_wait -1
	v_fmac_f64_e32 v[2:3], v[10:11], v[4:5]
	s_delay_alu instid0(VALU_DEP_1) | instskip(NEXT) | instid1(VALU_DEP_1)
	v_fmac_f64_e32 v[2:3], v[12:13], v[6:7]
	v_fmac_f64_e32 v[2:3], v[14:15], v[8:9]
	ds_store_b64 v94, v[2:3]
	s_wait_dscnt 0x0
	s_barrier_signal -1
	s_barrier_wait -1
	s_and_saveexec_b32 s96, s10
	s_cbranch_execz .LBB178_31
; %bb.30:                               ;   in Loop: Header=BB178_4 Depth=1
	ds_load_2addr_b64 v[2:5], v91 offset1:1
	ds_load_2addr_b64 v[6:9], v91 offset0:2 offset1:3
	s_wait_dscnt 0x1
	v_add_f64_e32 v[2:3], v[2:3], v[4:5]
	s_wait_dscnt 0x0
	s_delay_alu instid0(VALU_DEP_1) | instskip(NEXT) | instid1(VALU_DEP_1)
	v_add_f64_e32 v[2:3], v[2:3], v[6:7]
	v_add_f64_e32 v[10:11], v[2:3], v[8:9]
	ds_load_2addr_b64 v[2:5], v91 offset0:4 offset1:5
	ds_load_2addr_b64 v[6:9], v91 offset0:6 offset1:7
	s_wait_dscnt 0x1
	v_add_f64_e32 v[2:3], v[10:11], v[2:3]
	s_delay_alu instid0(VALU_DEP_1) | instskip(SKIP_1) | instid1(VALU_DEP_1)
	v_add_f64_e32 v[2:3], v[2:3], v[4:5]
	s_wait_dscnt 0x0
	v_add_f64_e32 v[2:3], v[2:3], v[6:7]
	s_delay_alu instid0(VALU_DEP_1)
	v_add_f64_e32 v[50:51], v[2:3], v[8:9]
.LBB178_31:                             ;   in Loop: Header=BB178_4 Depth=1
	s_or_b32 exec_lo, exec_lo, s96
	v_cmp_ne_u32_e32 vcc_lo, 1, v90
	v_lshl_add_u64 v[2:3], s[46:47], 3, v[0:1]
	s_mov_b32 s96, -1
	s_barrier_signal -1
	s_barrier_wait -1
	s_cbranch_vccnz .LBB178_33
; %bb.32:                               ;   in Loop: Header=BB178_4 Depth=1
	v_lshl_add_u64 v[0:1], s[42:43], 3, v[2:3]
	s_mov_b32 s96, 0
	s_delay_alu instid0(VALU_DEP_1) | instskip(NEXT) | instid1(VALU_DEP_1)
	v_add_nc_u64_e32 v[4:5], s[54:55], v[0:1]
	v_add_nc_u64_e32 v[6:7], s[54:55], v[4:5]
	s_clause 0x3
	flat_load_b64 v[8:9], v[2:3] offset:256
	flat_load_b64 v[0:1], v[0:1] offset:256
	flat_load_b64 v[4:5], v[4:5] offset:256
	flat_load_b64 v[6:7], v[6:7] offset:256
	s_wait_loadcnt_dscnt 0x303
	ds_store_b64 v103, v[8:9]
	s_wait_loadcnt_dscnt 0x203
	ds_store_b64 v103, v[0:1] offset:2112
	s_wait_loadcnt_dscnt 0x103
	ds_store_b64 v103, v[4:5] offset:4224
	;; [unrolled: 2-line block ×3, first 2 shown]
.LBB178_33:                             ;   in Loop: Header=BB178_4 Depth=1
	s_wait_xcnt 0x2
	v_add_nc_u64_e32 v[0:1], 0x100, v[2:3]
	s_and_not1_b32 vcc_lo, exec_lo, s96
	s_cbranch_vccnz .LBB178_43
; %bb.34:                               ;   in Loop: Header=BB178_4 Depth=1
	v_lshl_add_u64 v[2:3], v[42:43], 3, v[2:3]
	s_wait_xcnt 0x0
	v_mov_b64_e32 v[6:7], 0
	v_mov_b64_e32 v[4:5], 0
	s_delay_alu instid0(VALU_DEP_3) | instskip(NEXT) | instid1(VALU_DEP_1)
	v_lshl_add_u64 v[2:3], s[38:39], 3, v[2:3]
	v_add_nc_u64_e32 v[2:3], -8, v[2:3]
	s_delay_alu instid0(VALU_DEP_1)
	v_dual_cndmask_b32 v3, v3, v1, s11 :: v_dual_cndmask_b32 v2, v2, v0, s11
	s_and_saveexec_b32 s92, s12
	s_cbranch_execz .LBB178_36
; %bb.35:                               ;   in Loop: Header=BB178_4 Depth=1
	flat_load_b64 v[4:5], v[2:3]
.LBB178_36:                             ;   in Loop: Header=BB178_4 Depth=1
	s_wait_xcnt 0x0
	s_or_b32 exec_lo, exec_lo, s92
	s_wait_loadcnt_dscnt 0x0
	ds_store_b64 v103, v[4:5]
	s_and_saveexec_b32 s92, s13
	s_cbranch_execz .LBB178_38
; %bb.37:                               ;   in Loop: Header=BB178_4 Depth=1
	v_lshl_add_u64 v[4:5], s[42:43], 3, v[2:3]
	flat_load_b64 v[6:7], v[4:5]
.LBB178_38:                             ;   in Loop: Header=BB178_4 Depth=1
	s_wait_xcnt 0x0
	s_or_b32 exec_lo, exec_lo, s92
	v_mov_b64_e32 v[4:5], 0
	v_mov_b64_e32 v[8:9], 0
	s_wait_loadcnt_dscnt 0x0
	ds_store_b64 v103, v[6:7] offset:2112
	s_and_saveexec_b32 s92, s14
	s_cbranch_execz .LBB178_40
; %bb.39:                               ;   in Loop: Header=BB178_4 Depth=1
	v_lshl_add_u64 v[6:7], s[44:45], 3, v[2:3]
	flat_load_b64 v[8:9], v[6:7]
.LBB178_40:                             ;   in Loop: Header=BB178_4 Depth=1
	s_wait_xcnt 0x0
	s_or_b32 exec_lo, exec_lo, s92
	s_wait_loadcnt_dscnt 0x0
	ds_store_b64 v103, v[8:9] offset:4224
	s_and_saveexec_b32 s92, s15
	s_cbranch_execz .LBB178_42
; %bb.41:                               ;   in Loop: Header=BB178_4 Depth=1
	v_lshl_add_u64 v[4:5], s[30:31], 3, v[2:3]
	flat_load_b64 v[4:5], v[4:5]
.LBB178_42:                             ;   in Loop: Header=BB178_4 Depth=1
	s_wait_xcnt 0x0
	s_or_b32 exec_lo, exec_lo, s92
	v_add_nc_u64_e32 v[2:3], v[2:3], v[34:35]
	s_wait_loadcnt_dscnt 0x0
	ds_store_b64 v103, v[4:5] offset:6336
	v_lshl_add_u64 v[2:3], s[56:57], 3, v[2:3]
	s_delay_alu instid0(VALU_DEP_1) | instskip(NEXT) | instid1(VALU_DEP_1)
	v_add_nc_u64_e32 v[2:3], 0x108, v[2:3]
	v_dual_cndmask_b32 v1, v3, v1, s11 :: v_dual_cndmask_b32 v0, v2, v0, s11
.LBB178_43:                             ;   in Loop: Header=BB178_4 Depth=1
	s_wait_dscnt 0x0
	s_barrier_signal -1
	s_barrier_wait -1
	s_wait_xcnt 0x0
	s_and_saveexec_b32 s92, s6
	s_cbranch_execnz .LBB178_78
; %bb.44:                               ;   in Loop: Header=BB178_4 Depth=1
	s_or_b32 exec_lo, exec_lo, s92
	s_and_saveexec_b32 s92, s7
	s_cbranch_execnz .LBB178_79
.LBB178_45:                             ;   in Loop: Header=BB178_4 Depth=1
	s_or_b32 exec_lo, exec_lo, s92
	s_and_saveexec_b32 s92, s8
	s_cbranch_execnz .LBB178_80
.LBB178_46:                             ;   in Loop: Header=BB178_4 Depth=1
	s_or_b32 exec_lo, exec_lo, s92
	s_and_saveexec_b32 s92, s9
	s_cbranch_execz .LBB178_48
.LBB178_47:                             ;   in Loop: Header=BB178_4 Depth=1
	ds_load_b64 v[2:3], v105 offset:528
	s_wait_dscnt 0x0
	ds_store_b64 v92, v[2:3] offset:24
.LBB178_48:                             ;   in Loop: Header=BB178_4 Depth=1
	s_or_b32 exec_lo, exec_lo, s92
	s_wait_dscnt 0x0
	s_barrier_signal -1
	s_barrier_wait -1
	ds_load_b64 v[10:11], v104
	ds_load_b128 v[2:5], v93 offset:256
	ds_load_b128 v[6:9], v93 offset:272
	ds_load_b64 v[14:15], v105 offset:528
	s_wait_dscnt 0x2
	v_fma_f64 v[2:3], v[10:11], v[2:3], 0
	ds_load_2addr_b64 v[10:13], v105 offset1:33
	s_wait_dscnt 0x0
	s_barrier_signal -1
	s_barrier_wait -1
	v_fmac_f64_e32 v[2:3], v[10:11], v[4:5]
	s_delay_alu instid0(VALU_DEP_1) | instskip(NEXT) | instid1(VALU_DEP_1)
	v_fmac_f64_e32 v[2:3], v[12:13], v[6:7]
	v_fmac_f64_e32 v[2:3], v[14:15], v[8:9]
	ds_store_b64 v94, v[2:3]
	s_wait_dscnt 0x0
	s_barrier_signal -1
	s_barrier_wait -1
	s_and_saveexec_b32 s96, s16
	s_cbranch_execz .LBB178_50
; %bb.49:                               ;   in Loop: Header=BB178_4 Depth=1
	ds_load_2addr_b64 v[2:5], v91 offset1:1
	ds_load_2addr_b64 v[6:9], v91 offset0:2 offset1:3
	s_wait_dscnt 0x1
	v_add_f64_e32 v[2:3], v[2:3], v[4:5]
	s_wait_dscnt 0x0
	s_delay_alu instid0(VALU_DEP_1) | instskip(NEXT) | instid1(VALU_DEP_1)
	v_add_f64_e32 v[2:3], v[2:3], v[6:7]
	v_add_f64_e32 v[10:11], v[2:3], v[8:9]
	ds_load_2addr_b64 v[2:5], v91 offset0:4 offset1:5
	ds_load_2addr_b64 v[6:9], v91 offset0:6 offset1:7
	s_wait_dscnt 0x1
	v_add_f64_e32 v[2:3], v[10:11], v[2:3]
	s_delay_alu instid0(VALU_DEP_1) | instskip(SKIP_1) | instid1(VALU_DEP_1)
	v_add_f64_e32 v[2:3], v[2:3], v[4:5]
	s_wait_dscnt 0x0
	v_add_f64_e32 v[2:3], v[2:3], v[6:7]
	s_delay_alu instid0(VALU_DEP_1)
	v_add_f64_e32 v[50:51], v[2:3], v[8:9]
.LBB178_50:                             ;   in Loop: Header=BB178_4 Depth=1
	s_or_b32 exec_lo, exec_lo, s96
	v_cmp_ne_u32_e32 vcc_lo, 1, v90
	v_lshl_add_u64 v[18:19], s[48:49], 3, v[0:1]
	s_mov_b32 s96, -1
	s_barrier_signal -1
	s_barrier_wait -1
	s_cbranch_vccnz .LBB178_52
; %bb.51:                               ;   in Loop: Header=BB178_4 Depth=1
	v_lshl_add_u64 v[0:1], s[42:43], 3, v[18:19]
	s_mov_b32 s96, 0
	s_delay_alu instid0(VALU_DEP_1) | instskip(NEXT) | instid1(VALU_DEP_1)
	v_add_nc_u64_e32 v[2:3], s[54:55], v[0:1]
	v_add_nc_u64_e32 v[4:5], s[54:55], v[2:3]
	s_clause 0x3
	flat_load_b64 v[6:7], v[18:19]
	flat_load_b64 v[0:1], v[0:1]
	;; [unrolled: 1-line block ×4, first 2 shown]
	s_wait_loadcnt_dscnt 0x303
	ds_store_b64 v103, v[6:7]
	s_wait_loadcnt_dscnt 0x203
	ds_store_b64 v103, v[0:1] offset:2112
	s_wait_loadcnt_dscnt 0x103
	ds_store_b64 v103, v[2:3] offset:4224
	;; [unrolled: 2-line block ×3, first 2 shown]
.LBB178_52:                             ;   in Loop: Header=BB178_4 Depth=1
	s_and_not1_b32 vcc_lo, exec_lo, s96
	s_cbranch_vccnz .LBB178_62
; %bb.53:                               ;   in Loop: Header=BB178_4 Depth=1
	s_wait_xcnt 0x2
	v_lshl_add_u64 v[0:1], v[42:43], 3, v[18:19]
	s_wait_xcnt 0x0
	v_mov_b64_e32 v[4:5], 0
	v_mov_b64_e32 v[2:3], 0
	s_delay_alu instid0(VALU_DEP_3) | instskip(NEXT) | instid1(VALU_DEP_1)
	v_lshl_add_u64 v[0:1], s[38:39], 3, v[0:1]
	v_add_nc_u64_e32 v[0:1], s[90:91], v[0:1]
	s_delay_alu instid0(VALU_DEP_1)
	v_dual_cndmask_b32 v1, v1, v19, s11 :: v_dual_cndmask_b32 v0, v0, v18, s11
	s_and_saveexec_b32 s92, s2
	s_cbranch_execz .LBB178_55
; %bb.54:                               ;   in Loop: Header=BB178_4 Depth=1
	flat_load_b64 v[2:3], v[0:1]
.LBB178_55:                             ;   in Loop: Header=BB178_4 Depth=1
	s_wait_xcnt 0x0
	s_or_b32 exec_lo, exec_lo, s92
	s_wait_loadcnt_dscnt 0x0
	ds_store_b64 v103, v[2:3]
	s_and_saveexec_b32 s92, s3
	s_cbranch_execz .LBB178_57
; %bb.56:                               ;   in Loop: Header=BB178_4 Depth=1
	v_lshl_add_u64 v[2:3], s[42:43], 3, v[0:1]
	flat_load_b64 v[4:5], v[2:3]
.LBB178_57:                             ;   in Loop: Header=BB178_4 Depth=1
	s_wait_xcnt 0x0
	s_or_b32 exec_lo, exec_lo, s92
	v_mov_b64_e32 v[2:3], 0
	v_mov_b64_e32 v[6:7], 0
	s_wait_loadcnt_dscnt 0x0
	ds_store_b64 v103, v[4:5] offset:2112
	s_and_saveexec_b32 s92, s4
	s_cbranch_execz .LBB178_59
; %bb.58:                               ;   in Loop: Header=BB178_4 Depth=1
	v_lshl_add_u64 v[4:5], s[44:45], 3, v[0:1]
	flat_load_b64 v[6:7], v[4:5]
.LBB178_59:                             ;   in Loop: Header=BB178_4 Depth=1
	s_wait_xcnt 0x0
	s_or_b32 exec_lo, exec_lo, s92
	s_wait_loadcnt_dscnt 0x0
	ds_store_b64 v103, v[6:7] offset:4224
	s_and_saveexec_b32 s92, s5
	s_cbranch_execz .LBB178_61
; %bb.60:                               ;   in Loop: Header=BB178_4 Depth=1
	v_lshl_add_u64 v[2:3], s[30:31], 3, v[0:1]
	flat_load_b64 v[2:3], v[2:3]
.LBB178_61:                             ;   in Loop: Header=BB178_4 Depth=1
	s_wait_xcnt 0x0
	s_or_b32 exec_lo, exec_lo, s92
	v_add_nc_u64_e32 v[0:1], v[0:1], v[34:35]
	s_wait_loadcnt_dscnt 0x0
	ds_store_b64 v103, v[2:3] offset:6336
	v_lshl_add_u64 v[0:1], s[56:57], 3, v[0:1]
	s_delay_alu instid0(VALU_DEP_1) | instskip(NEXT) | instid1(VALU_DEP_1)
	v_add_nc_u64_e32 v[0:1], 0x108, v[0:1]
	v_dual_cndmask_b32 v19, v1, v19, s11 :: v_dual_cndmask_b32 v18, v0, v18, s11
.LBB178_62:                             ;   in Loop: Header=BB178_4 Depth=1
	s_wait_dscnt 0x0
	s_barrier_signal -1
	s_barrier_wait -1
	s_wait_xcnt 0x2
	ds_load_b64 v[0:1], v103
	s_wait_xcnt 0x1
	ds_load_b64 v[2:3], v106
	s_wait_xcnt 0x0
	ds_load_b64 v[4:5], v103 offset:6336
	ds_load_b64 v[6:7], v103 offset:2112
	;; [unrolled: 1-line block ×4, first 2 shown]
	s_wait_dscnt 0x4
	v_fma_f64 v[20:21], v[0:1], v[2:3], 0
	ds_load_2addr_b64 v[0:3], v102 offset0:8 offset1:16
	s_wait_dscnt 0x0
	v_fmac_f64_e32 v[20:21], v[6:7], v[0:1]
	s_delay_alu instid0(VALU_DEP_1) | instskip(NEXT) | instid1(VALU_DEP_1)
	v_fmac_f64_e32 v[20:21], v[8:9], v[2:3]
	v_fmac_f64_e32 v[20:21], v[4:5], v[10:11]
	ds_load_b128 v[8:11], v93 offset:256
	ds_load_b128 v[0:3], v93 offset:272
	ds_load_2addr_b64 v[12:15], v95 offset1:1
	ds_load_2addr_b64 v[4:7], v95 offset0:2 offset1:3
	s_wait_dscnt 0x0
	s_barrier_signal -1
	s_barrier_wait -1
	ds_store_b64 v94, v[20:21]
	s_wait_dscnt 0x0
	s_barrier_signal -1
	s_barrier_wait -1
	s_and_saveexec_b32 s96, s16
	s_cbranch_execz .LBB178_64
; %bb.63:                               ;   in Loop: Header=BB178_4 Depth=1
	ds_load_2addr_b64 v[20:23], v91 offset1:1
	ds_load_2addr_b64 v[24:27], v91 offset0:2 offset1:3
	s_wait_dscnt 0x1
	v_add_f64_e32 v[20:21], v[50:51], v[20:21]
	s_delay_alu instid0(VALU_DEP_1) | instskip(SKIP_1) | instid1(VALU_DEP_1)
	v_add_f64_e32 v[20:21], v[20:21], v[22:23]
	s_wait_dscnt 0x0
	v_add_f64_e32 v[20:21], v[20:21], v[24:25]
	s_delay_alu instid0(VALU_DEP_1) | instskip(SKIP_4) | instid1(VALU_DEP_1)
	v_add_f64_e32 v[28:29], v[20:21], v[26:27]
	ds_load_2addr_b64 v[20:23], v91 offset0:4 offset1:5
	ds_load_2addr_b64 v[24:27], v91 offset0:6 offset1:7
	s_wait_dscnt 0x1
	v_add_f64_e32 v[20:21], v[28:29], v[20:21]
	v_add_f64_e32 v[20:21], v[20:21], v[22:23]
	s_wait_dscnt 0x0
	s_delay_alu instid0(VALU_DEP_1) | instskip(NEXT) | instid1(VALU_DEP_1)
	v_add_f64_e32 v[20:21], v[20:21], v[24:25]
	v_add_f64_e32 v[50:51], v[20:21], v[26:27]
.LBB178_64:                             ;   in Loop: Header=BB178_4 Depth=1
	s_or_b32 exec_lo, exec_lo, s96
	v_fma_f64 v[8:9], v[12:13], v[8:9], 0
	s_barrier_signal -1
	s_barrier_wait -1
	s_delay_alu instid0(VALU_DEP_1) | instskip(NEXT) | instid1(VALU_DEP_1)
	v_fmac_f64_e32 v[8:9], v[14:15], v[10:11]
	v_fmac_f64_e32 v[8:9], v[4:5], v[0:1]
	s_delay_alu instid0(VALU_DEP_1)
	v_fmac_f64_e32 v[8:9], v[6:7], v[2:3]
	ds_store_b64 v94, v[8:9]
	s_wait_dscnt 0x0
	s_barrier_signal -1
	s_barrier_wait -1
	s_and_saveexec_b32 s96, s10
	s_cbranch_execz .LBB178_66
; %bb.65:                               ;   in Loop: Header=BB178_4 Depth=1
	ds_load_2addr_b64 v[0:3], v91 offset1:1
	ds_load_2addr_b64 v[4:7], v91 offset0:2 offset1:3
	s_wait_dscnt 0x1
	v_add_f64_e32 v[0:1], v[50:51], v[0:1]
	s_delay_alu instid0(VALU_DEP_1) | instskip(SKIP_1) | instid1(VALU_DEP_1)
	v_add_f64_e32 v[0:1], v[0:1], v[2:3]
	s_wait_dscnt 0x0
	v_add_f64_e32 v[0:1], v[0:1], v[4:5]
	s_delay_alu instid0(VALU_DEP_1) | instskip(SKIP_4) | instid1(VALU_DEP_1)
	v_add_f64_e32 v[8:9], v[0:1], v[6:7]
	ds_load_2addr_b64 v[0:3], v91 offset0:4 offset1:5
	ds_load_2addr_b64 v[4:7], v91 offset0:6 offset1:7
	s_wait_dscnt 0x1
	v_add_f64_e32 v[0:1], v[8:9], v[0:1]
	v_add_f64_e32 v[0:1], v[0:1], v[2:3]
	s_wait_dscnt 0x0
	s_delay_alu instid0(VALU_DEP_1) | instskip(NEXT) | instid1(VALU_DEP_1)
	v_add_f64_e32 v[0:1], v[0:1], v[4:5]
	v_add_f64_e32 v[50:51], v[0:1], v[6:7]
.LBB178_66:                             ;   in Loop: Header=BB178_4 Depth=1
	s_or_b32 exec_lo, exec_lo, s96
	s_mul_u64 s[92:93], s[34:35], s[28:29]
	s_and_not1_b32 vcc_lo, exec_lo, s103
	s_lshl_b64 s[92:93], s[92:93], 3
	s_delay_alu instid0(SALU_CYCLE_1)
	s_add_nc_u64 s[96:97], s[40:41], s[92:93]
	s_barrier_signal -1
	s_barrier_wait -1
	s_cbranch_vccnz .LBB178_73
; %bb.67:                               ;   in Loop: Header=BB178_4 Depth=1
	v_lshl_add_u64 v[0:1], s[52:53], 3, v[18:19]
	s_mov_b64 s[92:93], 0xffffffffffffff00
	v_lshl_add_u64 v[52:53], s[50:51], 3, v[16:17]
	v_mov_b32_e32 v108, v32
	s_mov_b32 s98, 0
	v_lshl_add_u64 v[0:1], v[46:47], 3, v[0:1]
	s_mov_b32 vcc_lo, s33
	s_delay_alu instid0(VALU_DEP_1) | instskip(NEXT) | instid1(VALU_DEP_1)
	v_lshl_add_u64 v[0:1], v[44:45], 3, v[0:1]
	v_lshl_add_u64 v[2:3], v[48:49], 3, v[0:1]
	v_add_nc_u64_e32 v[0:1], s[92:93], v[0:1]
	s_delay_alu instid0(VALU_DEP_2) | instskip(NEXT) | instid1(VALU_DEP_1)
	v_lshl_add_u64 v[2:3], s[38:39], 3, v[2:3]
	v_add_nc_u64_e32 v[2:3], s[90:91], v[2:3]
	s_delay_alu instid0(VALU_DEP_1)
	v_dual_cndmask_b32 v55, v1, v3, s17 :: v_dual_cndmask_b32 v54, v0, v2, s17
	s_branch .LBB178_69
.LBB178_68:                             ;   in Loop: Header=BB178_69 Depth=2
	s_wait_xcnt 0x0
	s_or_b32 exec_lo, exec_lo, s99
	v_fmac_f64_e32 v[50:51], v[62:63], v[0:1]
	v_add_nc_u64_e32 v[54:55], s[62:63], v[54:55]
	v_add_nc_u32_e32 v108, 64, v108
	s_add_co_i32 vcc_lo, vcc_lo, -1
	s_add_co_i32 s98, s98, s104
	s_cmp_eq_u32 vcc_lo, 0
	s_wait_storecnt 0x0
	s_barrier_signal -1
	s_barrier_wait -1
	s_delay_alu instid0(VALU_DEP_3) | instskip(NEXT) | instid1(VALU_DEP_1)
	v_fmac_f64_e32 v[50:51], v[60:61], v[2:3]
	v_fmac_f64_e32 v[50:51], v[58:59], v[4:5]
	s_delay_alu instid0(VALU_DEP_1) | instskip(NEXT) | instid1(VALU_DEP_1)
	v_fmac_f64_e32 v[50:51], v[56:57], v[6:7]
	v_fmac_f64_e32 v[50:51], v[70:71], v[8:9]
	s_delay_alu instid0(VALU_DEP_1) | instskip(NEXT) | instid1(VALU_DEP_1)
	;; [unrolled: 3-line block ×6, first 2 shown]
	v_fmac_f64_e32 v[50:51], v[84:85], v[26:27]
	v_fmac_f64_e32 v[50:51], v[82:83], v[28:29]
	s_delay_alu instid0(VALU_DEP_1)
	v_fmac_f64_e32 v[50:51], v[80:81], v[30:31]
	s_cbranch_scc1 .LBB178_73
.LBB178_69:                             ;   Parent Loop BB178_4 Depth=1
                                        ; =>  This Inner Loop Header: Depth=2
	s_and_saveexec_b32 s92, s0
	s_cbranch_execz .LBB178_71
; %bb.70:                               ;   in Loop: Header=BB178_69 Depth=2
	s_ashr_i32 s99, s98, 31
	s_delay_alu instid0(SALU_CYCLE_1)
	v_lshl_add_u64 v[0:1], s[98:99], 3, v[52:53]
	flat_load_b64 v[0:1], v[0:1]
	s_wait_loadcnt_dscnt 0x0
	ds_store_b64 v33, v[0:1]
.LBB178_71:                             ;   in Loop: Header=BB178_69 Depth=2
	s_wait_xcnt 0x0
	s_or_b32 exec_lo, exec_lo, s92
	v_add_nc_u64_e32 v[0:1], s[58:59], v[54:55]
	v_add_nc_u64_e32 v[2:3], s[60:61], v[54:55]
	;; [unrolled: 1-line block ×3, first 2 shown]
	s_wait_dscnt 0x0
	s_barrier_signal -1
	s_barrier_wait -1
	s_clause 0x3
	flat_load_b64 v[62:63], v[54:55]
	flat_load_b64 v[60:61], v[0:1]
	;; [unrolled: 1-line block ×4, first 2 shown]
	s_wait_xcnt 0x0
	ds_load_b64 v[4:5], v89
	ds_load_b128 v[0:3], v96
	v_add_nc_u64_e32 v[16:17], s[66:67], v[54:55]
	v_add_nc_u64_e32 v[18:19], s[88:89], v[54:55]
	;; [unrolled: 1-line block ×12, first 2 shown]
	s_wait_loadcnt_dscnt 0x301
	v_mul_f64_e32 v[8:9], v[62:63], v[4:5]
	s_wait_loadcnt 0x2
	v_mul_f64_e32 v[10:11], v[60:61], v[4:5]
	s_wait_loadcnt 0x1
	;; [unrolled: 2-line block ×3, first 2 shown]
	v_mul_f64_e32 v[14:15], v[56:57], v[4:5]
	ds_load_b128 v[4:7], v96 offset:16
	ds_store_2addr_b64 v97, v[8:9], v[10:11] offset1:67
	ds_store_2addr_b64 v97, v[12:13], v[14:15] offset0:134 offset1:201
	s_wait_dscnt 0x0
	s_barrier_signal -1
	s_barrier_wait -1
	ds_load_2addr_b64 v[110:113], v98 offset1:1
	ds_load_2addr_b64 v[114:117], v98 offset0:2 offset1:3
	s_wait_dscnt 0x0
	s_barrier_signal -1
	s_barrier_wait -1
	s_clause 0x3
	flat_load_b64 v[70:71], v[16:17]
	flat_load_b64 v[68:69], v[18:19]
	;; [unrolled: 1-line block ×4, first 2 shown]
	ds_load_b64 v[12:13], v89
	ds_load_b128 v[8:11], v96 offset:128
	v_add_f64_e32 v[110:111], 0, v[110:111]
	s_delay_alu instid0(VALU_DEP_1) | instskip(NEXT) | instid1(VALU_DEP_1)
	v_add_f64_e32 v[110:111], v[110:111], v[112:113]
	v_add_f64_e32 v[110:111], v[110:111], v[114:115]
	s_delay_alu instid0(VALU_DEP_1)
	v_add_f64_e32 v[110:111], v[110:111], v[116:117]
	s_wait_loadcnt_dscnt 0x301
	s_wait_xcnt 0x3
	v_mul_f64_e32 v[16:17], v[70:71], v[12:13]
	s_wait_loadcnt 0x2
	s_wait_xcnt 0x2
	v_mul_f64_e32 v[18:19], v[68:69], v[12:13]
	s_wait_loadcnt 0x1
	;; [unrolled: 3-line block ×3, first 2 shown]
	s_wait_xcnt 0x0
	v_mul_f64_e32 v[22:23], v[64:65], v[12:13]
	ds_load_b128 v[12:15], v96 offset:144
	ds_store_2addr_b64 v97, v[16:17], v[18:19] offset1:67
	ds_store_2addr_b64 v97, v[20:21], v[22:23] offset0:134 offset1:201
	s_wait_dscnt 0x0
	s_barrier_signal -1
	s_barrier_wait -1
	ds_load_2addr_b64 v[118:121], v98 offset1:1
	ds_load_2addr_b64 v[122:125], v98 offset0:2 offset1:3
	s_wait_dscnt 0x0
	s_barrier_signal -1
	s_barrier_wait -1
	s_clause 0x3
	flat_load_b64 v[78:79], v[24:25]
	flat_load_b64 v[76:77], v[26:27]
	;; [unrolled: 1-line block ×4, first 2 shown]
	ds_load_b64 v[20:21], v89
	ds_load_b128 v[16:19], v96 offset:256
	v_add_f64_e32 v[118:119], 0, v[118:119]
	s_delay_alu instid0(VALU_DEP_1) | instskip(NEXT) | instid1(VALU_DEP_1)
	v_add_f64_e32 v[112:113], v[118:119], v[120:121]
	v_add_f64_e32 v[112:113], v[112:113], v[122:123]
	s_delay_alu instid0(VALU_DEP_1)
	v_add_f64_e32 v[112:113], v[112:113], v[124:125]
	s_wait_loadcnt_dscnt 0x301
	s_wait_xcnt 0x3
	v_mul_f64_e32 v[24:25], v[78:79], v[20:21]
	s_wait_loadcnt 0x2
	s_wait_xcnt 0x2
	v_mul_f64_e32 v[26:27], v[76:77], v[20:21]
	s_wait_loadcnt 0x1
	;; [unrolled: 3-line block ×3, first 2 shown]
	s_wait_xcnt 0x0
	v_mul_f64_e32 v[30:31], v[72:73], v[20:21]
	ds_load_b128 v[20:23], v96 offset:272
	ds_store_2addr_b64 v97, v[24:25], v[26:27] offset1:67
	ds_store_2addr_b64 v97, v[28:29], v[30:31] offset0:134 offset1:201
	s_wait_dscnt 0x0
	s_barrier_signal -1
	s_barrier_wait -1
	ds_load_2addr_b64 v[126:129], v98 offset1:1
	ds_load_2addr_b64 v[130:133], v98 offset0:2 offset1:3
	s_wait_dscnt 0x0
	s_barrier_signal -1
	s_barrier_wait -1
	s_clause 0x3
	flat_load_b64 v[86:87], v[80:81]
	flat_load_b64 v[84:85], v[82:83]
	;; [unrolled: 1-line block ×4, first 2 shown]
	ds_load_b64 v[28:29], v89
	ds_load_b128 v[24:27], v96 offset:384
	v_add_f64_e32 v[126:127], 0, v[126:127]
	s_delay_alu instid0(VALU_DEP_1) | instskip(NEXT) | instid1(VALU_DEP_1)
	v_add_f64_e32 v[118:119], v[126:127], v[128:129]
	v_add_f64_e32 v[114:115], v[118:119], v[130:131]
	s_delay_alu instid0(VALU_DEP_1)
	v_add_f64_e32 v[114:115], v[114:115], v[132:133]
	s_wait_loadcnt_dscnt 0x301
	s_wait_xcnt 0x1
	v_mul_f64_e32 v[134:135], v[86:87], v[28:29]
	s_wait_loadcnt 0x2
	s_wait_xcnt 0x0
	v_mul_f64_e32 v[136:137], v[84:85], v[28:29]
	s_wait_loadcnt 0x1
	v_mul_f64_e32 v[138:139], v[82:83], v[28:29]
	s_wait_loadcnt 0x0
	v_mul_f64_e32 v[140:141], v[80:81], v[28:29]
	ds_load_b128 v[28:31], v96 offset:400
	ds_store_2addr_b64 v97, v[134:135], v[136:137] offset1:67
	ds_store_2addr_b64 v97, v[138:139], v[140:141] offset0:134 offset1:201
	s_wait_dscnt 0x0
	s_barrier_signal -1
	s_barrier_wait -1
	ds_load_2addr_b64 v[134:137], v98 offset1:1
	ds_load_2addr_b64 v[138:141], v98 offset0:2 offset1:3
	s_wait_dscnt 0x0
	s_barrier_signal -1
	s_barrier_wait -1
	v_add_f64_e32 v[134:135], 0, v[134:135]
	s_delay_alu instid0(VALU_DEP_1) | instskip(NEXT) | instid1(VALU_DEP_1)
	v_add_f64_e32 v[120:121], v[134:135], v[136:137]
	v_add_f64_e32 v[118:119], v[120:121], v[138:139]
	s_delay_alu instid0(VALU_DEP_1)
	v_add_f64_e32 v[116:117], v[118:119], v[140:141]
	ds_store_2addr_b64 v107, v[110:111], v[112:113] offset1:16
	ds_store_2addr_b64 v107, v[114:115], v[116:117] offset0:32 offset1:48
	s_wait_dscnt 0x0
	s_barrier_signal -1
	s_barrier_wait -1
	s_and_saveexec_b32 s99, s18
	s_cbranch_execz .LBB178_68
; %bb.72:                               ;   in Loop: Header=BB178_69 Depth=2
	ds_load_2addr_b64 v[110:113], v99 offset1:1
	ds_load_2addr_b64 v[114:117], v99 offset0:2 offset1:3
	s_wait_dscnt 0x1
	v_add_f64_e32 v[110:111], v[110:111], v[112:113]
	s_wait_dscnt 0x0
	s_delay_alu instid0(VALU_DEP_1) | instskip(NEXT) | instid1(VALU_DEP_1)
	v_add_f64_e32 v[110:111], v[110:111], v[114:115]
	v_add_f64_e32 v[118:119], v[110:111], v[116:117]
	ds_load_2addr_b64 v[110:113], v99 offset0:4 offset1:5
	ds_load_2addr_b64 v[114:117], v99 offset0:6 offset1:7
	s_wait_dscnt 0x1
	v_add_f64_e32 v[110:111], v[118:119], v[110:111]
	s_delay_alu instid0(VALU_DEP_1) | instskip(SKIP_1) | instid1(VALU_DEP_1)
	v_add_f64_e32 v[110:111], v[110:111], v[112:113]
	s_wait_dscnt 0x0
	v_add_f64_e32 v[110:111], v[110:111], v[114:115]
	s_delay_alu instid0(VALU_DEP_1) | instskip(SKIP_4) | instid1(VALU_DEP_1)
	v_add_f64_e32 v[118:119], v[110:111], v[116:117]
	ds_load_2addr_b64 v[110:113], v99 offset0:8 offset1:9
	ds_load_2addr_b64 v[114:117], v99 offset0:10 offset1:11
	s_wait_dscnt 0x1
	v_add_f64_e32 v[110:111], v[118:119], v[110:111]
	v_add_f64_e32 v[110:111], v[110:111], v[112:113]
	s_wait_dscnt 0x0
	s_delay_alu instid0(VALU_DEP_1) | instskip(NEXT) | instid1(VALU_DEP_1)
	v_add_f64_e32 v[110:111], v[110:111], v[114:115]
	v_add_f64_e32 v[114:115], v[110:111], v[116:117]
	ds_load_2addr_b64 v[110:113], v99 offset0:12 offset1:13
	ds_load_b64 v[116:117], v99 offset:112
	s_wait_dscnt 0x1
	v_add_f64_e32 v[110:111], v[114:115], v[110:111]
	s_delay_alu instid0(VALU_DEP_1) | instskip(SKIP_4) | instid1(VALU_DEP_1)
	v_add_f64_e32 v[110:111], v[110:111], v[112:113]
	ds_load_b64 v[112:113], v100
	s_wait_dscnt 0x1
	v_add_f64_e32 v[110:111], v[110:111], v[116:117]
	s_wait_dscnt 0x0
	v_add_f64_e32 v[110:111], v[110:111], v[112:113]
	global_store_b64 v108, v[110:111], s[96:97] scale_offset
	s_branch .LBB178_68
.LBB178_73:                             ;   in Loop: Header=BB178_4 Depth=1
	ds_store_b64 v101, v[50:51]
	s_wait_dscnt 0x0
	s_barrier_signal -1
	s_barrier_wait -1
	s_and_saveexec_b32 s98, vcc_hi
	s_cbranch_execz .LBB178_2
; %bb.74:                               ;   in Loop: Header=BB178_4 Depth=1
	ds_load_2addr_b64 v[0:3], v88 offset1:67
	s_wait_dscnt 0x0
	v_add_f64_e32 v[4:5], v[0:1], v[2:3]
	ds_load_2addr_b64 v[0:3], v88 offset0:134 offset1:201
	s_wait_dscnt 0x0
	v_add_f64_e32 v[0:1], v[4:5], v[0:1]
	s_delay_alu instid0(VALU_DEP_1)
	v_add_f64_e32 v[0:1], v[0:1], v[2:3]
	v_lshl_add_u64 v[2:3], v[36:37], 3, s[96:97]
	global_store_b64 v[2:3], v[0:1], off
	s_branch .LBB178_2
.LBB178_75:                             ;   in Loop: Header=BB178_4 Depth=1
	ds_load_b64 v[2:3], v104
	s_wait_dscnt 0x0
	ds_store_b64 v92, v[2:3]
	s_or_b32 exec_lo, exec_lo, s92
	s_and_saveexec_b32 s92, s7
	s_cbranch_execz .LBB178_26
.LBB178_76:                             ;   in Loop: Header=BB178_4 Depth=1
	ds_load_b64 v[2:3], v105
	s_wait_dscnt 0x0
	ds_store_b64 v92, v[2:3] offset:8
	s_or_b32 exec_lo, exec_lo, s92
	s_and_saveexec_b32 s92, s8
	s_cbranch_execz .LBB178_27
.LBB178_77:                             ;   in Loop: Header=BB178_4 Depth=1
	ds_load_b64 v[2:3], v105 offset:264
	s_wait_dscnt 0x0
	ds_store_b64 v92, v[2:3] offset:16
	s_or_b32 exec_lo, exec_lo, s92
	s_and_saveexec_b32 s92, s9
	s_cbranch_execnz .LBB178_28
	s_branch .LBB178_29
.LBB178_78:                             ;   in Loop: Header=BB178_4 Depth=1
	ds_load_b64 v[2:3], v104
	s_wait_dscnt 0x0
	ds_store_b64 v92, v[2:3]
	s_or_b32 exec_lo, exec_lo, s92
	s_and_saveexec_b32 s92, s7
	s_cbranch_execz .LBB178_45
.LBB178_79:                             ;   in Loop: Header=BB178_4 Depth=1
	ds_load_b64 v[2:3], v105
	s_wait_dscnt 0x0
	ds_store_b64 v92, v[2:3] offset:8
	s_or_b32 exec_lo, exec_lo, s92
	s_and_saveexec_b32 s92, s8
	s_cbranch_execz .LBB178_46
.LBB178_80:                             ;   in Loop: Header=BB178_4 Depth=1
	ds_load_b64 v[2:3], v105 offset:264
	s_wait_dscnt 0x0
	ds_store_b64 v92, v[2:3] offset:16
	s_or_b32 exec_lo, exec_lo, s92
	s_and_saveexec_b32 s92, s9
	s_cbranch_execnz .LBB178_47
	s_branch .LBB178_48
.LBB178_81:
	s_sendmsg sendmsg(MSG_DEALLOC_VGPRS)
	s_endpgm
	.section	.rodata,"a",@progbits
	.p2align	6, 0x0
	.amdhsa_kernel _ZL26rocblas_hemvn_kernel_lowerILb0ELi64ELi4ELi33ELi32ELi16EidPKPKdPdEviT6_lT7_lT5_lS6_lS7_lS5_lT8_i
		.amdhsa_group_segment_fixed_size 9600
		.amdhsa_private_segment_fixed_size 0
		.amdhsa_kernarg_size 376
		.amdhsa_user_sgpr_count 2
		.amdhsa_user_sgpr_dispatch_ptr 0
		.amdhsa_user_sgpr_queue_ptr 0
		.amdhsa_user_sgpr_kernarg_segment_ptr 1
		.amdhsa_user_sgpr_dispatch_id 0
		.amdhsa_user_sgpr_kernarg_preload_length 0
		.amdhsa_user_sgpr_kernarg_preload_offset 0
		.amdhsa_user_sgpr_private_segment_size 0
		.amdhsa_wavefront_size32 1
		.amdhsa_uses_dynamic_stack 0
		.amdhsa_enable_private_segment 0
		.amdhsa_system_sgpr_workgroup_id_x 1
		.amdhsa_system_sgpr_workgroup_id_y 0
		.amdhsa_system_sgpr_workgroup_id_z 1
		.amdhsa_system_sgpr_workgroup_info 0
		.amdhsa_system_vgpr_workitem_id 1
		.amdhsa_next_free_vgpr 142
		.amdhsa_next_free_sgpr 105
		.amdhsa_named_barrier_count 0
		.amdhsa_reserve_vcc 1
		.amdhsa_float_round_mode_32 0
		.amdhsa_float_round_mode_16_64 0
		.amdhsa_float_denorm_mode_32 3
		.amdhsa_float_denorm_mode_16_64 3
		.amdhsa_fp16_overflow 0
		.amdhsa_memory_ordered 1
		.amdhsa_forward_progress 1
		.amdhsa_inst_pref_size 43
		.amdhsa_round_robin_scheduling 0
		.amdhsa_exception_fp_ieee_invalid_op 0
		.amdhsa_exception_fp_denorm_src 0
		.amdhsa_exception_fp_ieee_div_zero 0
		.amdhsa_exception_fp_ieee_overflow 0
		.amdhsa_exception_fp_ieee_underflow 0
		.amdhsa_exception_fp_ieee_inexact 0
		.amdhsa_exception_int_div_zero 0
	.end_amdhsa_kernel
	.section	.text._ZL26rocblas_hemvn_kernel_lowerILb0ELi64ELi4ELi33ELi32ELi16EidPKPKdPdEviT6_lT7_lT5_lS6_lS7_lS5_lT8_i,"axG",@progbits,_ZL26rocblas_hemvn_kernel_lowerILb0ELi64ELi4ELi33ELi32ELi16EidPKPKdPdEviT6_lT7_lT5_lS6_lS7_lS5_lT8_i,comdat
.Lfunc_end178:
	.size	_ZL26rocblas_hemvn_kernel_lowerILb0ELi64ELi4ELi33ELi32ELi16EidPKPKdPdEviT6_lT7_lT5_lS6_lS7_lS5_lT8_i, .Lfunc_end178-_ZL26rocblas_hemvn_kernel_lowerILb0ELi64ELi4ELi33ELi32ELi16EidPKPKdPdEviT6_lT7_lT5_lS6_lS7_lS5_lT8_i
                                        ; -- End function
	.set _ZL26rocblas_hemvn_kernel_lowerILb0ELi64ELi4ELi33ELi32ELi16EidPKPKdPdEviT6_lT7_lT5_lS6_lS7_lS5_lT8_i.num_vgpr, 142
	.set _ZL26rocblas_hemvn_kernel_lowerILb0ELi64ELi4ELi33ELi32ELi16EidPKPKdPdEviT6_lT7_lT5_lS6_lS7_lS5_lT8_i.num_agpr, 0
	.set _ZL26rocblas_hemvn_kernel_lowerILb0ELi64ELi4ELi33ELi32ELi16EidPKPKdPdEviT6_lT7_lT5_lS6_lS7_lS5_lT8_i.numbered_sgpr, 105
	.set _ZL26rocblas_hemvn_kernel_lowerILb0ELi64ELi4ELi33ELi32ELi16EidPKPKdPdEviT6_lT7_lT5_lS6_lS7_lS5_lT8_i.num_named_barrier, 0
	.set _ZL26rocblas_hemvn_kernel_lowerILb0ELi64ELi4ELi33ELi32ELi16EidPKPKdPdEviT6_lT7_lT5_lS6_lS7_lS5_lT8_i.private_seg_size, 0
	.set _ZL26rocblas_hemvn_kernel_lowerILb0ELi64ELi4ELi33ELi32ELi16EidPKPKdPdEviT6_lT7_lT5_lS6_lS7_lS5_lT8_i.uses_vcc, 1
	.set _ZL26rocblas_hemvn_kernel_lowerILb0ELi64ELi4ELi33ELi32ELi16EidPKPKdPdEviT6_lT7_lT5_lS6_lS7_lS5_lT8_i.uses_flat_scratch, 1
	.set _ZL26rocblas_hemvn_kernel_lowerILb0ELi64ELi4ELi33ELi32ELi16EidPKPKdPdEviT6_lT7_lT5_lS6_lS7_lS5_lT8_i.has_dyn_sized_stack, 0
	.set _ZL26rocblas_hemvn_kernel_lowerILb0ELi64ELi4ELi33ELi32ELi16EidPKPKdPdEviT6_lT7_lT5_lS6_lS7_lS5_lT8_i.has_recursion, 0
	.set _ZL26rocblas_hemvn_kernel_lowerILb0ELi64ELi4ELi33ELi32ELi16EidPKPKdPdEviT6_lT7_lT5_lS6_lS7_lS5_lT8_i.has_indirect_call, 0
	.section	.AMDGPU.csdata,"",@progbits
; Kernel info:
; codeLenInByte = 5500
; TotalNumSgprs: 107
; NumVgprs: 142
; ScratchSize: 0
; MemoryBound: 0
; FloatMode: 240
; IeeeMode: 1
; LDSByteSize: 9600 bytes/workgroup (compile time only)
; SGPRBlocks: 0
; VGPRBlocks: 8
; NumSGPRsForWavesPerEU: 107
; NumVGPRsForWavesPerEU: 142
; NamedBarCnt: 0
; Occupancy: 7
; WaveLimiterHint : 1
; COMPUTE_PGM_RSRC2:SCRATCH_EN: 0
; COMPUTE_PGM_RSRC2:USER_SGPR: 2
; COMPUTE_PGM_RSRC2:TRAP_HANDLER: 0
; COMPUTE_PGM_RSRC2:TGID_X_EN: 1
; COMPUTE_PGM_RSRC2:TGID_Y_EN: 0
; COMPUTE_PGM_RSRC2:TGID_Z_EN: 1
; COMPUTE_PGM_RSRC2:TIDIG_COMP_CNT: 1
	.section	.text._ZL36rocblas_hemvn_kernel_lower_block_sumILi64EidPKPddEviT1_lS3_lT2_lT0_lPT3_i,"axG",@progbits,_ZL36rocblas_hemvn_kernel_lower_block_sumILi64EidPKPddEviT1_lS3_lT2_lT0_lPT3_i,comdat
	.globl	_ZL36rocblas_hemvn_kernel_lower_block_sumILi64EidPKPddEviT1_lS3_lT2_lT0_lPT3_i ; -- Begin function _ZL36rocblas_hemvn_kernel_lower_block_sumILi64EidPKPddEviT1_lS3_lT2_lT0_lPT3_i
	.p2align	8
	.type	_ZL36rocblas_hemvn_kernel_lower_block_sumILi64EidPKPddEviT1_lS3_lT2_lT0_lPT3_i,@function
_ZL36rocblas_hemvn_kernel_lower_block_sumILi64EidPKPddEviT1_lS3_lT2_lT0_lPT3_i: ; @_ZL36rocblas_hemvn_kernel_lower_block_sumILi64EidPKPddEviT1_lS3_lT2_lT0_lPT3_i
; %bb.0:
	s_load_b32 s3, s[0:1], 0x50
	s_bfe_u32 s2, ttmp6, 0x40014
	s_lshr_b32 s4, ttmp7, 16
	s_add_co_i32 s2, s2, 1
	s_bfe_u32 s6, ttmp6, 0x40008
	s_mul_i32 s5, s4, s2
	s_getreg_b32 s2, hwreg(HW_REG_IB_STS2, 6, 4)
	s_add_co_i32 s6, s6, s5
	s_cmp_eq_u32 s2, 0
	s_mov_b32 s9, 0
	s_cselect_b32 s8, s4, s6
	s_wait_kmcnt 0x0
	s_cmp_ge_u32 s8, s3
	s_cbranch_scc1 .LBB179_25
; %bb.1:
	s_clause 0x4
	s_load_b64 s[10:11], s[0:1], 0x8
	s_load_b64 s[12:13], s[0:1], 0x18
	s_load_b32 s14, s[0:1], 0x0
	s_load_b32 s15, s[0:1], 0x38
	s_load_b64 s[16:17], s[0:1], 0x48
	s_bfe_u32 s6, ttmp6, 0x4000c
	s_and_b32 s7, ttmp6, 15
	s_add_co_i32 s6, s6, 1
	s_delay_alu instid0(SALU_CYCLE_1) | instskip(NEXT) | instid1(SALU_CYCLE_1)
	s_mul_i32 s6, ttmp9, s6
	s_add_co_i32 s7, s7, s6
	s_wait_kmcnt 0x0
	v_cmp_neq_f64_e64 s4, s[10:11], 0
	v_cmp_neq_f64_e64 s5, s[12:13], 1.0
	v_cmp_eq_f64_e64 s20, s[12:13], 0
	v_cmp_eq_f64_e64 s23, s[10:11], 0
	v_cmp_neq_f64_e64 s24, s[12:13], 0
	s_or_b32 s21, s4, s5
	s_cmp_eq_u32 s2, 0
	s_cselect_b32 s22, ttmp9, s7
	s_load_b128 s[4:7], s[0:1], 0x28
	v_lshl_or_b32 v1, s22, 6, v0
	s_wait_xcnt 0x0
	s_add_nc_u64 s[0:1], s[0:1], 0x58
	s_delay_alu instid0(VALU_DEP_1) | instskip(SKIP_3) | instid1(SALU_CYCLE_1)
	v_mad_u32 v2, s14, s22, v1
	v_mul_lo_u32 v0, s15, v1
	v_cmp_gt_i32_e64 s2, s14, v1
	s_ashr_i32 s15, s14, 31
	s_lshl_b64 s[14:15], s[14:15], 3
	v_dual_ashrrev_i32 v3, 31, v2 :: v_dual_ashrrev_i32 v1, 31, v0
	s_wait_kmcnt 0x0
	s_lshl_b64 s[6:7], s[6:7], 3
	s_delay_alu instid0(VALU_DEP_1)
	v_lshl_add_u64 v[2:3], v[2:3], 3, s[16:17]
	s_branch .LBB179_4
.LBB179_2:                              ;   in Loop: Header=BB179_4 Depth=1
	s_wait_xcnt 0x0
	s_or_b32 exec_lo, exec_lo, s18
.LBB179_3:                              ;   in Loop: Header=BB179_4 Depth=1
	s_add_co_i32 s8, s8, 0x10000
	s_delay_alu instid0(SALU_CYCLE_1)
	s_cmp_lt_u32 s8, s3
	s_cbranch_scc0 .LBB179_25
.LBB179_4:                              ; =>This Loop Header: Depth=1
                                        ;     Child Loop BB179_16 Depth 2
	s_and_not1_b32 vcc_lo, exec_lo, s21
	s_cbranch_vccnz .LBB179_3
; %bb.5:                                ;   in Loop: Header=BB179_4 Depth=1
	s_lshl_b64 s[16:17], s[8:9], 3
	s_and_not1_b32 vcc_lo, exec_lo, s23
	s_add_nc_u64 s[16:17], s[4:5], s[16:17]
	s_load_b64 s[16:17], s[16:17], 0x0
	s_wait_kmcnt 0x0
	s_wait_xcnt 0x0
	s_add_nc_u64 s[16:17], s[16:17], s[6:7]
	s_cbranch_vccnz .LBB179_9
; %bb.6:                                ;   in Loop: Header=BB179_4 Depth=1
	s_mov_b32 s18, 0
	s_mov_b32 s25, 0
                                        ; implicit-def: $vgpr4_vgpr5
	s_and_saveexec_b32 s19, s2
	s_cbranch_execz .LBB179_10
; %bb.7:                                ;   in Loop: Header=BB179_4 Depth=1
	s_and_not1_b32 vcc_lo, exec_lo, s24
	s_cbranch_vccnz .LBB179_11
; %bb.8:                                ;   in Loop: Header=BB179_4 Depth=1
	v_lshl_add_u64 v[4:5], v[0:1], 3, s[16:17]
	flat_load_b64 v[4:5], v[4:5]
	s_wait_loadcnt_dscnt 0x0
	s_wait_xcnt 0x0
	v_mul_f64_e32 v[4:5], s[12:13], v[4:5]
	s_branch .LBB179_12
.LBB179_9:                              ;   in Loop: Header=BB179_4 Depth=1
	s_mov_b32 s25, 0
                                        ; implicit-def: $vgpr4_vgpr5
	s_cbranch_execnz .LBB179_13
	s_branch .LBB179_23
.LBB179_10:                             ;   in Loop: Header=BB179_4 Depth=1
	s_or_b32 exec_lo, exec_lo, s19
	s_delay_alu instid0(SALU_CYCLE_1)
	s_and_b32 vcc_lo, exec_lo, s18
	s_cbranch_vccnz .LBB179_13
	s_branch .LBB179_23
.LBB179_11:                             ;   in Loop: Header=BB179_4 Depth=1
	v_mov_b64_e32 v[4:5], 0
.LBB179_12:                             ;   in Loop: Header=BB179_4 Depth=1
	s_mov_b32 s25, exec_lo
	s_or_b32 exec_lo, exec_lo, s19
	s_delay_alu instid0(SALU_CYCLE_1)
	s_and_b32 vcc_lo, exec_lo, s18
	s_cbranch_vccz .LBB179_23
.LBB179_13:                             ;   in Loop: Header=BB179_4 Depth=1
                                        ; implicit-def: $vgpr4_vgpr5
	s_and_saveexec_b32 s26, s2
	s_cbranch_execz .LBB179_22
; %bb.14:                               ;   in Loop: Header=BB179_4 Depth=1
	s_load_b32 s18, s[0:1], 0x0
	v_mov_b64_e32 v[6:7], 0
	s_wait_kmcnt 0x0
	s_cmp_ge_i32 s22, s18
	s_cbranch_scc1 .LBB179_17
; %bb.15:                               ;   in Loop: Header=BB179_4 Depth=1
	s_mov_b32 s19, s9
	v_mov_b64_e32 v[6:7], 0
	s_mul_u64 s[28:29], s[14:15], s[18:19]
	s_mov_b32 s19, s22
	v_mad_nc_u64_u32 v[4:5], s28, s8, v[2:3]
	s_delay_alu instid0(VALU_DEP_1)
	v_mad_u32 v5, s29, s8, v5
.LBB179_16:                             ;   Parent Loop BB179_4 Depth=1
                                        ; =>  This Inner Loop Header: Depth=2
	global_load_b64 v[8:9], v[4:5], off
	s_wait_xcnt 0x0
	v_add_nc_u64_e32 v[4:5], s[14:15], v[4:5]
	s_add_co_i32 s19, s19, 1
	s_delay_alu instid0(SALU_CYCLE_1)
	s_cmp_ge_i32 s19, s18
	s_wait_loadcnt 0x0
	v_add_f64_e32 v[6:7], v[6:7], v[8:9]
	s_cbranch_scc0 .LBB179_16
.LBB179_17:                             ;   in Loop: Header=BB179_4 Depth=1
	s_and_b32 vcc_lo, exec_lo, s20
	s_mov_b32 s18, -1
                                        ; implicit-def: $vgpr4_vgpr5
	s_cbranch_vccz .LBB179_19
; %bb.18:                               ;   in Loop: Header=BB179_4 Depth=1
	s_delay_alu instid0(VALU_DEP_1)
	v_mul_f64_e32 v[4:5], s[10:11], v[6:7]
	s_mov_b32 s18, 0
.LBB179_19:                             ;   in Loop: Header=BB179_4 Depth=1
	s_delay_alu instid0(SALU_CYCLE_1)
	s_and_not1_b32 vcc_lo, exec_lo, s18
	s_cbranch_vccnz .LBB179_21
; %bb.20:                               ;   in Loop: Header=BB179_4 Depth=1
	v_lshl_add_u64 v[4:5], v[0:1], 3, s[16:17]
	flat_load_b64 v[4:5], v[4:5]
	s_wait_loadcnt_dscnt 0x0
	s_wait_xcnt 0x0
	v_mul_f64_e32 v[4:5], s[12:13], v[4:5]
	s_delay_alu instid0(VALU_DEP_1)
	v_fmac_f64_e32 v[4:5], s[10:11], v[6:7]
.LBB179_21:                             ;   in Loop: Header=BB179_4 Depth=1
	s_or_b32 s25, s25, exec_lo
.LBB179_22:                             ;   in Loop: Header=BB179_4 Depth=1
	s_or_b32 exec_lo, exec_lo, s26
.LBB179_23:                             ;   in Loop: Header=BB179_4 Depth=1
	s_and_saveexec_b32 s18, s25
	s_cbranch_execz .LBB179_2
; %bb.24:                               ;   in Loop: Header=BB179_4 Depth=1
	v_lshl_add_u64 v[6:7], v[0:1], 3, s[16:17]
	flat_store_b64 v[6:7], v[4:5]
	s_branch .LBB179_2
.LBB179_25:
	s_endpgm
	.section	.rodata,"a",@progbits
	.p2align	6, 0x0
	.amdhsa_kernel _ZL36rocblas_hemvn_kernel_lower_block_sumILi64EidPKPddEviT1_lS3_lT2_lT0_lPT3_i
		.amdhsa_group_segment_fixed_size 0
		.amdhsa_private_segment_fixed_size 0
		.amdhsa_kernarg_size 344
		.amdhsa_user_sgpr_count 2
		.amdhsa_user_sgpr_dispatch_ptr 0
		.amdhsa_user_sgpr_queue_ptr 0
		.amdhsa_user_sgpr_kernarg_segment_ptr 1
		.amdhsa_user_sgpr_dispatch_id 0
		.amdhsa_user_sgpr_kernarg_preload_length 0
		.amdhsa_user_sgpr_kernarg_preload_offset 0
		.amdhsa_user_sgpr_private_segment_size 0
		.amdhsa_wavefront_size32 1
		.amdhsa_uses_dynamic_stack 0
		.amdhsa_enable_private_segment 0
		.amdhsa_system_sgpr_workgroup_id_x 1
		.amdhsa_system_sgpr_workgroup_id_y 0
		.amdhsa_system_sgpr_workgroup_id_z 1
		.amdhsa_system_sgpr_workgroup_info 0
		.amdhsa_system_vgpr_workitem_id 0
		.amdhsa_next_free_vgpr 10
		.amdhsa_next_free_sgpr 30
		.amdhsa_named_barrier_count 0
		.amdhsa_reserve_vcc 1
		.amdhsa_float_round_mode_32 0
		.amdhsa_float_round_mode_16_64 0
		.amdhsa_float_denorm_mode_32 3
		.amdhsa_float_denorm_mode_16_64 3
		.amdhsa_fp16_overflow 0
		.amdhsa_memory_ordered 1
		.amdhsa_forward_progress 1
		.amdhsa_inst_pref_size 6
		.amdhsa_round_robin_scheduling 0
		.amdhsa_exception_fp_ieee_invalid_op 0
		.amdhsa_exception_fp_denorm_src 0
		.amdhsa_exception_fp_ieee_div_zero 0
		.amdhsa_exception_fp_ieee_overflow 0
		.amdhsa_exception_fp_ieee_underflow 0
		.amdhsa_exception_fp_ieee_inexact 0
		.amdhsa_exception_int_div_zero 0
	.end_amdhsa_kernel
	.section	.text._ZL36rocblas_hemvn_kernel_lower_block_sumILi64EidPKPddEviT1_lS3_lT2_lT0_lPT3_i,"axG",@progbits,_ZL36rocblas_hemvn_kernel_lower_block_sumILi64EidPKPddEviT1_lS3_lT2_lT0_lPT3_i,comdat
.Lfunc_end179:
	.size	_ZL36rocblas_hemvn_kernel_lower_block_sumILi64EidPKPddEviT1_lS3_lT2_lT0_lPT3_i, .Lfunc_end179-_ZL36rocblas_hemvn_kernel_lower_block_sumILi64EidPKPddEviT1_lS3_lT2_lT0_lPT3_i
                                        ; -- End function
	.set _ZL36rocblas_hemvn_kernel_lower_block_sumILi64EidPKPddEviT1_lS3_lT2_lT0_lPT3_i.num_vgpr, 10
	.set _ZL36rocblas_hemvn_kernel_lower_block_sumILi64EidPKPddEviT1_lS3_lT2_lT0_lPT3_i.num_agpr, 0
	.set _ZL36rocblas_hemvn_kernel_lower_block_sumILi64EidPKPddEviT1_lS3_lT2_lT0_lPT3_i.numbered_sgpr, 30
	.set _ZL36rocblas_hemvn_kernel_lower_block_sumILi64EidPKPddEviT1_lS3_lT2_lT0_lPT3_i.num_named_barrier, 0
	.set _ZL36rocblas_hemvn_kernel_lower_block_sumILi64EidPKPddEviT1_lS3_lT2_lT0_lPT3_i.private_seg_size, 0
	.set _ZL36rocblas_hemvn_kernel_lower_block_sumILi64EidPKPddEviT1_lS3_lT2_lT0_lPT3_i.uses_vcc, 1
	.set _ZL36rocblas_hemvn_kernel_lower_block_sumILi64EidPKPddEviT1_lS3_lT2_lT0_lPT3_i.uses_flat_scratch, 0
	.set _ZL36rocblas_hemvn_kernel_lower_block_sumILi64EidPKPddEviT1_lS3_lT2_lT0_lPT3_i.has_dyn_sized_stack, 0
	.set _ZL36rocblas_hemvn_kernel_lower_block_sumILi64EidPKPddEviT1_lS3_lT2_lT0_lPT3_i.has_recursion, 0
	.set _ZL36rocblas_hemvn_kernel_lower_block_sumILi64EidPKPddEviT1_lS3_lT2_lT0_lPT3_i.has_indirect_call, 0
	.section	.AMDGPU.csdata,"",@progbits
; Kernel info:
; codeLenInByte = 716
; TotalNumSgprs: 32
; NumVgprs: 10
; ScratchSize: 0
; MemoryBound: 0
; FloatMode: 240
; IeeeMode: 1
; LDSByteSize: 0 bytes/workgroup (compile time only)
; SGPRBlocks: 0
; VGPRBlocks: 0
; NumSGPRsForWavesPerEU: 32
; NumVGPRsForWavesPerEU: 10
; NamedBarCnt: 0
; Occupancy: 16
; WaveLimiterHint : 1
; COMPUTE_PGM_RSRC2:SCRATCH_EN: 0
; COMPUTE_PGM_RSRC2:USER_SGPR: 2
; COMPUTE_PGM_RSRC2:TRAP_HANDLER: 0
; COMPUTE_PGM_RSRC2:TGID_X_EN: 1
; COMPUTE_PGM_RSRC2:TGID_Y_EN: 0
; COMPUTE_PGM_RSRC2:TGID_Z_EN: 1
; COMPUTE_PGM_RSRC2:TIDIG_COMP_CNT: 0
	.section	.text._ZL26rocblas_hemvn_kernel_upperILb0ELi64ELi4ELi33ELi32ELi16ElPK19rocblas_complex_numIfEPKS3_PS1_EviT6_lT7_lT5_lS8_lS9_lS7_lT8_i,"axG",@progbits,_ZL26rocblas_hemvn_kernel_upperILb0ELi64ELi4ELi33ELi32ELi16ElPK19rocblas_complex_numIfEPKS3_PS1_EviT6_lT7_lT5_lS8_lS9_lS7_lT8_i,comdat
	.globl	_ZL26rocblas_hemvn_kernel_upperILb0ELi64ELi4ELi33ELi32ELi16ElPK19rocblas_complex_numIfEPKS3_PS1_EviT6_lT7_lT5_lS8_lS9_lS7_lT8_i ; -- Begin function _ZL26rocblas_hemvn_kernel_upperILb0ELi64ELi4ELi33ELi32ELi16ElPK19rocblas_complex_numIfEPKS3_PS1_EviT6_lT7_lT5_lS8_lS9_lS7_lT8_i
	.p2align	8
	.type	_ZL26rocblas_hemvn_kernel_upperILb0ELi64ELi4ELi33ELi32ELi16ElPK19rocblas_complex_numIfEPKS3_PS1_EviT6_lT7_lT5_lS8_lS9_lS7_lT8_i,@function
_ZL26rocblas_hemvn_kernel_upperILb0ELi64ELi4ELi33ELi32ELi16ElPK19rocblas_complex_numIfEPKS3_PS1_EviT6_lT7_lT5_lS8_lS9_lS7_lT8_i: ; @_ZL26rocblas_hemvn_kernel_upperILb0ELi64ELi4ELi33ELi32ELi16ElPK19rocblas_complex_numIfEPKS3_PS1_EviT6_lT7_lT5_lS8_lS9_lS7_lT8_i
; %bb.0:
	s_clause 0x1
	s_load_b64 s[2:3], s[0:1], 0x84
	s_load_b32 s33, s[0:1], 0x70
	s_bfe_u32 s4, ttmp6, 0x40014
	s_lshr_b32 s5, ttmp7, 16
	s_add_co_i32 s4, s4, 1
	s_bfe_u32 s6, ttmp6, 0x40008
	s_mul_i32 s7, s5, s4
	s_getreg_b32 s4, hwreg(HW_REG_IB_STS2, 6, 4)
	s_add_co_i32 s6, s6, s7
	s_mov_b32 s35, 0
	s_wait_kmcnt 0x0
	s_lshr_b32 s7, s2, 16
	s_and_b32 s2, s2, 0xffff
	s_and_b32 s3, s3, 0xffff
	s_mul_i32 s2, s7, s2
	s_cmp_eq_u32 s4, 0
	s_mul_i32 s2, s2, s3
	s_cselect_b32 s34, s5, s6
	s_cmp_lg_u32 s2, 0x100
	s_cselect_b32 s2, -1, 0
	s_cmp_ge_u32 s34, s33
	s_cselect_b32 s3, -1, 0
	s_delay_alu instid0(SALU_CYCLE_1) | instskip(NEXT) | instid1(SALU_CYCLE_1)
	s_or_b32 s2, s2, s3
	s_and_b32 vcc_lo, exec_lo, s2
	s_cbranch_vccnz .LBB180_132
; %bb.1:
	s_load_b32 s2, s[0:1], 0x0
	v_and_b32_e32 v172, 0x3ff, v0
	v_bfe_u32 v1, v0, 10, 10
	s_add_nc_u64 s[6:7], s[0:1], 0x78
	s_clause 0x2
	s_load_b256 s[20:27], s[0:1], 0x8
	s_load_b64 s[18:19], s[0:1], 0x28
	s_load_b128 s[28:31], s[0:1], 0x38
	s_load_b32 s40, s[6:7], 0x0
	s_clause 0x2
	s_load_b64 s[8:9], s[0:1], 0x68
	s_load_b64 s[42:43], s[0:1], 0x48
	s_load_b128 s[36:39], s[0:1], 0x58
	v_dual_mov_b32 v59, 0 :: v_dual_bitop2_b32 v56, 31, v0 bitop3:0x40
	v_lshl_add_u32 v36, v1, 6, v172
	s_wait_xcnt 0x0
	s_bfe_u32 s1, ttmp6, 0x4000c
	s_and_b32 s0, ttmp6, 15
	s_add_co_i32 s1, s1, 1
	v_dual_mov_b32 v57, v59 :: v_dual_lshrrev_b32 v37, 5, v36
	s_mul_i32 s1, ttmp9, s1
	v_lshlrev_b32_e32 v38, 3, v56
	s_add_co_i32 s0, s0, s1
	v_and_b32_e32 v6, 0x7fe0, v36
	v_dual_add_nc_u32 v40, 24, v37 :: v_dual_lshlrev_b32 v2, 2, v37
	s_wait_kmcnt 0x0
	v_mad_nc_u64_u32 v[62:63], s18, v37, v[56:57]
	s_ashr_i32 s3, s2, 31
	s_cmp_eq_u32 s4, 0
	v_dual_lshlrev_b32 v58, 5, v1 :: v_dual_bitop2_b32 v3, 1, v2 bitop3:0x54
	s_cselect_b32 s44, ttmp9, s0
	s_lshr_b32 s0, s3, 26
	s_add_co_i32 s1, s40, -1
	s_add_co_i32 s0, s2, s0
	s_lshl_b32 s72, s44, 6
	s_and_not1_b32 s0, s0, 63
	v_cmp_gt_u32_e64 s6, v2, v56
	s_sub_co_i32 s76, s2, s0
	s_cmp_eq_u32 s44, s1
	v_cmp_ge_u32_e64 s7, v2, v56
	v_mul_u32_u24_e32 v42, 0x108, v3
	v_dual_lshlrev_b32 v178, 2, v1 :: v_dual_bitop2_b32 v7, 2, v2 bitop3:0x54
	v_or_b32_e32 v8, 3, v2
	v_add_nc_u64_e32 v[2:3], 0x110, v[58:59]
	s_cselect_b32 s46, s76, 0
	v_add_nc_u32_e32 v35, 16, v37
	s_cmp_lg_u32 s46, 0
	v_lshl_or_b32 v173, v56, 8, v38
	s_cselect_b32 s77, -1, 0
	s_cmp_eq_u32 s46, 0
	v_add_nc_u64_e32 v[4:5], 0x108, v[58:59]
	s_cselect_b32 s1, -1, 0
	s_ashr_i32 s45, s44, 31
	v_mul_u64_e32 v[2:3], s[18:19], v[2:3]
	v_dual_add_nc_u32 v60, s72, v172 :: v_dual_lshlrev_b32 v64, 3, v172
	v_dual_add_nc_u32 v174, v173, v6 :: v_dual_lshlrev_b32 v43, 3, v37
	v_mul_u32_u24_e32 v9, 33, v56
	s_mul_u64 s[4:5], s[2:3], s[44:45]
	s_mov_b32 s41, s35
	s_lshl_b64 s[4:5], s[4:5], 3
	s_sub_co_i32 s15, s46, 32
	v_mul_u64_e32 v[4:5], s[18:19], v[4:5]
	v_dual_ashrrev_i32 v61, 31, v60 :: v_dual_add_nc_u32 v34, 8, v37
	s_mul_u64 s[48:49], s[40:41], s[2:3]
	s_add_nc_u64 s[50:51], s[8:9], s[4:5]
	v_mad_u32 v63, s19, v37, v63
	v_cmp_gt_i32_e64 s2, s46, v37
	v_mul_u32_u24_e32 v39, 0x108, v37
	v_mul_u32_u24_e32 v41, 0x420, v37
	v_cmp_gt_u32_e64 s8, v7, v56
	v_add_nc_u32_e32 v175, 0x2380, v6
	v_lshl_add_u32 v176, v9, 3, v43
	v_add_nc_u64_e32 v[6:7], 0x100, v[58:59]
	v_add_nc_u64_e32 v[10:11], 0x190, v[58:59]
	;; [unrolled: 1-line block ×13, first 2 shown]
	v_cmp_gt_i32_e64 s12, s15, v37
	v_cmp_eq_u32_e64 s16, 1, v37
	v_mul_i32_i24_e32 v177, 0xffffffe8, v37
	v_lshrrev_b32_e32 v37, 4, v36
	v_cmp_gt_u32_e64 s9, v8, v56
	v_add_nc_u64_e32 v[8:9], 0x118, v[58:59]
	v_mul_u64_e32 v[6:7], s[18:19], v[6:7]
	v_mul_u64_e32 v[10:11], s[18:19], v[10:11]
	v_mul_u64_e32 v[12:13], s[18:19], v[12:13]
	v_mul_u64_e32 v[14:15], s[18:19], v[14:15]
	v_mul_u64_e32 v[16:17], s[18:19], v[16:17]
	v_mul_u64_e32 v[18:19], s[18:19], v[18:19]
	v_mul_u64_e32 v[8:9], s[18:19], v[8:9]
	v_mul_u64_e32 v[20:21], s[18:19], v[20:21]
	v_mul_u64_e32 v[22:23], s[18:19], v[22:23]
	v_mul_u64_e32 v[24:25], s[18:19], v[24:25]
	v_mul_u64_e32 v[26:27], s[18:19], v[26:27]
	v_mul_u64_e32 v[28:29], s[18:19], v[28:29]
	v_mul_u64_e32 v[30:31], s[18:19], v[30:31]
	v_mul_u64_e32 v[32:33], s[18:19], v[32:33]
	v_mul_u64_e32 v[98:99], s[42:43], v[60:61]
	v_cmp_gt_i32_e64 s3, s46, v34
	v_cmp_gt_i32_e64 s4, s46, v35
	;; [unrolled: 1-line block ×4, first 2 shown]
	v_lshlrev_b64_e32 v[34:35], 3, v[62:63]
	v_dual_add_nc_u32 v184, v38, v39 :: v_dual_bitop2_b32 v44, 32, v56 bitop3:0x54
	v_cmp_gt_i32_e32 vcc_lo, s46, v172
	v_cmp_eq_u32_e64 s0, 0, v1
	s_add_co_i32 s17, s44, 1
	v_sub_nc_u64_e32 v[100:101], 0, v[56:57]
	v_sub_nc_u64_e32 v[66:67], v[2:3], v[34:35]
	v_and_b32_e32 v2, 48, v0
	v_sub_nc_u64_e32 v[68:69], v[4:5], v[34:35]
	v_dual_lshlrev_b32 v3, 5, v37 :: v_dual_bitop2_b32 v0, 15, v0 bitop3:0x40
	v_or_b32_e32 v4, 0x78, v64
	s_delay_alu instid0(VALU_DEP_4)
	v_lshlrev_b32_e32 v2, 3, v2
	s_or_b32 s64, s1, vcc_lo
	v_sub_nc_u64_e32 v[70:71], v[6:7], v[34:35]
	v_mad_u32_u24 v179, 0x218, v0, v3
	v_mad_u32_u24 v181, 0x218, v0, v4
	;; [unrolled: 1-line block ×3, first 2 shown]
	v_mul_i32_i24_e32 v0, 0xffffffe8, v37
	v_sub_nc_u64_e32 v[72:73], v[8:9], v[34:35]
	v_sub_nc_u64_e32 v[74:75], v[10:11], v[34:35]
	;; [unrolled: 1-line block ×13, first 2 shown]
	v_mov_b64_e32 v[102:103], 0
	s_xor_b32 s78, s64, -1
	s_ashr_i32 s73, s72, 31
	s_ashr_i32 s47, s46, 31
	s_lshl_b64 s[54:55], s[18:19], 6
	s_lshl_b64 s[56:57], s[18:19], 7
	;; [unrolled: 1-line block ×3, first 2 shown]
	v_cmp_gt_i32_e64 s1, s46, v56
	v_cmp_gt_i32_e64 s5, s46, v40
	v_cmp_gt_u32_e64 s10, 32, v36
	v_cmp_gt_i32_e64 s11, s46, v44
	v_cmp_gt_i32_e64 s15, s15, v40
	s_cmp_lt_u32 s17, s40
	v_cmp_gt_u32_e64 s17, 64, v36
	v_mad_u32_u24 v182, 0x860, v1, v64
	v_mad_u32_u24 v183, 0x218, v1, v64
	v_dual_add_nc_u32 v185, v38, v41 :: v_dual_add_nc_u32 v186, v38, v42
	v_dual_add_nc_u32 v187, v173, v43 :: v_dual_mov_b32 v65, v59
	v_add_nc_u32_e32 v188, 0x2380, v43
	v_dual_add_nc_u32 v189, v179, v0 :: v_dual_bitop2_b32 v193, 1, v178 bitop3:0x54
	v_add_nc_u32_e32 v190, 0x2380, v64
	v_add_nc_u32_e32 v191, 0x2180, v64
	;; [unrolled: 1-line block ×3, first 2 shown]
	v_dual_add_nc_u32 v196, 16, v178 :: v_dual_bitop2_b32 v194, 2, v178 bitop3:0x54
	v_dual_add_nc_u32 v197, 17, v178 :: v_dual_bitop2_b32 v195, 3, v178 bitop3:0x54
	v_dual_add_nc_u32 v198, 18, v178 :: v_dual_add_nc_u32 v199, 19, v178
	v_dual_add_nc_u32 v200, 32, v178 :: v_dual_add_nc_u32 v201, 33, v178
	;; [unrolled: 1-line block ×5, first 2 shown]
	s_mul_u64 s[62:63], s[42:43], s[72:73]
	s_mul_u64 s[52:53], s[18:19], s[72:73]
	;; [unrolled: 1-line block ×3, first 2 shown]
	s_sub_nc_u64 s[62:63], 0, s[62:63]
	s_cselect_b32 s41, -1, 0
	s_add_co_i32 s45, s40, -2
	s_and_b32 s79, s0, s64
	s_sub_nc_u64 s[64:65], 0, s[46:47]
	s_add_co_i32 s80, s72, 64
	s_lshl_b64 s[66:67], s[18:19], 9
	s_mov_b64 s[68:69], 0xffffffffffffff00
	s_mov_b64 s[70:71], 0xfffffffffffffef8
	s_lshl_b64 s[30:31], s[30:31], 3
	s_lshl_b64 s[26:27], s[26:27], 3
	;; [unrolled: 1-line block ×3, first 2 shown]
	s_branch .LBB180_4
.LBB180_2:                              ;   in Loop: Header=BB180_4 Depth=1
	s_wait_xcnt 0x0
	s_or_b32 exec_lo, exec_lo, s74
.LBB180_3:                              ;   in Loop: Header=BB180_4 Depth=1
	s_add_co_i32 s34, s34, 0x10000
	s_delay_alu instid0(SALU_CYCLE_1)
	s_cmp_lt_u32 s34, s33
	s_cbranch_scc0 .LBB180_132
.LBB180_4:                              ; =>This Loop Header: Depth=1
                                        ;     Child Loop BB180_69 Depth 2
	s_mul_u64 s[18:19], s[22:23], s[34:35]
	s_delay_alu instid0(SALU_CYCLE_1) | instskip(NEXT) | instid1(SALU_CYCLE_1)
	s_lshl_b64 s[18:19], s[18:19], 3
	s_add_nc_u64 s[18:19], s[20:21], s[18:19]
	global_load_b64 v[0:1], v59, s[18:19]
	s_wait_xcnt 0x0
	s_mov_b32 s18, -1
	s_wait_loadcnt 0x0
	v_or_b32_e32 v0, v0, v1
	s_delay_alu instid0(VALU_DEP_1) | instskip(NEXT) | instid1(VALU_DEP_1)
	v_and_b32_e32 v0, 0x7fffffff, v0
	v_cmp_ne_u32_e32 vcc_lo, 0, v0
	s_cbranch_vccz .LBB180_6
; %bb.5:                                ;   in Loop: Header=BB180_4 Depth=1
	s_and_not1_b32 vcc_lo, exec_lo, s18
	s_cbranch_vccnz .LBB180_3
	s_branch .LBB180_7
.LBB180_6:                              ;   in Loop: Header=BB180_4 Depth=1
	s_mul_u64 s[18:19], s[38:39], s[34:35]
	s_delay_alu instid0(SALU_CYCLE_1) | instskip(NEXT) | instid1(SALU_CYCLE_1)
	s_lshl_b64 s[18:19], s[18:19], 3
	s_add_nc_u64 s[18:19], s[36:37], s[18:19]
	global_load_b64 v[0:1], v59, s[18:19]
	s_wait_loadcnt 0x0
	v_cmp_eq_f32_e32 vcc_lo, 1.0, v0
	s_wait_xcnt 0x0
	v_cmp_eq_f32_e64 s18, 0, v1
	s_and_b32 s18, vcc_lo, s18
	s_delay_alu instid0(SALU_CYCLE_1)
	s_and_not1_b32 vcc_lo, exec_lo, s18
	s_cbranch_execnz .LBB180_3
.LBB180_7:                              ;   in Loop: Header=BB180_4 Depth=1
	s_lshl_b64 s[18:19], s[34:35], 3
	s_delay_alu instid0(SALU_CYCLE_1)
	s_add_nc_u64 s[74:75], s[28:29], s[18:19]
	s_add_nc_u64 s[18:19], s[24:25], s[18:19]
	s_clause 0x1
	global_load_b64 v[2:3], v59, s[74:75]
	global_load_b64 v[0:1], v59, s[18:19]
	s_wait_loadcnt 0x1
	v_add_nc_u64_e32 v[2:3], s[30:31], v[2:3]
	s_delay_alu instid0(VALU_DEP_1)
	v_lshl_add_u64 v[12:13], v[98:99], 3, v[2:3]
	s_wait_xcnt 0x0
	s_and_saveexec_b32 s18, s0
	s_cbranch_execz .LBB180_12
; %bb.8:                                ;   in Loop: Header=BB180_4 Depth=1
	s_and_saveexec_b32 s19, s78
	s_delay_alu instid0(SALU_CYCLE_1)
	s_xor_b32 s19, exec_lo, s19
; %bb.9:                                ;   in Loop: Header=BB180_4 Depth=1
	ds_store_b64 v190, v[102:103]
; %bb.10:                               ;   in Loop: Header=BB180_4 Depth=1
	s_and_not1_saveexec_b32 s19, s19
	s_cbranch_execz .LBB180_12
; %bb.11:                               ;   in Loop: Header=BB180_4 Depth=1
	flat_load_b64 v[2:3], v[12:13]
	s_wait_loadcnt_dscnt 0x0
	ds_store_b64 v190, v[2:3]
.LBB180_12:                             ;   in Loop: Header=BB180_4 Depth=1
	s_wait_xcnt 0x0
	s_or_b32 exec_lo, exec_lo, s18
	s_wait_loadcnt 0x0
	v_add_nc_u64_e32 v[0:1], s[26:27], v[0:1]
	s_and_b32 vcc_lo, exec_lo, s77
	s_mov_b32 s18, -1
	s_delay_alu instid0(VALU_DEP_1) | instskip(NEXT) | instid1(VALU_DEP_1)
	v_add_nc_u64_e32 v[0:1], s[72:73], v[0:1]
	v_lshl_add_u64 v[0:1], v[62:63], 3, v[0:1]
	s_delay_alu instid0(VALU_DEP_1)
	v_lshl_add_u64 v[2:3], s[52:53], 3, v[0:1]
                                        ; implicit-def: $vgpr0_vgpr1
	s_cbranch_vccz .LBB180_22
; %bb.13:                               ;   in Loop: Header=BB180_4 Depth=1
	s_delay_alu instid0(VALU_DEP_1) | instskip(SKIP_2) | instid1(VALU_DEP_3)
	v_lshl_add_u64 v[0:1], v[100:101], 3, v[2:3]
	v_dual_mov_b32 v6, 0 :: v_dual_mov_b32 v4, 0
	v_mov_b32_e32 v5, 0
	v_lshl_add_u64 v[0:1], s[46:47], 3, v[0:1]
	s_delay_alu instid0(VALU_DEP_1) | instskip(NEXT) | instid1(VALU_DEP_1)
	v_add_nc_u64_e32 v[0:1], -8, v[0:1]
	v_dual_cndmask_b32 v1, v1, v3, s1 :: v_dual_cndmask_b32 v0, v0, v2, s1
	s_and_saveexec_b32 s18, s2
	s_cbranch_execz .LBB180_15
; %bb.14:                               ;   in Loop: Header=BB180_4 Depth=1
	flat_load_b64 v[4:5], v[0:1]
.LBB180_15:                             ;   in Loop: Header=BB180_4 Depth=1
	s_wait_xcnt 0x0
	s_or_b32 exec_lo, exec_lo, s18
	v_mov_b32_e32 v7, 0
	s_wait_loadcnt_dscnt 0x0
	ds_store_b64 v184, v[4:5]
	s_and_saveexec_b32 s18, s3
	s_cbranch_execz .LBB180_17
; %bb.16:                               ;   in Loop: Header=BB180_4 Depth=1
	v_add_nc_u64_e32 v[4:5], s[54:55], v[0:1]
	flat_load_b64 v[6:7], v[4:5]
.LBB180_17:                             ;   in Loop: Header=BB180_4 Depth=1
	s_wait_xcnt 0x0
	s_or_b32 exec_lo, exec_lo, s18
	v_dual_mov_b32 v4, 0 :: v_dual_mov_b32 v8, 0
	v_mov_b32_e32 v9, 0
	s_wait_loadcnt_dscnt 0x0
	ds_store_b64 v184, v[6:7] offset:2112
	s_and_saveexec_b32 s18, s4
	s_cbranch_execz .LBB180_19
; %bb.18:                               ;   in Loop: Header=BB180_4 Depth=1
	v_add_nc_u64_e32 v[6:7], s[56:57], v[0:1]
	flat_load_b64 v[8:9], v[6:7]
.LBB180_19:                             ;   in Loop: Header=BB180_4 Depth=1
	s_wait_xcnt 0x0
	s_or_b32 exec_lo, exec_lo, s18
	v_mov_b32_e32 v5, 0
	s_wait_loadcnt_dscnt 0x0
	ds_store_b64 v184, v[8:9] offset:4224
	s_and_saveexec_b32 s18, s5
	s_cbranch_execz .LBB180_21
; %bb.20:                               ;   in Loop: Header=BB180_4 Depth=1
	v_add_nc_u64_e32 v[4:5], s[58:59], v[0:1]
	flat_load_b64 v[4:5], v[4:5]
.LBB180_21:                             ;   in Loop: Header=BB180_4 Depth=1
	s_wait_xcnt 0x0
	s_or_b32 exec_lo, exec_lo, s18
	v_lshlrev_b32_e32 v58, 3, v56
	s_mov_b32 s18, 0
	s_wait_loadcnt_dscnt 0x0
	ds_store_b64 v184, v[4:5] offset:6336
	v_add_nc_u64_e32 v[0:1], v[0:1], v[58:59]
	s_delay_alu instid0(VALU_DEP_1) | instskip(NEXT) | instid1(VALU_DEP_1)
	v_lshl_add_u64 v[0:1], s[64:65], 3, v[0:1]
	v_add_nc_u64_e32 v[0:1], 8, v[0:1]
	s_delay_alu instid0(VALU_DEP_1)
	v_dual_cndmask_b32 v1, v1, v3, s1 :: v_dual_cndmask_b32 v0, v0, v2, s1
.LBB180_22:                             ;   in Loop: Header=BB180_4 Depth=1
	s_and_b32 vcc_lo, exec_lo, s18
	s_cbranch_vccz .LBB180_24
; %bb.23:                               ;   in Loop: Header=BB180_4 Depth=1
	s_delay_alu instid0(VALU_DEP_1) | instskip(NEXT) | instid1(VALU_DEP_1)
	v_add_nc_u64_e32 v[0:1], s[54:55], v[2:3]
	v_add_nc_u64_e32 v[4:5], s[54:55], v[0:1]
	s_delay_alu instid0(VALU_DEP_1)
	v_add_nc_u64_e32 v[6:7], s[54:55], v[4:5]
	s_clause 0x3
	flat_load_b64 v[8:9], v[2:3]
	flat_load_b64 v[10:11], v[0:1]
	;; [unrolled: 1-line block ×4, first 2 shown]
	s_wait_xcnt 0x2
	v_mov_b64_e32 v[0:1], v[2:3]
	s_wait_loadcnt_dscnt 0x303
	ds_store_b64 v184, v[8:9]
	s_wait_loadcnt_dscnt 0x203
	ds_store_b64 v184, v[10:11] offset:2112
	s_wait_loadcnt_dscnt 0x103
	ds_store_b64 v184, v[4:5] offset:4224
	s_wait_loadcnt_dscnt 0x3
	ds_store_b64 v184, v[6:7] offset:6336
.LBB180_24:                             ;   in Loop: Header=BB180_4 Depth=1
	s_wait_dscnt 0x0
	s_barrier_signal -1
	s_barrier_wait -1
	s_wait_xcnt 0x0
	s_and_saveexec_b32 s18, s6
	s_cbranch_execnz .LBB180_126
; %bb.25:                               ;   in Loop: Header=BB180_4 Depth=1
	s_or_b32 exec_lo, exec_lo, s18
	s_and_saveexec_b32 s18, s7
	s_cbranch_execnz .LBB180_127
.LBB180_26:                             ;   in Loop: Header=BB180_4 Depth=1
	s_or_b32 exec_lo, exec_lo, s18
	s_and_saveexec_b32 s18, s8
	s_cbranch_execnz .LBB180_128
.LBB180_27:                             ;   in Loop: Header=BB180_4 Depth=1
	s_or_b32 exec_lo, exec_lo, s18
	s_and_saveexec_b32 s18, s9
	s_cbranch_execz .LBB180_29
.LBB180_28:                             ;   in Loop: Header=BB180_4 Depth=1
	ds_load_b64 v[2:3], v186 offset:528
	s_wait_dscnt 0x0
	ds_store_b64 v174, v[2:3] offset:24
.LBB180_29:                             ;   in Loop: Header=BB180_4 Depth=1
	s_or_b32 exec_lo, exec_lo, s18
	s_wait_dscnt 0x0
	s_barrier_signal -1
	s_barrier_wait -1
	ds_load_b64 v[10:11], v185
	ds_load_b128 v[2:5], v175
	ds_load_2addr_b64 v[6:9], v186 offset1:33
	ds_load_b128 v[14:17], v175 offset:16
	ds_load_b64 v[18:19], v186 offset:528
	v_mov_b64_e32 v[104:105], 0
	s_wait_dscnt 0x0
	s_barrier_signal -1
	s_barrier_wait -1
	v_pk_mul_f32 v[20:21], v[2:3], v[10:11] op_sel:[1,1] op_sel_hi:[0,1]
	v_dual_mov_b32 v22, v5 :: v_dual_mov_b32 v23, v4
	v_pk_mul_f32 v[24:25], v[14:15], v[8:9] op_sel:[1,1] op_sel_hi:[0,1]
	v_dual_mov_b32 v28, v17 :: v_dual_mov_b32 v29, v16
	s_delay_alu instid0(VALU_DEP_4) | instskip(NEXT) | instid1(VALU_DEP_4)
	v_pk_fma_f32 v[26:27], v[2:3], v[10:11], v[20:21] op_sel_hi:[1,0,1]
	v_pk_mul_f32 v[22:23], v[22:23], v[6:7] op_sel:[0,1]
	v_pk_fma_f32 v[2:3], v[2:3], v[10:11], v[20:21] neg_lo:[0,0,1] neg_hi:[0,0,1]
	v_pk_fma_f32 v[20:21], v[14:15], v[8:9], v[24:25] op_sel_hi:[1,0,1]
	s_delay_alu instid0(VALU_DEP_3)
	v_pk_fma_f32 v[10:11], v[4:5], v[6:7], v[22:23] op_sel_hi:[1,0,1]
	v_mov_b32_e32 v3, v27
	v_pk_fma_f32 v[4:5], v[4:5], v[6:7], v[22:23] neg_lo:[0,0,1] neg_hi:[0,0,1]
	v_pk_mul_f32 v[26:27], v[28:29], v[18:19] op_sel:[0,1]
	v_pk_fma_f32 v[6:7], v[14:15], v[8:9], v[24:25] neg_lo:[0,0,1] neg_hi:[0,0,1]
	v_mov_b32_e32 v5, v11
	v_pk_add_f32 v[2:3], v[2:3], 0 op_sel_hi:[1,0]
	s_delay_alu instid0(VALU_DEP_4) | instskip(SKIP_1) | instid1(VALU_DEP_3)
	v_pk_fma_f32 v[8:9], v[16:17], v[18:19], v[26:27] op_sel_hi:[1,0,1]
	v_mov_b32_e32 v7, v21
	v_pk_add_f32 v[2:3], v[2:3], v[4:5]
	v_pk_fma_f32 v[4:5], v[16:17], v[18:19], v[26:27] neg_lo:[0,0,1] neg_hi:[0,0,1]
	s_delay_alu instid0(VALU_DEP_4) | instskip(NEXT) | instid1(VALU_DEP_3)
	v_mov_b32_e32 v5, v9
	v_pk_add_f32 v[2:3], v[2:3], v[6:7]
	s_delay_alu instid0(VALU_DEP_1)
	v_pk_add_f32 v[2:3], v[2:3], v[4:5]
	ds_store_b64 v176, v[2:3]
	s_wait_dscnt 0x0
	s_barrier_signal -1
	s_barrier_wait -1
	s_and_saveexec_b32 s18, s10
	s_cbranch_execz .LBB180_31
; %bb.30:                               ;   in Loop: Header=BB180_4 Depth=1
	ds_load_2addr_b64 v[2:5], v173 offset1:7
	ds_load_2addr_b64 v[6:9], v173 offset0:1 offset1:2
	ds_load_2addr_b64 v[14:17], v173 offset0:3 offset1:4
	;; [unrolled: 1-line block ×3, first 2 shown]
	s_wait_dscnt 0x2
	v_dual_add_f32 v2, v6, v2 :: v_dual_add_f32 v3, v7, v3
	s_delay_alu instid0(VALU_DEP_1) | instskip(SKIP_1) | instid1(VALU_DEP_1)
	v_dual_add_f32 v2, v8, v2 :: v_dual_add_f32 v3, v9, v3
	s_wait_dscnt 0x1
	v_dual_add_f32 v2, v2, v14 :: v_dual_add_f32 v3, v3, v15
	s_delay_alu instid0(VALU_DEP_1) | instskip(SKIP_1) | instid1(VALU_DEP_1)
	v_dual_add_f32 v2, v2, v16 :: v_dual_add_f32 v3, v3, v17
	s_wait_dscnt 0x0
	v_dual_add_f32 v2, v2, v18 :: v_dual_add_f32 v3, v3, v19
	s_delay_alu instid0(VALU_DEP_1) | instskip(NEXT) | instid1(VALU_DEP_1)
	v_dual_add_f32 v2, v2, v20 :: v_dual_add_f32 v3, v3, v21
	v_pk_add_f32 v[104:105], v[2:3], v[4:5]
.LBB180_31:                             ;   in Loop: Header=BB180_4 Depth=1
	s_or_b32 exec_lo, exec_lo, s18
	v_lshl_add_u64 v[4:5], s[60:61], 3, v[0:1]
	s_and_b32 vcc_lo, exec_lo, s77
	s_mov_b32 s18, -1
	s_barrier_signal -1
	s_delay_alu instid0(VALU_DEP_1)
	v_add_nc_u64_e32 v[2:3], 0x100, v[4:5]
	s_barrier_wait -1
                                        ; implicit-def: $vgpr0_vgpr1
	s_cbranch_vccz .LBB180_41
; %bb.32:                               ;   in Loop: Header=BB180_4 Depth=1
	v_lshl_add_u64 v[0:1], v[100:101], 3, v[4:5]
	v_dual_mov_b32 v8, 0 :: v_dual_mov_b32 v6, 0
	v_mov_b32_e32 v7, 0
	s_delay_alu instid0(VALU_DEP_3) | instskip(NEXT) | instid1(VALU_DEP_1)
	v_lshl_add_u64 v[0:1], s[46:47], 3, v[0:1]
	v_add_nc_u64_e32 v[0:1], -8, v[0:1]
	s_delay_alu instid0(VALU_DEP_1)
	v_dual_cndmask_b32 v1, v1, v3, s11 :: v_dual_cndmask_b32 v0, v0, v2, s11
	s_and_saveexec_b32 s18, s12
	s_cbranch_execz .LBB180_34
; %bb.33:                               ;   in Loop: Header=BB180_4 Depth=1
	flat_load_b64 v[6:7], v[0:1]
.LBB180_34:                             ;   in Loop: Header=BB180_4 Depth=1
	s_wait_xcnt 0x0
	s_or_b32 exec_lo, exec_lo, s18
	v_mov_b32_e32 v9, 0
	s_wait_loadcnt_dscnt 0x0
	ds_store_b64 v184, v[6:7]
	s_and_saveexec_b32 s18, s13
	s_cbranch_execz .LBB180_36
; %bb.35:                               ;   in Loop: Header=BB180_4 Depth=1
	v_add_nc_u64_e32 v[6:7], s[54:55], v[0:1]
	flat_load_b64 v[8:9], v[6:7]
.LBB180_36:                             ;   in Loop: Header=BB180_4 Depth=1
	s_wait_xcnt 0x0
	s_or_b32 exec_lo, exec_lo, s18
	v_dual_mov_b32 v6, 0 :: v_dual_mov_b32 v10, 0
	v_mov_b32_e32 v11, 0
	s_wait_loadcnt_dscnt 0x0
	ds_store_b64 v184, v[8:9] offset:2112
	s_and_saveexec_b32 s18, s14
	s_cbranch_execz .LBB180_38
; %bb.37:                               ;   in Loop: Header=BB180_4 Depth=1
	v_add_nc_u64_e32 v[8:9], s[56:57], v[0:1]
	flat_load_b64 v[10:11], v[8:9]
.LBB180_38:                             ;   in Loop: Header=BB180_4 Depth=1
	s_wait_xcnt 0x0
	s_or_b32 exec_lo, exec_lo, s18
	v_mov_b32_e32 v7, 0
	s_wait_loadcnt_dscnt 0x0
	ds_store_b64 v184, v[10:11] offset:4224
	s_and_saveexec_b32 s18, s15
	s_cbranch_execz .LBB180_40
; %bb.39:                               ;   in Loop: Header=BB180_4 Depth=1
	v_add_nc_u64_e32 v[6:7], s[58:59], v[0:1]
	flat_load_b64 v[6:7], v[6:7]
.LBB180_40:                             ;   in Loop: Header=BB180_4 Depth=1
	s_wait_xcnt 0x0
	s_or_b32 exec_lo, exec_lo, s18
	v_lshlrev_b32_e32 v58, 3, v56
	s_mov_b32 s18, 0
	s_wait_loadcnt_dscnt 0x0
	ds_store_b64 v184, v[6:7] offset:6336
	v_add_nc_u64_e32 v[0:1], v[0:1], v[58:59]
	s_delay_alu instid0(VALU_DEP_1) | instskip(NEXT) | instid1(VALU_DEP_1)
	v_lshl_add_u64 v[0:1], s[64:65], 3, v[0:1]
	v_add_nc_u64_e32 v[0:1], 0x108, v[0:1]
	s_delay_alu instid0(VALU_DEP_1)
	v_dual_cndmask_b32 v1, v1, v3, s11 :: v_dual_cndmask_b32 v0, v0, v2, s11
.LBB180_41:                             ;   in Loop: Header=BB180_4 Depth=1
	s_and_b32 vcc_lo, exec_lo, s18
	s_cbranch_vccz .LBB180_43
; %bb.42:                               ;   in Loop: Header=BB180_4 Depth=1
	v_add_nc_u64_e32 v[0:1], s[54:55], v[4:5]
	s_delay_alu instid0(VALU_DEP_1) | instskip(NEXT) | instid1(VALU_DEP_1)
	v_add_nc_u64_e32 v[6:7], s[54:55], v[0:1]
	v_add_nc_u64_e32 v[8:9], s[54:55], v[6:7]
	s_clause 0x3
	flat_load_b64 v[4:5], v[4:5] offset:256
	flat_load_b64 v[10:11], v[0:1] offset:256
	;; [unrolled: 1-line block ×4, first 2 shown]
	s_wait_xcnt 0x2
	v_mov_b64_e32 v[0:1], v[2:3]
	s_wait_loadcnt_dscnt 0x303
	ds_store_b64 v184, v[4:5]
	s_wait_loadcnt_dscnt 0x203
	ds_store_b64 v184, v[10:11] offset:2112
	s_wait_loadcnt_dscnt 0x103
	ds_store_b64 v184, v[6:7] offset:4224
	;; [unrolled: 2-line block ×3, first 2 shown]
.LBB180_43:                             ;   in Loop: Header=BB180_4 Depth=1
	s_wait_dscnt 0x0
	s_barrier_signal -1
	s_barrier_wait -1
	s_wait_xcnt 0x0
	s_and_saveexec_b32 s18, s6
	s_cbranch_execnz .LBB180_129
; %bb.44:                               ;   in Loop: Header=BB180_4 Depth=1
	s_or_b32 exec_lo, exec_lo, s18
	s_and_saveexec_b32 s18, s7
	s_cbranch_execnz .LBB180_130
.LBB180_45:                             ;   in Loop: Header=BB180_4 Depth=1
	s_or_b32 exec_lo, exec_lo, s18
	s_and_saveexec_b32 s18, s8
	s_cbranch_execnz .LBB180_131
.LBB180_46:                             ;   in Loop: Header=BB180_4 Depth=1
	s_or_b32 exec_lo, exec_lo, s18
	s_and_saveexec_b32 s18, s9
	s_cbranch_execz .LBB180_48
.LBB180_47:                             ;   in Loop: Header=BB180_4 Depth=1
	ds_load_b64 v[2:3], v186 offset:528
	s_wait_dscnt 0x0
	ds_store_b64 v174, v[2:3] offset:24
.LBB180_48:                             ;   in Loop: Header=BB180_4 Depth=1
	s_or_b32 exec_lo, exec_lo, s18
	s_wait_dscnt 0x0
	s_barrier_signal -1
	s_barrier_wait -1
	ds_load_b64 v[10:11], v185
	ds_load_b128 v[2:5], v175 offset:256
	ds_load_2addr_b64 v[6:9], v186 offset1:33
	ds_load_b128 v[14:17], v175 offset:272
	ds_load_b64 v[18:19], v186 offset:528
	s_wait_dscnt 0x0
	s_barrier_signal -1
	s_barrier_wait -1
	v_pk_mul_f32 v[20:21], v[2:3], v[10:11] op_sel:[1,1] op_sel_hi:[0,1]
	v_dual_mov_b32 v22, v5 :: v_dual_mov_b32 v23, v4
	v_pk_mul_f32 v[24:25], v[14:15], v[8:9] op_sel:[1,1] op_sel_hi:[0,1]
	v_dual_mov_b32 v28, v17 :: v_dual_mov_b32 v29, v16
	s_delay_alu instid0(VALU_DEP_4) | instskip(NEXT) | instid1(VALU_DEP_4)
	v_pk_fma_f32 v[26:27], v[2:3], v[10:11], v[20:21] op_sel_hi:[1,0,1]
	v_pk_mul_f32 v[22:23], v[22:23], v[6:7] op_sel:[0,1]
	v_pk_fma_f32 v[2:3], v[2:3], v[10:11], v[20:21] neg_lo:[0,0,1] neg_hi:[0,0,1]
	v_pk_fma_f32 v[20:21], v[14:15], v[8:9], v[24:25] op_sel_hi:[1,0,1]
	s_delay_alu instid0(VALU_DEP_3)
	v_pk_fma_f32 v[10:11], v[4:5], v[6:7], v[22:23] op_sel_hi:[1,0,1]
	v_mov_b32_e32 v3, v27
	v_pk_fma_f32 v[4:5], v[4:5], v[6:7], v[22:23] neg_lo:[0,0,1] neg_hi:[0,0,1]
	v_pk_mul_f32 v[26:27], v[28:29], v[18:19] op_sel:[0,1]
	v_pk_fma_f32 v[6:7], v[14:15], v[8:9], v[24:25] neg_lo:[0,0,1] neg_hi:[0,0,1]
	v_mov_b32_e32 v5, v11
	v_pk_add_f32 v[2:3], v[2:3], 0 op_sel_hi:[1,0]
	s_delay_alu instid0(VALU_DEP_4) | instskip(SKIP_1) | instid1(VALU_DEP_3)
	v_pk_fma_f32 v[8:9], v[16:17], v[18:19], v[26:27] op_sel_hi:[1,0,1]
	v_mov_b32_e32 v7, v21
	v_pk_add_f32 v[2:3], v[2:3], v[4:5]
	v_pk_fma_f32 v[4:5], v[16:17], v[18:19], v[26:27] neg_lo:[0,0,1] neg_hi:[0,0,1]
	s_delay_alu instid0(VALU_DEP_4) | instskip(NEXT) | instid1(VALU_DEP_3)
	v_mov_b32_e32 v5, v9
	v_pk_add_f32 v[2:3], v[2:3], v[6:7]
	s_delay_alu instid0(VALU_DEP_1)
	v_pk_add_f32 v[2:3], v[2:3], v[4:5]
	ds_store_b64 v176, v[2:3]
	s_wait_dscnt 0x0
	s_barrier_signal -1
	s_barrier_wait -1
	s_and_saveexec_b32 s18, s16
	s_cbranch_execz .LBB180_50
; %bb.49:                               ;   in Loop: Header=BB180_4 Depth=1
	ds_load_2addr_b64 v[2:5], v173 offset1:7
	ds_load_2addr_b64 v[6:9], v173 offset0:1 offset1:2
	ds_load_2addr_b64 v[14:17], v173 offset0:3 offset1:4
	;; [unrolled: 1-line block ×3, first 2 shown]
	s_wait_dscnt 0x2
	v_dual_add_f32 v2, v6, v2 :: v_dual_add_f32 v3, v7, v3
	s_delay_alu instid0(VALU_DEP_1) | instskip(SKIP_1) | instid1(VALU_DEP_1)
	v_dual_add_f32 v2, v8, v2 :: v_dual_add_f32 v3, v9, v3
	s_wait_dscnt 0x1
	v_dual_add_f32 v2, v2, v14 :: v_dual_add_f32 v3, v3, v15
	s_delay_alu instid0(VALU_DEP_1) | instskip(SKIP_1) | instid1(VALU_DEP_1)
	v_dual_add_f32 v2, v2, v16 :: v_dual_add_f32 v3, v3, v17
	s_wait_dscnt 0x0
	v_dual_add_f32 v2, v2, v18 :: v_dual_add_f32 v3, v3, v19
	s_delay_alu instid0(VALU_DEP_1) | instskip(NEXT) | instid1(VALU_DEP_1)
	v_pk_add_f32 v[2:3], v[2:3], v[20:21]
	v_pk_add_f32 v[104:105], v[2:3], v[4:5]
.LBB180_50:                             ;   in Loop: Header=BB180_4 Depth=1
	s_or_b32 exec_lo, exec_lo, s18
	v_add_nc_u64_e32 v[2:3], s[68:69], v[0:1]
	s_and_b32 vcc_lo, exec_lo, s77
	s_mov_b32 s18, -1
	s_barrier_signal -1
	s_barrier_wait -1
                                        ; implicit-def: $vgpr14_vgpr15
	s_cbranch_vccz .LBB180_60
; %bb.51:                               ;   in Loop: Header=BB180_4 Depth=1
	v_lshl_add_u64 v[4:5], v[100:101], 3, v[0:1]
	v_dual_mov_b32 v8, 0 :: v_dual_mov_b32 v6, 0
	v_mov_b32_e32 v7, 0
	s_delay_alu instid0(VALU_DEP_3) | instskip(NEXT) | instid1(VALU_DEP_1)
	v_lshl_add_u64 v[4:5], s[46:47], 3, v[4:5]
	v_add_nc_u64_e32 v[4:5], s[70:71], v[4:5]
	s_delay_alu instid0(VALU_DEP_1)
	v_dual_cndmask_b32 v5, v5, v3, s1 :: v_dual_cndmask_b32 v4, v4, v2, s1
	s_and_saveexec_b32 s18, s12
	s_cbranch_execz .LBB180_53
; %bb.52:                               ;   in Loop: Header=BB180_4 Depth=1
	flat_load_b64 v[6:7], v[4:5]
.LBB180_53:                             ;   in Loop: Header=BB180_4 Depth=1
	s_wait_xcnt 0x0
	s_or_b32 exec_lo, exec_lo, s18
	v_mov_b32_e32 v9, 0
	s_wait_loadcnt_dscnt 0x0
	ds_store_b64 v184, v[6:7]
	s_and_saveexec_b32 s18, s13
	s_cbranch_execz .LBB180_55
; %bb.54:                               ;   in Loop: Header=BB180_4 Depth=1
	v_add_nc_u64_e32 v[6:7], s[54:55], v[4:5]
	flat_load_b64 v[8:9], v[6:7]
.LBB180_55:                             ;   in Loop: Header=BB180_4 Depth=1
	s_wait_xcnt 0x0
	s_or_b32 exec_lo, exec_lo, s18
	v_dual_mov_b32 v6, 0 :: v_dual_mov_b32 v10, 0
	v_mov_b32_e32 v11, 0
	s_wait_loadcnt_dscnt 0x0
	ds_store_b64 v184, v[8:9] offset:2112
	s_and_saveexec_b32 s18, s14
	s_cbranch_execz .LBB180_57
; %bb.56:                               ;   in Loop: Header=BB180_4 Depth=1
	v_add_nc_u64_e32 v[8:9], s[56:57], v[4:5]
	flat_load_b64 v[10:11], v[8:9]
.LBB180_57:                             ;   in Loop: Header=BB180_4 Depth=1
	s_wait_xcnt 0x0
	s_or_b32 exec_lo, exec_lo, s18
	v_mov_b32_e32 v7, 0
	s_wait_loadcnt_dscnt 0x0
	ds_store_b64 v184, v[10:11] offset:4224
	s_and_saveexec_b32 s18, s15
	s_cbranch_execz .LBB180_59
; %bb.58:                               ;   in Loop: Header=BB180_4 Depth=1
	v_add_nc_u64_e32 v[6:7], s[58:59], v[4:5]
	flat_load_b64 v[6:7], v[6:7]
.LBB180_59:                             ;   in Loop: Header=BB180_4 Depth=1
	s_wait_xcnt 0x0
	s_or_b32 exec_lo, exec_lo, s18
	v_lshlrev_b32_e32 v58, 3, v56
	s_mov_b32 s18, 0
	s_wait_loadcnt_dscnt 0x0
	ds_store_b64 v184, v[6:7] offset:6336
	v_add_nc_u64_e32 v[4:5], v[4:5], v[58:59]
	s_delay_alu instid0(VALU_DEP_1) | instskip(NEXT) | instid1(VALU_DEP_1)
	v_lshl_add_u64 v[4:5], s[64:65], 3, v[4:5]
	v_add_nc_u64_e32 v[4:5], 8, v[4:5]
	s_delay_alu instid0(VALU_DEP_1)
	v_dual_cndmask_b32 v15, v5, v3, s1 :: v_dual_cndmask_b32 v14, v4, v2, s1
.LBB180_60:                             ;   in Loop: Header=BB180_4 Depth=1
	s_and_b32 vcc_lo, exec_lo, s18
	s_cbranch_vccz .LBB180_62
; %bb.61:                               ;   in Loop: Header=BB180_4 Depth=1
	v_add_nc_u64_e32 v[4:5], s[54:55], v[0:1]
	v_mov_b64_e32 v[14:15], v[2:3]
	s_delay_alu instid0(VALU_DEP_2) | instskip(NEXT) | instid1(VALU_DEP_1)
	v_add_nc_u64_e32 v[6:7], s[54:55], v[4:5]
	v_add_nc_u64_e32 v[8:9], s[54:55], v[6:7]
	s_clause 0x3
	flat_load_b64 v[0:1], v[0:1] offset:-256
	flat_load_b64 v[4:5], v[4:5] offset:-256
	flat_load_b64 v[6:7], v[6:7] offset:-256
	flat_load_b64 v[8:9], v[8:9] offset:-256
	s_wait_loadcnt_dscnt 0x303
	ds_store_b64 v184, v[0:1]
	s_wait_loadcnt_dscnt 0x203
	ds_store_b64 v184, v[4:5] offset:2112
	s_wait_loadcnt_dscnt 0x103
	ds_store_b64 v184, v[6:7] offset:4224
	;; [unrolled: 2-line block ×3, first 2 shown]
.LBB180_62:                             ;   in Loop: Header=BB180_4 Depth=1
	s_wait_xcnt 0x3
	v_dual_add_nc_u32 v0, v174, v177 :: v_dual_add_nc_u32 v1, v175, v177
	s_wait_dscnt 0x0
	s_barrier_signal -1
	s_barrier_wait -1
	s_wait_xcnt 0x2
	ds_load_b64 v[4:5], v0
	s_wait_xcnt 0x1
	ds_load_b64 v[6:7], v1
	ds_load_2addr_b64 v[20:23], v187 offset0:8 offset1:16
	ds_load_2addr_b64 v[24:27], v188 offset0:8 offset1:16
	ds_load_b64 v[28:29], v187 offset:192
	ds_load_b64 v[30:31], v188 offset:192
	ds_load_2addr_b64 v[0:3], v186 offset1:33
	ds_load_b64 v[18:19], v185
	ds_load_b64 v[16:17], v186 offset:528
	s_wait_dscnt 0x7
	s_wait_xcnt 0x0
	v_pk_mul_f32 v[8:9], v[6:7], v[4:5] op_sel:[1,1] op_sel_hi:[0,1]
	s_wait_dscnt 0x5
	v_pk_mul_f32 v[10:11], v[24:25], v[20:21] op_sel:[1,1] op_sel_hi:[0,1]
	v_pk_mul_f32 v[34:35], v[26:27], v[22:23] op_sel:[1,1] op_sel_hi:[0,1]
	s_delay_alu instid0(VALU_DEP_3) | instskip(SKIP_1) | instid1(VALU_DEP_4)
	v_pk_fma_f32 v[32:33], v[6:7], v[4:5], v[8:9] op_sel_hi:[1,0,1]
	v_pk_fma_f32 v[4:5], v[6:7], v[4:5], v[8:9] neg_lo:[0,0,1] neg_hi:[0,0,1]
	v_pk_fma_f32 v[36:37], v[24:25], v[20:21], v[10:11] op_sel_hi:[1,0,1]
	v_pk_fma_f32 v[20:21], v[24:25], v[20:21], v[10:11] neg_lo:[0,0,1] neg_hi:[0,0,1]
	v_pk_fma_f32 v[24:25], v[26:27], v[22:23], v[34:35] op_sel_hi:[1,0,1]
	v_mov_b32_e32 v5, v33
	s_wait_dscnt 0x3
	v_pk_mul_f32 v[32:33], v[30:31], v[28:29] op_sel:[1,1] op_sel_hi:[0,1]
	v_mov_b32_e32 v21, v37
	v_pk_fma_f32 v[22:23], v[26:27], v[22:23], v[34:35] neg_lo:[0,0,1] neg_hi:[0,0,1]
	v_mov_b32_e32 v23, v25
	v_pk_add_f32 v[36:37], v[4:5], 0 op_sel_hi:[1,0]
	ds_load_b128 v[8:11], v175 offset:256
	ds_load_b128 v[4:7], v175 offset:272
	v_pk_fma_f32 v[24:25], v[30:31], v[28:29], v[32:33] op_sel_hi:[1,0,1]
	v_pk_fma_f32 v[26:27], v[30:31], v[28:29], v[32:33] neg_lo:[0,0,1] neg_hi:[0,0,1]
	s_wait_dscnt 0x0
	v_pk_add_f32 v[20:21], v[36:37], v[20:21]
	s_barrier_signal -1
	v_mov_b32_e32 v27, v25
	s_barrier_wait -1
	s_delay_alu instid0(VALU_DEP_2) | instskip(NEXT) | instid1(VALU_DEP_1)
	v_pk_add_f32 v[20:21], v[20:21], v[22:23]
	v_pk_add_f32 v[20:21], v[20:21], v[26:27]
	ds_store_b64 v176, v[20:21]
	s_wait_dscnt 0x0
	s_barrier_signal -1
	s_barrier_wait -1
	s_and_saveexec_b32 s18, s16
	s_cbranch_execz .LBB180_64
; %bb.63:                               ;   in Loop: Header=BB180_4 Depth=1
	ds_load_2addr_b64 v[20:23], v173 offset1:1
	ds_load_2addr_b64 v[24:27], v173 offset0:2 offset1:3
	ds_load_2addr_b64 v[28:31], v173 offset0:4 offset1:5
	s_wait_dscnt 0x2
	v_pk_add_f32 v[20:21], v[104:105], v[20:21]
	s_delay_alu instid0(VALU_DEP_1) | instskip(SKIP_1) | instid1(VALU_DEP_1)
	v_pk_add_f32 v[20:21], v[20:21], v[22:23]
	s_wait_dscnt 0x1
	v_pk_add_f32 v[24:25], v[20:21], v[24:25]
	ds_load_2addr_b64 v[20:23], v173 offset0:6 offset1:7
	v_pk_add_f32 v[24:25], v[24:25], v[26:27]
	s_wait_dscnt 0x1
	s_delay_alu instid0(VALU_DEP_1) | instskip(NEXT) | instid1(VALU_DEP_1)
	v_pk_add_f32 v[24:25], v[24:25], v[28:29]
	v_pk_add_f32 v[24:25], v[24:25], v[30:31]
	s_wait_dscnt 0x0
	s_delay_alu instid0(VALU_DEP_1) | instskip(NEXT) | instid1(VALU_DEP_1)
	v_pk_add_f32 v[20:21], v[24:25], v[20:21]
	v_pk_add_f32 v[104:105], v[20:21], v[22:23]
.LBB180_64:                             ;   in Loop: Header=BB180_4 Depth=1
	s_or_b32 exec_lo, exec_lo, s18
	v_pk_mul_f32 v[20:21], v[8:9], v[18:19] op_sel:[1,1] op_sel_hi:[0,1]
	v_dual_mov_b32 v22, v11 :: v_dual_mov_b32 v23, v10
	v_pk_mul_f32 v[24:25], v[4:5], v[2:3] op_sel:[1,1] op_sel_hi:[0,1]
	v_dual_mov_b32 v28, v7 :: v_dual_mov_b32 v29, v6
	s_delay_alu instid0(VALU_DEP_4) | instskip(NEXT) | instid1(VALU_DEP_4)
	v_pk_fma_f32 v[26:27], v[8:9], v[18:19], v[20:21] op_sel_hi:[1,0,1]
	v_pk_mul_f32 v[22:23], v[22:23], v[0:1] op_sel:[0,1]
	v_pk_fma_f32 v[8:9], v[8:9], v[18:19], v[20:21] neg_lo:[0,0,1] neg_hi:[0,0,1]
	v_pk_fma_f32 v[20:21], v[4:5], v[2:3], v[24:25] op_sel_hi:[1,0,1]
	v_pk_fma_f32 v[2:3], v[4:5], v[2:3], v[24:25] neg_lo:[0,0,1] neg_hi:[0,0,1]
	s_delay_alu instid0(VALU_DEP_4)
	v_pk_fma_f32 v[18:19], v[10:11], v[0:1], v[22:23] op_sel_hi:[1,0,1]
	v_mov_b32_e32 v9, v27
	v_pk_fma_f32 v[0:1], v[10:11], v[0:1], v[22:23] neg_lo:[0,0,1] neg_hi:[0,0,1]
	v_pk_mul_f32 v[26:27], v[28:29], v[16:17] op_sel:[0,1]
	s_barrier_signal -1
	v_mov_b32_e32 v1, v19
	v_pk_add_f32 v[8:9], v[8:9], 0 op_sel_hi:[1,0]
	s_barrier_wait -1
	v_pk_fma_f32 v[4:5], v[6:7], v[16:17], v[26:27] op_sel_hi:[1,0,1]
	v_mov_b32_e32 v3, v21
	v_pk_fma_f32 v[6:7], v[6:7], v[16:17], v[26:27] neg_lo:[0,0,1] neg_hi:[0,0,1]
	v_pk_add_f32 v[0:1], v[8:9], v[0:1]
	s_delay_alu instid0(VALU_DEP_4) | instskip(NEXT) | instid1(VALU_DEP_2)
	v_mov_b32_e32 v7, v5
	v_pk_add_f32 v[0:1], v[0:1], v[2:3]
	s_delay_alu instid0(VALU_DEP_1)
	v_pk_add_f32 v[0:1], v[0:1], v[6:7]
	ds_store_b64 v176, v[0:1]
	s_wait_dscnt 0x0
	s_barrier_signal -1
	s_barrier_wait -1
	s_and_saveexec_b32 s18, s10
	s_cbranch_execz .LBB180_66
; %bb.65:                               ;   in Loop: Header=BB180_4 Depth=1
	ds_load_2addr_b64 v[0:3], v173 offset1:1
	ds_load_2addr_b64 v[4:7], v173 offset0:2 offset1:3
	ds_load_2addr_b64 v[8:11], v173 offset0:4 offset1:5
	s_wait_dscnt 0x2
	v_pk_add_f32 v[0:1], v[104:105], v[0:1]
	s_delay_alu instid0(VALU_DEP_1) | instskip(SKIP_1) | instid1(VALU_DEP_1)
	v_pk_add_f32 v[0:1], v[0:1], v[2:3]
	s_wait_dscnt 0x1
	v_pk_add_f32 v[4:5], v[0:1], v[4:5]
	ds_load_2addr_b64 v[0:3], v173 offset0:6 offset1:7
	v_pk_add_f32 v[4:5], v[4:5], v[6:7]
	s_wait_dscnt 0x1
	s_delay_alu instid0(VALU_DEP_1) | instskip(NEXT) | instid1(VALU_DEP_1)
	v_pk_add_f32 v[4:5], v[4:5], v[8:9]
	v_pk_add_f32 v[4:5], v[4:5], v[10:11]
	s_wait_dscnt 0x0
	s_delay_alu instid0(VALU_DEP_1) | instskip(NEXT) | instid1(VALU_DEP_1)
	v_pk_add_f32 v[0:1], v[4:5], v[0:1]
	v_pk_add_f32 v[104:105], v[0:1], v[2:3]
.LBB180_66:                             ;   in Loop: Header=BB180_4 Depth=1
	s_or_b32 exec_lo, exec_lo, s18
	s_mul_u64 s[18:19], s[48:49], s[34:35]
	s_and_not1_b32 vcc_lo, exec_lo, s41
	s_lshl_b64 s[18:19], s[18:19], 3
	s_delay_alu instid0(SALU_CYCLE_1)
	s_add_nc_u64 s[18:19], s[50:51], s[18:19]
	s_barrier_signal -1
	s_barrier_wait -1
	s_cbranch_vccnz .LBB180_124
; %bb.67:                               ;   in Loop: Header=BB180_4 Depth=1
	v_add_nc_u64_e32 v[106:107], v[14:15], v[66:67]
	v_add_nc_u64_e32 v[108:109], v[14:15], v[68:69]
	;; [unrolled: 1-line block ×16, first 2 shown]
	v_lshl_add_u64 v[138:139], s[62:63], 3, v[12:13]
	s_mov_b32 s74, s80
	s_mov_b32 s81, s44
	s_branch .LBB180_69
.LBB180_68:                             ;   in Loop: Header=BB180_69 Depth=2
	s_wait_xcnt 0x0
	s_or_b32 exec_lo, exec_lo, s75
	v_dual_mul_f32 v22, v5, v143 :: v_dual_mul_f32 v5, v5, v142
	v_dual_mov_b32 v20, v161 :: v_dual_mov_b32 v21, v161
	v_mov_b32_e32 v161, v160
	s_delay_alu instid0(VALU_DEP_3) | instskip(NEXT) | instid1(VALU_DEP_4)
	v_dual_fma_f32 v22, v4, v142, -v22 :: v_dual_mul_f32 v23, v7, v141
	v_dual_fmac_f32 v5, v4, v143 :: v_dual_mul_f32 v4, v7, v140
	v_dual_mov_b32 v16, v159 :: v_dual_mov_b32 v17, v159
	s_delay_alu instid0(VALU_DEP_3) | instskip(SKIP_1) | instid1(VALU_DEP_4)
	v_dual_add_f32 v7, v104, v22 :: v_dual_fma_f32 v22, v6, v140, -v23
	v_mul_f32_e32 v23, v1, v145
	v_add_f32_e32 v5, v105, v5
	v_dual_fmac_f32 v4, v6, v141 :: v_dual_mul_f32 v1, v1, v144
	s_delay_alu instid0(VALU_DEP_3) | instskip(NEXT) | instid1(VALU_DEP_2)
	v_dual_add_f32 v6, v7, v22 :: v_dual_fma_f32 v7, v0, v144, -v23
	v_dual_mul_f32 v22, v3, v147 :: v_dual_add_f32 v4, v5, v4
	s_delay_alu instid0(VALU_DEP_3) | instskip(NEXT) | instid1(VALU_DEP_3)
	v_dual_fmac_f32 v1, v0, v145 :: v_dual_mul_f32 v0, v3, v146
	v_add_f32_e32 v3, v6, v7
	s_delay_alu instid0(VALU_DEP_3) | instskip(NEXT) | instid1(VALU_DEP_3)
	v_dual_fma_f32 v5, v2, v146, -v22 :: v_dual_mul_f32 v6, v13, v151
	v_dual_add_f32 v1, v4, v1 :: v_dual_fmac_f32 v0, v2, v147
	s_delay_alu instid0(VALU_DEP_2) | instskip(NEXT) | instid1(VALU_DEP_3)
	v_dual_mul_f32 v2, v13, v150 :: v_dual_add_f32 v3, v3, v5
	v_dual_fma_f32 v4, v12, v150, -v6 :: v_dual_mul_f32 v5, v15, v149
	s_delay_alu instid0(VALU_DEP_2) | instskip(SKIP_1) | instid1(VALU_DEP_3)
	v_dual_add_f32 v0, v1, v0 :: v_dual_fmac_f32 v2, v12, v151
	v_mul_f32_e32 v6, v15, v148
	v_add_f32_e32 v3, v3, v4
	s_delay_alu instid0(VALU_DEP_4) | instskip(NEXT) | instid1(VALU_DEP_3)
	v_dual_fma_f32 v4, v14, v148, -v5 :: v_dual_mul_f32 v5, v9, v153
	v_dual_add_f32 v7, v0, v2 :: v_dual_fmac_f32 v6, v14, v149
	v_dual_mul_f32 v1, v9, v152 :: v_dual_mov_b32 v159, v158
	s_delay_alu instid0(VALU_DEP_3) | instskip(NEXT) | instid1(VALU_DEP_2)
	v_dual_mov_b32 v18, v157 :: v_dual_fma_f32 v0, v8, v152, -v5
	v_dual_add_f32 v2, v3, v4 :: v_dual_fmac_f32 v1, v8, v153
	v_dual_mul_f32 v4, v11, v155 :: v_dual_mul_f32 v5, v11, v154
	v_dual_add_f32 v3, v7, v6 :: v_dual_mov_b32 v19, v157
	v_dual_mov_b32 v157, v156 :: v_dual_mov_b32 v6, v163
	s_delay_alu instid0(VALU_DEP_3) | instskip(SKIP_4) | instid1(VALU_DEP_4)
	v_fma_f32 v4, v10, v154, -v4
	v_pk_mul_f32 v[8:9], v[28:29], v[16:17]
	v_fmac_f32_e32 v5, v10, v155
	v_pk_add_f32 v[0:1], v[2:3], v[0:1]
	v_dual_mov_b32 v7, v163 :: v_dual_mov_b32 v163, v162
	v_pk_fma_f32 v[2:3], v[28:29], v[158:159], v[8:9] op_sel:[0,0,1] op_sel_hi:[1,1,0]
	v_pk_fma_f32 v[8:9], v[28:29], v[158:159], v[8:9] op_sel:[0,0,1] op_sel_hi:[1,1,0] neg_lo:[0,0,1] neg_hi:[0,0,1]
	s_delay_alu instid0(VALU_DEP_4) | instskip(SKIP_1) | instid1(VALU_DEP_4)
	v_pk_add_f32 v[0:1], v[0:1], v[4:5]
	v_pk_mul_f32 v[4:5], v[30:31], v[18:19]
	v_dual_mov_b32 v2, v167 :: v_dual_mov_b32 v9, v3
	v_dual_mov_b32 v3, v167 :: v_dual_mov_b32 v167, v166
	s_delay_alu instid0(VALU_DEP_3)
	v_pk_fma_f32 v[10:11], v[30:31], v[156:157], v[4:5] op_sel:[0,0,1] op_sel_hi:[1,1,0]
	v_pk_fma_f32 v[4:5], v[30:31], v[156:157], v[4:5] op_sel:[0,0,1] op_sel_hi:[1,1,0] neg_lo:[0,0,1] neg_hi:[0,0,1]
	v_mov_b32_e32 v10, v165
	v_pk_add_f32 v[0:1], v[0:1], v[8:9]
	v_pk_mul_f32 v[8:9], v[24:25], v[20:21]
	v_dual_mov_b32 v5, v11 :: v_dual_mov_b32 v11, v165
	v_mov_b32_e32 v165, v164
	v_pk_mul_f32 v[2:3], v[40:41], v[2:3]
	s_delay_alu instid0(VALU_DEP_4) | instskip(NEXT) | instid1(VALU_DEP_4)
	v_pk_fma_f32 v[12:13], v[24:25], v[160:161], v[8:9] op_sel:[0,0,1] op_sel_hi:[1,1,0]
	v_pk_add_f32 v[0:1], v[0:1], v[4:5]
	v_pk_mul_f32 v[4:5], v[26:27], v[6:7]
	v_pk_fma_f32 v[6:7], v[24:25], v[160:161], v[8:9] op_sel:[0,0,1] op_sel_hi:[1,1,0] neg_lo:[0,0,1] neg_hi:[0,0,1]
	s_delay_alu instid0(VALU_DEP_4) | instskip(SKIP_1) | instid1(VALU_DEP_4)
	v_dual_mov_b32 v12, v169 :: v_dual_mov_b32 v7, v13
	v_dual_mov_b32 v13, v169 :: v_dual_mov_b32 v169, v168
	v_pk_fma_f32 v[8:9], v[26:27], v[162:163], v[4:5] op_sel:[0,0,1] op_sel_hi:[1,1,0]
	v_pk_fma_f32 v[4:5], v[26:27], v[162:163], v[4:5] op_sel:[0,0,1] op_sel_hi:[1,1,0] neg_lo:[0,0,1] neg_hi:[0,0,1]
	v_mov_b32_e32 v8, v171
	v_pk_add_f32 v[0:1], v[0:1], v[6:7]
	v_pk_mul_f32 v[6:7], v[42:43], v[10:11]
	v_mov_b32_e32 v5, v9
	v_pk_fma_f32 v[10:11], v[40:41], v[166:167], v[2:3] op_sel:[0,0,1] op_sel_hi:[1,1,0]
	v_pk_fma_f32 v[2:3], v[40:41], v[166:167], v[2:3] op_sel:[0,0,1] op_sel_hi:[1,1,0] neg_lo:[0,0,1] neg_hi:[0,0,1]
	v_dual_mov_b32 v9, v171 :: v_dual_mov_b32 v171, v170
	s_delay_alu instid0(VALU_DEP_4)
	v_pk_add_f32 v[0:1], v[0:1], v[4:5]
	v_pk_fma_f32 v[4:5], v[42:43], v[164:165], v[6:7] op_sel:[0,0,1] op_sel_hi:[1,1,0]
	v_pk_mul_f32 v[12:13], v[44:45], v[12:13]
	v_mov_b32_e32 v3, v11
	v_pk_fma_f32 v[6:7], v[42:43], v[164:165], v[6:7] op_sel:[0,0,1] op_sel_hi:[1,1,0] neg_lo:[0,0,1] neg_hi:[0,0,1]
	v_pk_mul_f32 v[8:9], v[46:47], v[8:9]
	v_mov_b32_e32 v7, v5
	v_pk_fma_f32 v[4:5], v[44:45], v[168:169], v[12:13] op_sel:[0,0,1] op_sel_hi:[1,1,0]
	v_pk_add_f32 v[0:1], v[0:1], v[2:3]
	v_pk_fma_f32 v[2:3], v[44:45], v[168:169], v[12:13] op_sel:[0,0,1] op_sel_hi:[1,1,0] neg_lo:[0,0,1] neg_hi:[0,0,1]
	v_add_nc_u64_e32 v[106:107], s[66:67], v[106:107]
	v_add_nc_u64_e32 v[108:109], s[66:67], v[108:109]
	v_mov_b32_e32 v3, v5
	v_pk_fma_f32 v[4:5], v[46:47], v[170:171], v[8:9] op_sel:[0,0,1] op_sel_hi:[1,1,0]
	v_pk_add_f32 v[0:1], v[0:1], v[6:7]
	v_pk_fma_f32 v[6:7], v[46:47], v[170:171], v[8:9] op_sel:[0,0,1] op_sel_hi:[1,1,0] neg_lo:[0,0,1] neg_hi:[0,0,1]
	v_add_nc_u64_e32 v[110:111], s[66:67], v[110:111]
	v_add_nc_u64_e32 v[112:113], s[66:67], v[112:113]
	v_mov_b32_e32 v7, v5
	v_pk_add_f32 v[0:1], v[0:1], v[2:3]
	v_add_nc_u64_e32 v[114:115], s[66:67], v[114:115]
	v_add_nc_u64_e32 v[116:117], s[66:67], v[116:117]
	;; [unrolled: 1-line block ×12, first 2 shown]
	v_pk_add_f32 v[104:105], v[0:1], v[6:7]
	s_add_co_i32 s75, s81, 1
	s_add_co_i32 s81, s81, 2
	;; [unrolled: 1-line block ×3, first 2 shown]
	s_cmp_ge_u32 s81, s40
	s_mov_b32 s81, s75
	s_wait_storecnt 0x0
	s_barrier_signal -1
	s_barrier_wait -1
	s_cbranch_scc1 .LBB180_124
.LBB180_69:                             ;   Parent Loop BB180_4 Depth=1
                                        ; =>  This Inner Loop Header: Depth=2
	s_cmp_eq_u32 s45, s81
	s_cselect_b32 s82, s76, 0
	s_and_saveexec_b32 s83, s0
	s_cbranch_execz .LBB180_74
; %bb.70:                               ;   in Loop: Header=BB180_69 Depth=2
	v_cmp_le_i32_e32 vcc_lo, s82, v172
	s_cmp_lg_u32 s82, 0
	s_cselect_b32 s75, -1, 0
	s_delay_alu instid0(SALU_CYCLE_1) | instskip(NEXT) | instid1(SALU_CYCLE_1)
	s_and_b32 s75, s75, vcc_lo
	s_and_saveexec_b32 s84, s75
	s_delay_alu instid0(SALU_CYCLE_1)
	s_xor_b32 s75, exec_lo, s84
; %bb.71:                               ;   in Loop: Header=BB180_69 Depth=2
	ds_store_b64 v191, v[102:103]
; %bb.72:                               ;   in Loop: Header=BB180_69 Depth=2
	s_and_not1_saveexec_b32 s75, s75
	s_cbranch_execz .LBB180_74
; %bb.73:                               ;   in Loop: Header=BB180_69 Depth=2
	s_ashr_i32 s75, s74, 31
	s_delay_alu instid0(SALU_CYCLE_1) | instskip(NEXT) | instid1(SALU_CYCLE_1)
	s_mul_u64 s[84:85], s[42:43], s[74:75]
	v_lshl_add_u64 v[0:1], s[84:85], 3, v[138:139]
	flat_load_b64 v[0:1], v[0:1]
	s_wait_loadcnt_dscnt 0x0
	ds_store_b64 v191, v[0:1]
.LBB180_74:                             ;   in Loop: Header=BB180_69 Depth=2
	s_wait_xcnt 0x0
	s_or_b32 exec_lo, exec_lo, s83
	s_cmp_eq_u32 s82, 0
	v_add_nc_u64_e32 v[0:1], v[110:111], v[64:65]
	s_cselect_b32 s75, -1, 0
	s_cmp_lg_u32 s82, 0
	s_wait_dscnt 0x0
	s_cselect_b32 s83, -1, 0
	s_barrier_signal -1
	s_and_b32 vcc_lo, exec_lo, s83
	s_barrier_wait -1
	s_cbranch_vccz .LBB180_82
; %bb.75:                               ;   in Loop: Header=BB180_69 Depth=2
	v_mov_b64_e32 v[140:141], 0
	v_mov_b64_e32 v[142:143], 0
	s_mov_b32 s84, exec_lo
	v_cmpx_gt_i32_e64 s82, v178
	s_cbranch_execz .LBB180_77
; %bb.76:                               ;   in Loop: Header=BB180_69 Depth=2
	flat_load_b64 v[142:143], v[0:1]
.LBB180_77:                             ;   in Loop: Header=BB180_69 Depth=2
	s_wait_xcnt 0x0
	s_or_b32 exec_lo, exec_lo, s84
	s_delay_alu instid0(SALU_CYCLE_1)
	s_mov_b32 s84, exec_lo
	v_cmpx_gt_i32_e64 s82, v193
	s_cbranch_execz .LBB180_79
; %bb.78:                               ;   in Loop: Header=BB180_69 Depth=2
	v_add_nc_u64_e32 v[2:3], v[108:109], v[64:65]
	flat_load_b64 v[140:141], v[2:3]
.LBB180_79:                             ;   in Loop: Header=BB180_69 Depth=2
	s_wait_xcnt 0x0
	s_or_b32 exec_lo, exec_lo, s84
	v_mov_b64_e32 v[144:145], 0
	s_mov_b32 s84, exec_lo
	v_cmpx_gt_i32_e64 s82, v194
	s_cbranch_execz .LBB180_81
; %bb.80:                               ;   in Loop: Header=BB180_69 Depth=2
	v_add_nc_u64_e32 v[2:3], v[106:107], v[64:65]
	flat_load_b64 v[144:145], v[2:3]
.LBB180_81:                             ;   in Loop: Header=BB180_69 Depth=2
	s_wait_xcnt 0x0
	s_or_b32 exec_lo, exec_lo, s84
	v_cmp_gt_i32_e64 s84, s82, v195
	s_branch .LBB180_84
.LBB180_82:                             ;   in Loop: Header=BB180_69 Depth=2
	s_mov_b32 s84, 0
                                        ; implicit-def: $vgpr144_vgpr145
                                        ; implicit-def: $vgpr140_vgpr141
                                        ; implicit-def: $vgpr142_vgpr143
	s_cbranch_execz .LBB180_84
; %bb.83:                               ;   in Loop: Header=BB180_69 Depth=2
	v_add_nc_u64_e32 v[2:3], v[108:109], v[64:65]
	v_add_nc_u64_e32 v[4:5], v[106:107], v[64:65]
	s_or_b32 s84, s84, exec_lo
	s_wait_loadcnt_dscnt 0x0
	flat_load_b64 v[142:143], v[0:1]
	flat_load_b64 v[140:141], v[2:3]
	;; [unrolled: 1-line block ×3, first 2 shown]
.LBB180_84:                             ;   in Loop: Header=BB180_69 Depth=2
	v_mov_b64_e32 v[146:147], 0
	s_wait_xcnt 0x0
	s_delay_alu instid0(VALU_DEP_2)
	s_and_saveexec_b32 s85, s84
	s_cbranch_execz .LBB180_86
; %bb.85:                               ;   in Loop: Header=BB180_69 Depth=2
	v_add_nc_u64_e32 v[0:1], v[112:113], v[64:65]
	flat_load_b64 v[146:147], v[0:1]
.LBB180_86:                             ;   in Loop: Header=BB180_69 Depth=2
	s_wait_xcnt 0x0
	s_or_b32 exec_lo, exec_lo, s85
	ds_load_b64 v[0:1], v190
	v_cndmask_b32_e64 v40, 0, 1, s83
	s_and_not1_b32 vcc_lo, exec_lo, s83
	s_wait_loadcnt_dscnt 0x0
	v_pk_mul_f32 v[2:3], v[0:1], v[142:143] op_sel:[1,1] op_sel_hi:[0,1]
	v_pk_mul_f32 v[4:5], v[0:1], v[140:141] op_sel:[1,1] op_sel_hi:[0,1]
	;; [unrolled: 1-line block ×4, first 2 shown]
	s_delay_alu instid0(VALU_DEP_4)
	v_pk_fma_f32 v[10:11], v[0:1], v[142:143], v[2:3] neg_lo:[0,0,1] neg_hi:[0,0,1]
	v_pk_fma_f32 v[2:3], v[0:1], v[142:143], v[2:3] op_sel_hi:[1,0,1]
	v_pk_fma_f32 v[12:13], v[0:1], v[140:141], v[4:5] neg_lo:[0,0,1] neg_hi:[0,0,1]
	v_pk_fma_f32 v[4:5], v[0:1], v[140:141], v[4:5] op_sel_hi:[1,0,1]
	;; [unrolled: 2-line block ×3, first 2 shown]
	v_pk_fma_f32 v[16:17], v[0:1], v[146:147], v[8:9] op_sel_hi:[1,0,1]
	v_pk_fma_f32 v[8:9], v[0:1], v[146:147], v[8:9] neg_lo:[0,0,1] neg_hi:[0,0,1]
	v_dual_mov_b32 v11, v3 :: v_dual_mov_b32 v13, v5
	s_delay_alu instid0(VALU_DEP_3)
	v_dual_mov_b32 v15, v7 :: v_dual_mov_b32 v9, v17
	ds_load_b128 v[4:7], v192
	ds_load_b128 v[0:3], v192 offset:16
	ds_store_2addr_b64 v182, v[10:11], v[12:13] offset1:67
	ds_store_2addr_b64 v182, v[14:15], v[8:9] offset0:134 offset1:201
	s_wait_dscnt 0x0
	s_barrier_signal -1
	s_barrier_wait -1
	ds_load_2addr_b64 v[20:23], v179 offset1:1
	ds_load_2addr_b64 v[16:19], v179 offset0:2 offset1:3
	v_add_nc_u64_e32 v[8:9], v[118:119], v[64:65]
	s_wait_dscnt 0x0
	s_barrier_signal -1
	s_barrier_wait -1
	s_cbranch_vccnz .LBB180_94
; %bb.87:                               ;   in Loop: Header=BB180_69 Depth=2
	v_mov_b64_e32 v[148:149], 0
	v_mov_b64_e32 v[150:151], 0
	s_mov_b32 s83, exec_lo
	v_cmpx_gt_i32_e64 s82, v196
	s_cbranch_execz .LBB180_89
; %bb.88:                               ;   in Loop: Header=BB180_69 Depth=2
	flat_load_b64 v[150:151], v[8:9]
.LBB180_89:                             ;   in Loop: Header=BB180_69 Depth=2
	s_wait_xcnt 0x0
	s_or_b32 exec_lo, exec_lo, s83
	s_delay_alu instid0(SALU_CYCLE_1)
	s_mov_b32 s83, exec_lo
	v_cmpx_gt_i32_e64 s82, v197
	s_cbranch_execz .LBB180_91
; %bb.90:                               ;   in Loop: Header=BB180_69 Depth=2
	v_add_nc_u64_e32 v[10:11], v[116:117], v[64:65]
	flat_load_b64 v[148:149], v[10:11]
.LBB180_91:                             ;   in Loop: Header=BB180_69 Depth=2
	s_wait_xcnt 0x0
	s_or_b32 exec_lo, exec_lo, s83
	v_mov_b64_e32 v[152:153], 0
	s_mov_b32 s83, exec_lo
	v_cmpx_gt_i32_e64 s82, v198
	s_cbranch_execz .LBB180_93
; %bb.92:                               ;   in Loop: Header=BB180_69 Depth=2
	v_add_nc_u64_e32 v[10:11], v[114:115], v[64:65]
	flat_load_b64 v[152:153], v[10:11]
.LBB180_93:                             ;   in Loop: Header=BB180_69 Depth=2
	s_wait_xcnt 0x0
	s_or_b32 exec_lo, exec_lo, s83
	v_cmp_gt_i32_e64 s83, s82, v199
	s_branch .LBB180_96
.LBB180_94:                             ;   in Loop: Header=BB180_69 Depth=2
	s_mov_b32 s83, 0
                                        ; implicit-def: $vgpr152_vgpr153
                                        ; implicit-def: $vgpr148_vgpr149
                                        ; implicit-def: $vgpr150_vgpr151
	s_cbranch_execz .LBB180_96
; %bb.95:                               ;   in Loop: Header=BB180_69 Depth=2
	v_add_nc_u64_e32 v[10:11], v[116:117], v[64:65]
	v_add_nc_u64_e32 v[12:13], v[114:115], v[64:65]
	s_or_b32 s83, s83, exec_lo
	s_wait_loadcnt_dscnt 0x0
	flat_load_b64 v[150:151], v[8:9]
	flat_load_b64 v[148:149], v[10:11]
	;; [unrolled: 1-line block ×3, first 2 shown]
.LBB180_96:                             ;   in Loop: Header=BB180_69 Depth=2
	v_mov_b64_e32 v[154:155], 0
	s_wait_xcnt 0x0
	s_delay_alu instid0(VALU_DEP_2)
	s_and_saveexec_b32 s84, s83
	s_cbranch_execz .LBB180_98
; %bb.97:                               ;   in Loop: Header=BB180_69 Depth=2
	v_add_nc_u64_e32 v[8:9], v[120:121], v[64:65]
	flat_load_b64 v[154:155], v[8:9]
.LBB180_98:                             ;   in Loop: Header=BB180_69 Depth=2
	s_wait_xcnt 0x0
	s_or_b32 exec_lo, exec_lo, s84
	ds_load_b64 v[8:9], v190
	v_cmp_ne_u32_e32 vcc_lo, 1, v40
	s_and_b32 vcc_lo, exec_lo, vcc_lo
	s_wait_loadcnt_dscnt 0x0
	v_pk_mul_f32 v[10:11], v[8:9], v[150:151] op_sel:[1,1] op_sel_hi:[0,1]
	v_pk_mul_f32 v[12:13], v[8:9], v[148:149] op_sel:[1,1] op_sel_hi:[0,1]
	;; [unrolled: 1-line block ×4, first 2 shown]
	s_delay_alu instid0(VALU_DEP_4)
	v_pk_fma_f32 v[26:27], v[8:9], v[150:151], v[10:11] neg_lo:[0,0,1] neg_hi:[0,0,1]
	v_pk_fma_f32 v[10:11], v[8:9], v[150:151], v[10:11] op_sel_hi:[1,0,1]
	v_pk_fma_f32 v[28:29], v[8:9], v[148:149], v[12:13] neg_lo:[0,0,1] neg_hi:[0,0,1]
	v_pk_fma_f32 v[12:13], v[8:9], v[148:149], v[12:13] op_sel_hi:[1,0,1]
	;; [unrolled: 2-line block ×3, first 2 shown]
	v_pk_fma_f32 v[32:33], v[8:9], v[154:155], v[24:25] op_sel_hi:[1,0,1]
	v_pk_fma_f32 v[24:25], v[8:9], v[154:155], v[24:25] neg_lo:[0,0,1] neg_hi:[0,0,1]
	v_dual_mov_b32 v27, v11 :: v_dual_mov_b32 v29, v13
	s_delay_alu instid0(VALU_DEP_3)
	v_dual_mov_b32 v31, v15 :: v_dual_mov_b32 v25, v33
	ds_load_b128 v[12:15], v192 offset:128
	ds_load_b128 v[8:11], v192 offset:144
	ds_store_2addr_b64 v182, v[26:27], v[28:29] offset1:67
	ds_store_2addr_b64 v182, v[30:31], v[24:25] offset0:134 offset1:201
	s_wait_dscnt 0x0
	s_barrier_signal -1
	s_barrier_wait -1
	ds_load_2addr_b64 v[36:39], v179 offset1:1
	ds_load_2addr_b64 v[32:35], v179 offset0:2 offset1:3
	v_add_nc_u64_e32 v[24:25], v[126:127], v[64:65]
	s_wait_dscnt 0x0
	s_barrier_signal -1
	s_barrier_wait -1
	s_cbranch_vccnz .LBB180_106
; %bb.99:                               ;   in Loop: Header=BB180_69 Depth=2
	v_mov_b64_e32 v[156:157], 0
	v_mov_b64_e32 v[158:159], 0
	s_mov_b32 s83, exec_lo
	v_cmpx_gt_i32_e64 s82, v200
	s_cbranch_execz .LBB180_101
; %bb.100:                              ;   in Loop: Header=BB180_69 Depth=2
	flat_load_b64 v[158:159], v[24:25]
.LBB180_101:                            ;   in Loop: Header=BB180_69 Depth=2
	s_wait_xcnt 0x0
	s_or_b32 exec_lo, exec_lo, s83
	s_delay_alu instid0(SALU_CYCLE_1)
	s_mov_b32 s83, exec_lo
	v_cmpx_gt_i32_e64 s82, v201
	s_cbranch_execz .LBB180_103
; %bb.102:                              ;   in Loop: Header=BB180_69 Depth=2
	v_add_nc_u64_e32 v[26:27], v[124:125], v[64:65]
	flat_load_b64 v[156:157], v[26:27]
.LBB180_103:                            ;   in Loop: Header=BB180_69 Depth=2
	s_wait_xcnt 0x0
	s_or_b32 exec_lo, exec_lo, s83
	v_mov_b64_e32 v[160:161], 0
	s_mov_b32 s83, exec_lo
	v_cmpx_gt_i32_e64 s82, v202
	s_cbranch_execz .LBB180_105
; %bb.104:                              ;   in Loop: Header=BB180_69 Depth=2
	v_add_nc_u64_e32 v[26:27], v[122:123], v[64:65]
	flat_load_b64 v[160:161], v[26:27]
.LBB180_105:                            ;   in Loop: Header=BB180_69 Depth=2
	s_wait_xcnt 0x0
	s_or_b32 exec_lo, exec_lo, s83
	v_cmp_gt_i32_e64 s83, s82, v203
	s_branch .LBB180_108
.LBB180_106:                            ;   in Loop: Header=BB180_69 Depth=2
	s_mov_b32 s83, 0
                                        ; implicit-def: $vgpr160_vgpr161
                                        ; implicit-def: $vgpr156_vgpr157
                                        ; implicit-def: $vgpr158_vgpr159
	s_cbranch_execz .LBB180_108
; %bb.107:                              ;   in Loop: Header=BB180_69 Depth=2
	v_add_nc_u64_e32 v[26:27], v[124:125], v[64:65]
	v_add_nc_u64_e32 v[28:29], v[122:123], v[64:65]
	s_or_b32 s83, s83, exec_lo
	s_wait_loadcnt_dscnt 0x0
	flat_load_b64 v[158:159], v[24:25]
	flat_load_b64 v[156:157], v[26:27]
	;; [unrolled: 1-line block ×3, first 2 shown]
.LBB180_108:                            ;   in Loop: Header=BB180_69 Depth=2
	v_mov_b64_e32 v[162:163], 0
	s_wait_xcnt 0x0
	s_delay_alu instid0(VALU_DEP_2)
	s_and_saveexec_b32 s84, s83
	s_cbranch_execz .LBB180_110
; %bb.109:                              ;   in Loop: Header=BB180_69 Depth=2
	v_add_nc_u64_e32 v[24:25], v[128:129], v[64:65]
	flat_load_b64 v[162:163], v[24:25]
.LBB180_110:                            ;   in Loop: Header=BB180_69 Depth=2
	s_wait_xcnt 0x0
	s_or_b32 exec_lo, exec_lo, s84
	ds_load_b64 v[24:25], v190
	ds_load_b128 v[28:31], v192 offset:256
	v_cmp_ne_u32_e32 vcc_lo, 1, v40
	v_add_nc_u64_e32 v[40:41], v[134:135], v[64:65]
	s_and_b32 vcc_lo, exec_lo, vcc_lo
	s_wait_loadcnt_dscnt 0x1
	v_pk_mul_f32 v[26:27], v[24:25], v[158:159] op_sel:[0,1]
	v_pk_mul_f32 v[42:43], v[24:25], v[156:157] op_sel:[0,1]
	;; [unrolled: 1-line block ×4, first 2 shown]
	s_delay_alu instid0(VALU_DEP_4)
	v_pk_fma_f32 v[48:49], v[24:25], v[158:159], v[26:27] op_sel:[0,0,1] op_sel_hi:[1,1,0] neg_lo:[0,0,1] neg_hi:[0,0,1]
	v_pk_fma_f32 v[26:27], v[24:25], v[158:159], v[26:27] op_sel:[0,0,1] op_sel_hi:[1,0,0]
	v_pk_fma_f32 v[50:51], v[24:25], v[156:157], v[42:43] op_sel:[0,0,1] op_sel_hi:[1,1,0] neg_lo:[0,0,1] neg_hi:[0,0,1]
	v_pk_fma_f32 v[42:43], v[24:25], v[156:157], v[42:43] op_sel:[0,0,1] op_sel_hi:[1,0,0]
	;; [unrolled: 2-line block ×3, first 2 shown]
	v_pk_fma_f32 v[54:55], v[24:25], v[162:163], v[46:47] op_sel:[0,0,1] op_sel_hi:[1,0,0]
	v_pk_fma_f32 v[46:47], v[24:25], v[162:163], v[46:47] op_sel:[0,0,1] op_sel_hi:[1,1,0] neg_lo:[0,0,1] neg_hi:[0,0,1]
	v_dual_mov_b32 v49, v27 :: v_dual_mov_b32 v51, v43
	s_delay_alu instid0(VALU_DEP_3)
	v_dual_mov_b32 v53, v45 :: v_dual_mov_b32 v47, v55
	ds_load_b128 v[24:27], v192 offset:272
	ds_store_2addr_b64 v182, v[48:49], v[50:51] offset1:67
	ds_store_2addr_b64 v182, v[52:53], v[46:47] offset0:134 offset1:201
	s_wait_dscnt 0x0
	s_barrier_signal -1
	s_barrier_wait -1
	ds_load_2addr_b64 v[52:55], v179 offset1:1
	ds_load_2addr_b64 v[48:51], v179 offset0:2 offset1:3
	s_wait_dscnt 0x0
	s_barrier_signal -1
	s_barrier_wait -1
	s_cbranch_vccnz .LBB180_118
; %bb.111:                              ;   in Loop: Header=BB180_69 Depth=2
	v_mov_b64_e32 v[164:165], 0
	v_mov_b64_e32 v[166:167], 0
	s_mov_b32 s83, exec_lo
	v_cmpx_gt_i32_e64 s82, v204
	s_cbranch_execz .LBB180_113
; %bb.112:                              ;   in Loop: Header=BB180_69 Depth=2
	flat_load_b64 v[166:167], v[40:41]
.LBB180_113:                            ;   in Loop: Header=BB180_69 Depth=2
	s_wait_xcnt 0x0
	s_or_b32 exec_lo, exec_lo, s83
	s_delay_alu instid0(SALU_CYCLE_1)
	s_mov_b32 s83, exec_lo
	v_cmpx_gt_i32_e64 s82, v205
	s_cbranch_execz .LBB180_115
; %bb.114:                              ;   in Loop: Header=BB180_69 Depth=2
	v_add_nc_u64_e32 v[42:43], v[132:133], v[64:65]
	flat_load_b64 v[164:165], v[42:43]
.LBB180_115:                            ;   in Loop: Header=BB180_69 Depth=2
	s_wait_xcnt 0x0
	s_or_b32 exec_lo, exec_lo, s83
	v_mov_b64_e32 v[168:169], 0
	s_mov_b32 s83, exec_lo
	v_cmpx_gt_i32_e64 s82, v57
	s_cbranch_execz .LBB180_117
; %bb.116:                              ;   in Loop: Header=BB180_69 Depth=2
	v_add_nc_u64_e32 v[42:43], v[130:131], v[64:65]
	flat_load_b64 v[168:169], v[42:43]
.LBB180_117:                            ;   in Loop: Header=BB180_69 Depth=2
	s_wait_xcnt 0x0
	s_or_b32 exec_lo, exec_lo, s83
	v_cmp_gt_i32_e64 s83, s82, v206
	s_branch .LBB180_120
.LBB180_118:                            ;   in Loop: Header=BB180_69 Depth=2
	s_mov_b32 s83, 0
                                        ; implicit-def: $vgpr168_vgpr169
                                        ; implicit-def: $vgpr164_vgpr165
                                        ; implicit-def: $vgpr166_vgpr167
	s_cbranch_execz .LBB180_120
; %bb.119:                              ;   in Loop: Header=BB180_69 Depth=2
	v_add_nc_u64_e32 v[42:43], v[132:133], v[64:65]
	v_add_nc_u64_e32 v[44:45], v[130:131], v[64:65]
	s_or_b32 s83, s83, exec_lo
	s_wait_loadcnt_dscnt 0x0
	flat_load_b64 v[166:167], v[40:41]
	flat_load_b64 v[164:165], v[42:43]
	;; [unrolled: 1-line block ×3, first 2 shown]
.LBB180_120:                            ;   in Loop: Header=BB180_69 Depth=2
	v_mov_b64_e32 v[170:171], 0
	s_wait_xcnt 0x0
	s_delay_alu instid0(VALU_DEP_2)
	s_and_saveexec_b32 s84, s83
	s_cbranch_execz .LBB180_122
; %bb.121:                              ;   in Loop: Header=BB180_69 Depth=2
	v_add_nc_u64_e32 v[40:41], v[136:137], v[64:65]
	flat_load_b64 v[170:171], v[40:41]
.LBB180_122:                            ;   in Loop: Header=BB180_69 Depth=2
	s_wait_xcnt 0x0
	s_or_b32 exec_lo, exec_lo, s84
	ds_load_b64 v[44:45], v190
	ds_load_b128 v[40:43], v192 offset:384
	v_pk_add_f32 v[36:37], v[36:37], 0 op_sel_hi:[1,0]
	v_pk_add_f32 v[20:21], v[20:21], 0 op_sel_hi:[1,0]
	;; [unrolled: 1-line block ×3, first 2 shown]
	v_cmp_gt_i32_e32 vcc_lo, s82, v172
	s_delay_alu instid0(VALU_DEP_4) | instskip(NEXT) | instid1(VALU_DEP_4)
	v_pk_add_f32 v[36:37], v[36:37], v[38:39]
	v_pk_add_f32 v[20:21], v[20:21], v[22:23]
	s_delay_alu instid0(VALU_DEP_4) | instskip(SKIP_1) | instid1(VALU_DEP_3)
	v_pk_add_f32 v[52:53], v[52:53], v[54:55]
	s_or_b32 s75, s75, vcc_lo
	v_pk_add_f32 v[32:33], v[36:37], v[32:33]
	s_delay_alu instid0(VALU_DEP_3) | instskip(NEXT) | instid1(VALU_DEP_3)
	v_pk_add_f32 v[16:17], v[20:21], v[16:17]
	v_pk_add_f32 v[38:39], v[52:53], v[48:49]
	s_and_b32 s82, s17, s75
	s_delay_alu instid0(VALU_DEP_3) | instskip(NEXT) | instid1(VALU_DEP_3)
	v_pk_add_f32 v[32:33], v[32:33], v[34:35]
	v_pk_add_f32 v[16:17], v[16:17], v[18:19]
	s_wait_loadcnt_dscnt 0x1
	v_pk_mul_f32 v[46:47], v[44:45], v[166:167] op_sel:[0,1]
	v_pk_mul_f32 v[208:209], v[44:45], v[164:165] op_sel:[0,1]
	;; [unrolled: 1-line block ×4, first 2 shown]
	s_delay_alu instid0(VALU_DEP_4)
	v_pk_fma_f32 v[214:215], v[44:45], v[166:167], v[46:47] op_sel:[0,0,1] op_sel_hi:[1,1,0] neg_lo:[0,0,1] neg_hi:[0,0,1]
	v_pk_fma_f32 v[46:47], v[44:45], v[166:167], v[46:47] op_sel:[0,0,1] op_sel_hi:[1,0,0]
	v_pk_fma_f32 v[216:217], v[44:45], v[164:165], v[208:209] op_sel:[0,0,1] op_sel_hi:[1,1,0] neg_lo:[0,0,1] neg_hi:[0,0,1]
	v_pk_fma_f32 v[208:209], v[44:45], v[164:165], v[208:209] op_sel:[0,0,1] op_sel_hi:[1,0,0]
	;; [unrolled: 2-line block ×3, first 2 shown]
	v_pk_fma_f32 v[220:221], v[44:45], v[170:171], v[212:213] op_sel:[0,0,1] op_sel_hi:[1,0,0]
	v_pk_fma_f32 v[212:213], v[44:45], v[170:171], v[212:213] op_sel:[0,0,1] op_sel_hi:[1,1,0] neg_lo:[0,0,1] neg_hi:[0,0,1]
	v_dual_mov_b32 v215, v47 :: v_dual_mov_b32 v217, v209
	s_delay_alu instid0(VALU_DEP_3)
	v_dual_mov_b32 v219, v211 :: v_dual_mov_b32 v213, v221
	ds_load_b128 v[44:47], v192 offset:400
	ds_store_2addr_b64 v182, v[214:215], v[216:217] offset1:67
	ds_store_2addr_b64 v182, v[218:219], v[212:213] offset0:134 offset1:201
	s_wait_dscnt 0x0
	s_barrier_signal -1
	s_barrier_wait -1
	ds_load_2addr_b64 v[208:211], v179 offset1:1
	ds_load_2addr_b64 v[212:215], v179 offset0:2 offset1:3
	s_wait_dscnt 0x0
	s_barrier_signal -1
	s_barrier_wait -1
	v_pk_add_f32 v[208:209], v[208:209], 0 op_sel_hi:[1,0]
	s_delay_alu instid0(VALU_DEP_1) | instskip(NEXT) | instid1(VALU_DEP_1)
	v_pk_add_f32 v[22:23], v[208:209], v[210:211]
	v_pk_add_f32 v[20:21], v[22:23], v[212:213]
	;; [unrolled: 1-line block ×3, first 2 shown]
	s_delay_alu instid0(VALU_DEP_2)
	v_pk_add_f32 v[18:19], v[20:21], v[214:215]
	ds_store_2addr_b64 v189, v[16:17], v[32:33] offset1:16
	ds_store_2addr_b64 v189, v[22:23], v[18:19] offset0:32 offset1:48
	s_wait_dscnt 0x0
	s_barrier_signal -1
	s_barrier_wait -1
	s_and_saveexec_b32 s75, s82
	s_cbranch_execz .LBB180_68
; %bb.123:                              ;   in Loop: Header=BB180_69 Depth=2
	ds_load_b64 v[36:37], v180
	ds_load_2addr_b64 v[16:19], v180 offset0:1 offset1:2
	ds_load_2addr_b64 v[20:23], v180 offset0:3 offset1:4
	;; [unrolled: 1-line block ×3, first 2 shown]
	s_wait_dscnt 0x2
	v_dual_add_f32 v16, v16, v36 :: v_dual_add_f32 v17, v17, v37
	s_delay_alu instid0(VALU_DEP_1) | instskip(SKIP_3) | instid1(VALU_DEP_1)
	v_dual_add_f32 v36, v18, v16 :: v_dual_add_f32 v37, v19, v17
	ds_load_2addr_b64 v[16:19], v180 offset0:7 offset1:8
	s_wait_dscnt 0x2
	v_dual_add_f32 v20, v36, v20 :: v_dual_add_f32 v21, v37, v21
	v_dual_add_f32 v36, v20, v22 :: v_dual_add_f32 v37, v21, v23
	ds_load_2addr_b64 v[20:23], v180 offset0:9 offset1:10
	s_wait_dscnt 0x2
	v_pk_add_f32 v[32:33], v[36:37], v[32:33]
	s_delay_alu instid0(VALU_DEP_1) | instskip(SKIP_3) | instid1(VALU_DEP_1)
	v_pk_add_f32 v[36:37], v[32:33], v[34:35]
	ds_load_2addr_b64 v[32:35], v180 offset0:11 offset1:12
	s_wait_dscnt 0x2
	v_pk_add_f32 v[16:17], v[36:37], v[16:17]
	v_pk_add_f32 v[16:17], v[16:17], v[18:19]
	s_wait_dscnt 0x1
	s_delay_alu instid0(VALU_DEP_1)
	v_pk_add_f32 v[20:21], v[16:17], v[20:21]
	ds_load_2addr_b64 v[16:19], v180 offset0:13 offset1:14
	v_pk_add_f32 v[20:21], v[20:21], v[22:23]
	ds_load_b64 v[22:23], v181
	s_wait_dscnt 0x2
	v_pk_add_f32 v[20:21], v[20:21], v[32:33]
	s_delay_alu instid0(VALU_DEP_1) | instskip(SKIP_1) | instid1(VALU_DEP_1)
	v_pk_add_f32 v[20:21], v[20:21], v[34:35]
	s_wait_dscnt 0x1
	v_pk_add_f32 v[16:17], v[20:21], v[16:17]
	s_delay_alu instid0(VALU_DEP_1) | instskip(SKIP_2) | instid1(VALU_DEP_2)
	v_pk_add_f32 v[16:17], v[16:17], v[18:19]
	v_add_nc_u32_e32 v18, s74, v172
	s_wait_dscnt 0x0
	v_pk_add_f32 v[16:17], v[16:17], v[22:23]
	global_store_b64 v18, v[16:17], s[18:19] scale_offset
	s_branch .LBB180_68
.LBB180_124:                            ;   in Loop: Header=BB180_4 Depth=1
	ds_store_b64 v183, v[104:105]
	s_wait_dscnt 0x0
	s_barrier_signal -1
	s_barrier_wait -1
	s_and_saveexec_b32 s74, s79
	s_cbranch_execz .LBB180_2
; %bb.125:                              ;   in Loop: Header=BB180_4 Depth=1
	ds_load_2addr_b64 v[0:3], v64 offset1:67
	ds_load_2addr_b64 v[4:7], v64 offset0:134 offset1:201
	s_wait_dscnt 0x1
	v_pk_add_f32 v[0:1], v[2:3], v[0:1]
	v_lshl_add_u64 v[2:3], v[60:61], 3, s[18:19]
	s_wait_dscnt 0x0
	s_delay_alu instid0(VALU_DEP_2) | instskip(NEXT) | instid1(VALU_DEP_1)
	v_pk_add_f32 v[0:1], v[4:5], v[0:1]
	v_pk_add_f32 v[0:1], v[0:1], v[6:7]
	global_store_b64 v[2:3], v[0:1], off
	s_branch .LBB180_2
.LBB180_126:                            ;   in Loop: Header=BB180_4 Depth=1
	ds_load_b64 v[2:3], v185
	s_wait_dscnt 0x0
	ds_store_b64 v174, v[2:3]
	s_or_b32 exec_lo, exec_lo, s18
	s_and_saveexec_b32 s18, s7
	s_cbranch_execz .LBB180_26
.LBB180_127:                            ;   in Loop: Header=BB180_4 Depth=1
	ds_load_b64 v[2:3], v186
	s_wait_dscnt 0x0
	ds_store_b64 v174, v[2:3] offset:8
	s_or_b32 exec_lo, exec_lo, s18
	s_and_saveexec_b32 s18, s8
	s_cbranch_execz .LBB180_27
.LBB180_128:                            ;   in Loop: Header=BB180_4 Depth=1
	ds_load_b64 v[2:3], v186 offset:264
	s_wait_dscnt 0x0
	ds_store_b64 v174, v[2:3] offset:16
	s_or_b32 exec_lo, exec_lo, s18
	s_and_saveexec_b32 s18, s9
	s_cbranch_execnz .LBB180_28
	s_branch .LBB180_29
.LBB180_129:                            ;   in Loop: Header=BB180_4 Depth=1
	ds_load_b64 v[2:3], v185
	s_wait_dscnt 0x0
	ds_store_b64 v174, v[2:3]
	s_or_b32 exec_lo, exec_lo, s18
	s_and_saveexec_b32 s18, s7
	s_cbranch_execz .LBB180_45
.LBB180_130:                            ;   in Loop: Header=BB180_4 Depth=1
	ds_load_b64 v[2:3], v186
	s_wait_dscnt 0x0
	ds_store_b64 v174, v[2:3] offset:8
	s_or_b32 exec_lo, exec_lo, s18
	s_and_saveexec_b32 s18, s8
	s_cbranch_execz .LBB180_46
.LBB180_131:                            ;   in Loop: Header=BB180_4 Depth=1
	ds_load_b64 v[2:3], v186 offset:264
	s_wait_dscnt 0x0
	ds_store_b64 v174, v[2:3] offset:16
	s_or_b32 exec_lo, exec_lo, s18
	s_and_saveexec_b32 s18, s9
	s_cbranch_execnz .LBB180_47
	s_branch .LBB180_48
.LBB180_132:
	s_sendmsg sendmsg(MSG_DEALLOC_VGPRS)
	s_endpgm
	.section	.rodata,"a",@progbits
	.p2align	6, 0x0
	.amdhsa_kernel _ZL26rocblas_hemvn_kernel_upperILb0ELi64ELi4ELi33ELi32ELi16ElPK19rocblas_complex_numIfEPKS3_PS1_EviT6_lT7_lT5_lS8_lS9_lS7_lT8_i
		.amdhsa_group_segment_fixed_size 9600
		.amdhsa_private_segment_fixed_size 0
		.amdhsa_kernarg_size 376
		.amdhsa_user_sgpr_count 2
		.amdhsa_user_sgpr_dispatch_ptr 0
		.amdhsa_user_sgpr_queue_ptr 0
		.amdhsa_user_sgpr_kernarg_segment_ptr 1
		.amdhsa_user_sgpr_dispatch_id 0
		.amdhsa_user_sgpr_kernarg_preload_length 0
		.amdhsa_user_sgpr_kernarg_preload_offset 0
		.amdhsa_user_sgpr_private_segment_size 0
		.amdhsa_wavefront_size32 1
		.amdhsa_uses_dynamic_stack 0
		.amdhsa_enable_private_segment 0
		.amdhsa_system_sgpr_workgroup_id_x 1
		.amdhsa_system_sgpr_workgroup_id_y 0
		.amdhsa_system_sgpr_workgroup_id_z 1
		.amdhsa_system_sgpr_workgroup_info 0
		.amdhsa_system_vgpr_workitem_id 1
		.amdhsa_next_free_vgpr 222
		.amdhsa_next_free_sgpr 86
		.amdhsa_named_barrier_count 0
		.amdhsa_reserve_vcc 1
		.amdhsa_float_round_mode_32 0
		.amdhsa_float_round_mode_16_64 0
		.amdhsa_float_denorm_mode_32 3
		.amdhsa_float_denorm_mode_16_64 3
		.amdhsa_fp16_overflow 0
		.amdhsa_memory_ordered 1
		.amdhsa_forward_progress 1
		.amdhsa_inst_pref_size 67
		.amdhsa_round_robin_scheduling 0
		.amdhsa_exception_fp_ieee_invalid_op 0
		.amdhsa_exception_fp_denorm_src 0
		.amdhsa_exception_fp_ieee_div_zero 0
		.amdhsa_exception_fp_ieee_overflow 0
		.amdhsa_exception_fp_ieee_underflow 0
		.amdhsa_exception_fp_ieee_inexact 0
		.amdhsa_exception_int_div_zero 0
	.end_amdhsa_kernel
	.section	.text._ZL26rocblas_hemvn_kernel_upperILb0ELi64ELi4ELi33ELi32ELi16ElPK19rocblas_complex_numIfEPKS3_PS1_EviT6_lT7_lT5_lS8_lS9_lS7_lT8_i,"axG",@progbits,_ZL26rocblas_hemvn_kernel_upperILb0ELi64ELi4ELi33ELi32ELi16ElPK19rocblas_complex_numIfEPKS3_PS1_EviT6_lT7_lT5_lS8_lS9_lS7_lT8_i,comdat
.Lfunc_end180:
	.size	_ZL26rocblas_hemvn_kernel_upperILb0ELi64ELi4ELi33ELi32ELi16ElPK19rocblas_complex_numIfEPKS3_PS1_EviT6_lT7_lT5_lS8_lS9_lS7_lT8_i, .Lfunc_end180-_ZL26rocblas_hemvn_kernel_upperILb0ELi64ELi4ELi33ELi32ELi16ElPK19rocblas_complex_numIfEPKS3_PS1_EviT6_lT7_lT5_lS8_lS9_lS7_lT8_i
                                        ; -- End function
	.set _ZL26rocblas_hemvn_kernel_upperILb0ELi64ELi4ELi33ELi32ELi16ElPK19rocblas_complex_numIfEPKS3_PS1_EviT6_lT7_lT5_lS8_lS9_lS7_lT8_i.num_vgpr, 222
	.set _ZL26rocblas_hemvn_kernel_upperILb0ELi64ELi4ELi33ELi32ELi16ElPK19rocblas_complex_numIfEPKS3_PS1_EviT6_lT7_lT5_lS8_lS9_lS7_lT8_i.num_agpr, 0
	.set _ZL26rocblas_hemvn_kernel_upperILb0ELi64ELi4ELi33ELi32ELi16ElPK19rocblas_complex_numIfEPKS3_PS1_EviT6_lT7_lT5_lS8_lS9_lS7_lT8_i.numbered_sgpr, 86
	.set _ZL26rocblas_hemvn_kernel_upperILb0ELi64ELi4ELi33ELi32ELi16ElPK19rocblas_complex_numIfEPKS3_PS1_EviT6_lT7_lT5_lS8_lS9_lS7_lT8_i.num_named_barrier, 0
	.set _ZL26rocblas_hemvn_kernel_upperILb0ELi64ELi4ELi33ELi32ELi16ElPK19rocblas_complex_numIfEPKS3_PS1_EviT6_lT7_lT5_lS8_lS9_lS7_lT8_i.private_seg_size, 0
	.set _ZL26rocblas_hemvn_kernel_upperILb0ELi64ELi4ELi33ELi32ELi16ElPK19rocblas_complex_numIfEPKS3_PS1_EviT6_lT7_lT5_lS8_lS9_lS7_lT8_i.uses_vcc, 1
	.set _ZL26rocblas_hemvn_kernel_upperILb0ELi64ELi4ELi33ELi32ELi16ElPK19rocblas_complex_numIfEPKS3_PS1_EviT6_lT7_lT5_lS8_lS9_lS7_lT8_i.uses_flat_scratch, 1
	.set _ZL26rocblas_hemvn_kernel_upperILb0ELi64ELi4ELi33ELi32ELi16ElPK19rocblas_complex_numIfEPKS3_PS1_EviT6_lT7_lT5_lS8_lS9_lS7_lT8_i.has_dyn_sized_stack, 0
	.set _ZL26rocblas_hemvn_kernel_upperILb0ELi64ELi4ELi33ELi32ELi16ElPK19rocblas_complex_numIfEPKS3_PS1_EviT6_lT7_lT5_lS8_lS9_lS7_lT8_i.has_recursion, 0
	.set _ZL26rocblas_hemvn_kernel_upperILb0ELi64ELi4ELi33ELi32ELi16ElPK19rocblas_complex_numIfEPKS3_PS1_EviT6_lT7_lT5_lS8_lS9_lS7_lT8_i.has_indirect_call, 0
	.section	.AMDGPU.csdata,"",@progbits
; Kernel info:
; codeLenInByte = 8556
; TotalNumSgprs: 88
; NumVgprs: 222
; ScratchSize: 0
; MemoryBound: 1
; FloatMode: 240
; IeeeMode: 1
; LDSByteSize: 9600 bytes/workgroup (compile time only)
; SGPRBlocks: 0
; VGPRBlocks: 13
; NumSGPRsForWavesPerEU: 88
; NumVGPRsForWavesPerEU: 222
; NamedBarCnt: 0
; Occupancy: 4
; WaveLimiterHint : 1
; COMPUTE_PGM_RSRC2:SCRATCH_EN: 0
; COMPUTE_PGM_RSRC2:USER_SGPR: 2
; COMPUTE_PGM_RSRC2:TRAP_HANDLER: 0
; COMPUTE_PGM_RSRC2:TGID_X_EN: 1
; COMPUTE_PGM_RSRC2:TGID_Y_EN: 0
; COMPUTE_PGM_RSRC2:TGID_Z_EN: 1
; COMPUTE_PGM_RSRC2:TIDIG_COMP_CNT: 1
	.section	.text._ZL26rocblas_hemvn_kernel_upperILb0ELi64ELi4ELi33ELi32ELi16EiPK19rocblas_complex_numIfEPKS3_PS1_EviT6_lT7_lT5_lS8_lS9_lS7_lT8_i,"axG",@progbits,_ZL26rocblas_hemvn_kernel_upperILb0ELi64ELi4ELi33ELi32ELi16EiPK19rocblas_complex_numIfEPKS3_PS1_EviT6_lT7_lT5_lS8_lS9_lS7_lT8_i,comdat
	.globl	_ZL26rocblas_hemvn_kernel_upperILb0ELi64ELi4ELi33ELi32ELi16EiPK19rocblas_complex_numIfEPKS3_PS1_EviT6_lT7_lT5_lS8_lS9_lS7_lT8_i ; -- Begin function _ZL26rocblas_hemvn_kernel_upperILb0ELi64ELi4ELi33ELi32ELi16EiPK19rocblas_complex_numIfEPKS3_PS1_EviT6_lT7_lT5_lS8_lS9_lS7_lT8_i
	.p2align	8
	.type	_ZL26rocblas_hemvn_kernel_upperILb0ELi64ELi4ELi33ELi32ELi16EiPK19rocblas_complex_numIfEPKS3_PS1_EviT6_lT7_lT5_lS8_lS9_lS7_lT8_i,@function
_ZL26rocblas_hemvn_kernel_upperILb0ELi64ELi4ELi33ELi32ELi16EiPK19rocblas_complex_numIfEPKS3_PS1_EviT6_lT7_lT5_lS8_lS9_lS7_lT8_i: ; @_ZL26rocblas_hemvn_kernel_upperILb0ELi64ELi4ELi33ELi32ELi16EiPK19rocblas_complex_numIfEPKS3_PS1_EviT6_lT7_lT5_lS8_lS9_lS7_lT8_i
; %bb.0:
	s_clause 0x1
	s_load_b64 s[2:3], s[0:1], 0x84
	s_load_b32 s33, s[0:1], 0x70
	s_bfe_u32 s4, ttmp6, 0x40014
	s_lshr_b32 s5, ttmp7, 16
	s_add_co_i32 s4, s4, 1
	s_bfe_u32 s6, ttmp6, 0x40008
	s_mul_i32 s7, s5, s4
	s_getreg_b32 s4, hwreg(HW_REG_IB_STS2, 6, 4)
	s_add_co_i32 s6, s6, s7
	s_mov_b32 s35, 0
	s_wait_kmcnt 0x0
	s_lshr_b32 s7, s2, 16
	s_and_b32 s2, s2, 0xffff
	s_and_b32 s3, s3, 0xffff
	s_mul_i32 s2, s7, s2
	s_cmp_eq_u32 s4, 0
	s_mul_i32 s2, s2, s3
	s_cselect_b32 s34, s5, s6
	s_cmp_lg_u32 s2, 0x100
	s_cselect_b32 s2, -1, 0
	s_cmp_ge_u32 s34, s33
	s_cselect_b32 s3, -1, 0
	s_delay_alu instid0(SALU_CYCLE_1) | instskip(NEXT) | instid1(SALU_CYCLE_1)
	s_or_b32 s2, s2, s3
	s_and_b32 vcc_lo, exec_lo, s2
	s_cbranch_vccnz .LBB181_132
; %bb.1:
	s_clause 0x1
	s_load_b32 s2, s[0:1], 0x0
	s_load_b32 s66, s[0:1], 0x28
	v_and_b32_e32 v188, 0x3ff, v0
	v_bfe_u32 v1, v0, 10, 10
	v_dual_mov_b32 v65, 0 :: v_dual_bitop2_b32 v56, 31, v0 bitop3:0x40
	s_add_nc_u64 s[6:7], s[0:1], 0x78
	s_load_b32 s40, s[6:7], 0x0
	s_clause 0x4
	s_load_b256 s[20:27], s[0:1], 0x8
	s_load_b128 s[28:31], s[0:1], 0x38
	s_load_b32 s68, s[0:1], 0x48
	s_load_b64 s[8:9], s[0:1], 0x68
	s_load_b128 s[36:39], s[0:1], 0x58
	v_lshl_add_u32 v4, v1, 6, v188
	s_wait_xcnt 0x0
	s_bfe_u32 s1, ttmp6, 0x4000c
	s_and_b32 s0, ttmp6, 15
	s_add_co_i32 s1, s1, 1
	s_mov_b32 s41, s35
	v_lshrrev_b32_e32 v3, 5, v4
	s_mul_i32 s1, ttmp9, s1
	v_and_b32_e32 v8, 0x7fe0, v4
	s_add_co_i32 s0, s0, s1
	v_lshl_add_u32 v198, v1, 5, 0x2180
	v_cmp_gt_u32_e64 s10, 32, v4
	s_wait_kmcnt 0x0
	s_ashr_i32 s3, s2, 31
	v_mad_u32 v62, s66, v3, v56
	s_ashr_i32 s67, s66, 31
	s_cmp_eq_u32 s4, 0
	s_mul_u64 s[46:47], s[40:41], s[2:3]
	s_cselect_b32 s42, ttmp9, s0
	s_lshr_b32 s0, s3, 26
	s_add_co_i32 s1, s40, -1
	s_add_co_i32 s0, s2, s0
	s_lshl_b32 s18, s42, 6
	s_and_not1_b32 s0, s0, 63
	v_dual_add_nc_u32 v58, s18, v188 :: v_dual_lshlrev_b32 v189, 3, v188
	v_dual_ashrrev_i32 v63, 31, v62 :: v_dual_lshlrev_b32 v190, 3, v56
	v_add_nc_u32_e32 v2, 8, v3
	s_sub_co_i32 s76, s2, s0
	s_cmp_eq_u32 s42, s1
	v_dual_add_nc_u32 v5, 16, v3 :: v_dual_add_nc_u32 v6, 24, v3
	v_lshl_or_b32 v192, v56, 8, v190
	v_lshlrev_b32_e32 v7, 2, v3
	s_cselect_b32 s44, s76, 0
	v_lshlrev_b32_e32 v196, 2, v1
	s_cmp_lg_u32 s44, 0
	s_delay_alu instid0(VALU_DEP_2)
	v_dual_add_nc_u32 v193, v192, v8 :: v_dual_bitop2_b32 v9, 1, v7 bitop3:0x54
	s_cselect_b32 s77, -1, 0
	s_cmp_eq_u32 s44, 0
	v_cmp_gt_u32_e64 s6, v7, v56
	s_cselect_b32 s1, -1, 0
	s_ashr_i32 s43, s42, 31
	s_sub_co_i32 s15, s44, 32
	s_mul_u64 s[4:5], s[2:3], s[42:43]
	v_cmp_gt_i32_e64 s3, s44, v2
	v_cmp_gt_i32_e64 s13, s15, v2
	v_mad_u32 v2, s66, v196, v188
	s_lshl_b64 s[4:5], s[4:5], 3
	v_cmp_ge_u32_e64 s7, v7, v56
	s_add_nc_u64 s[48:49], s[8:9], s[4:5]
	v_cmp_gt_i32_e64 s4, s44, v5
	v_cmp_gt_i32_e64 s5, s44, v6
	v_or_b32_e32 v11, 2, v7
	v_or_b32_e32 v7, 3, v7
	v_cmp_gt_i32_e64 s12, s15, v3
	v_cmp_gt_i32_e64 s14, s15, v5
	;; [unrolled: 1-line block ×3, first 2 shown]
	v_lshrrev_b32_e32 v5, 4, v4
	v_and_b32_e32 v6, 15, v0
	v_dual_ashrrev_i32 v59, 31, v58 :: v_dual_bitop2_b32 v0, 48, v0 bitop3:0x40
	v_cmp_gt_i32_e64 s2, s44, v3
	v_mul_u32_u24_e32 v191, 0x108, v3
	v_mul_u32_u24_e32 v10, 0x420, v3
	v_lshlrev_b32_e32 v13, 3, v3
	v_cmp_eq_u32_e64 s16, 1, v3
	v_mul_i32_i24_e32 v197, 0xffffffe8, v3
	v_ashrrev_i32_e32 v3, 31, v2
	v_cmp_gt_u32_e64 s9, v7, v56
	v_or_b32_e32 v7, 32, v56
	v_dual_lshlrev_b32 v0, 3, v0 :: v_dual_add_nc_u32 v204, v192, v13
	v_cmp_eq_u32_e64 s0, 0, v1
	v_mad_u32_u24 v199, 0x860, v1, v189
	s_delay_alu instid0(VALU_DEP_4)
	v_cmp_gt_i32_e64 s11, s44, v7
	v_lshlrev_b32_e32 v7, 5, v5
	v_mad_u32_u24 v201, 0x218, v6, v0
	v_mad_u32_u24 v203, 0x218, v1, v189
	v_lshlrev_b64_e32 v[0:1], 3, v[62:63]
	v_cmp_gt_i32_e32 vcc_lo, s44, v188
	s_lshl_b32 s58, s66, 5
	s_mul_i32 s50, s66, s18
	s_ashr_i32 s59, s58, 31
	s_lshl_b32 s52, s66, 3
	s_or_b32 s62, s1, vcc_lo
	s_lshl_b32 s54, s66, 4
	s_mul_i32 s56, s66, 24
	s_mul_i32 s60, s68, s18
	v_sub_nc_u64_e32 v[66:67], 0, v[0:1]
	v_add_nc_u64_e32 v[0:1], s[58:59], v[2:3]
	s_add_co_i32 s69, s42, 1
	s_xor_b32 s78, s62, -1
	s_ashr_i32 s19, s18, 31
	s_ashr_i32 s51, s50, 31
	;; [unrolled: 1-line block ×7, first 2 shown]
	s_cmp_lt_u32 s69, s40
	v_mad_u32_u24 v200, 0x218, v6, v7
	s_cselect_b32 s41, -1, 0
	s_lshl_b32 s70, s66, 1
	v_mul_i32_i24_e32 v7, 0xffffffe8, v5
	v_cmp_gt_u32_e64 s17, 64, v4
	v_lshlrev_b64_e32 v[4:5], 3, v[2:3]
	s_ashr_i32 s71, s70, 31
	v_lshlrev_b64_e32 v[0:1], 3, v[0:1]
	v_mul_lo_u32 v60, s68, v58
	s_lshl_b64 s[82:83], s[58:59], 3
	s_lshl_b64 s[88:89], s[70:71], 3
	s_lshl_b32 s79, s68, 6
	s_mul_i32 s72, s66, 3
	s_lshl_b64 s[74:75], s[66:67], 3
	s_mul_i32 s81, s68, s69
	s_lshl_b64 s[68:69], s[66:67], 4
	s_add_nc_u64 s[70:71], s[82:83], s[88:89]
	s_ashr_i32 s73, s72, 31
	s_add_nc_u64 s[84:85], s[68:69], s[82:83]
	s_add_nc_u64 s[86:87], s[74:75], s[82:83]
	v_add_nc_u64_e32 v[74:75], s[70:71], v[4:5]
	s_lshl_b64 s[70:71], s[54:55], 3
	v_mad_nc_i64_i32 v[100:101], s54, 24, v[0:1]
	v_add_nc_u64_e32 v[70:71], s[86:87], v[4:5]
	s_lshl_b64 s[72:73], s[72:73], 3
	s_add_nc_u64 s[92:93], s[84:85], s[70:71]
	s_add_nc_u64 s[86:87], s[86:87], s[70:71]
	;; [unrolled: 1-line block ×3, first 2 shown]
	v_add_nc_u64_e32 v[80:81], s[86:87], v[4:5]
	v_add_nc_u64_e32 v[82:83], s[70:71], v[4:5]
	s_add_nc_u64 s[86:87], s[70:71], s[88:89]
	s_add_nc_u64 s[70:71], s[70:71], s[72:73]
	v_dual_ashrrev_i32 v61, 31, v60 :: v_dual_mov_b32 v57, v65
	v_add_nc_u64_e32 v[86:87], s[70:71], v[4:5]
	s_lshl_b64 s[70:71], s[54:55], 4
	v_add_nc_u64_e32 v[68:69], s[84:85], v[4:5]
	s_add_nc_u64 s[90:91], s[82:83], s[72:73]
	v_add_nc_u64_e32 v[84:85], s[86:87], v[4:5]
	s_add_nc_u64 s[84:85], s[84:85], s[70:71]
	s_add_nc_u64 s[70:71], s[70:71], s[82:83]
	s_mul_u64 s[86:87], s[54:55], 24
	v_mul_u32_u24_e32 v9, 0x108, v9
	v_mul_u32_u24_e32 v12, 33, v56
	v_add_nc_u32_e32 v194, 0x2380, v8
	v_or_b32_e32 v8, 0x78, v189
	v_add_nc_u64_e32 v[72:73], s[82:83], v[4:5]
	v_add_nc_u64_e32 v[76:77], s[90:91], v[4:5]
	;; [unrolled: 1-line block ×3, first 2 shown]
	s_add_nc_u64 s[82:83], s[70:71], s[74:75]
	s_add_nc_u64 s[84:85], s[70:71], s[88:89]
	;; [unrolled: 1-line block ×4, first 2 shown]
	v_add_nc_u64_e32 v[78:79], s[92:93], v[4:5]
	v_add_nc_u64_e32 v[90:91], s[82:83], v[4:5]
	;; [unrolled: 1-line block ×6, first 2 shown]
	v_sub_nc_u64_e32 v[102:103], 0, v[56:57]
	v_add_nc_u64_e32 v[104:105], s[74:75], v[100:101]
	v_add_nc_u64_e32 v[106:107], s[88:89], v[100:101]
	;; [unrolled: 1-line block ×3, first 2 shown]
	v_mov_b64_e32 v[110:111], 0
	v_cmp_gt_i32_e64 s1, s44, v56
	v_cmp_gt_u32_e64 s8, v11, v56
	v_lshl_add_u32 v195, v12, 3, v13
	v_mad_u32_u24 v202, 0x218, v6, v8
	v_add_nc_u32_e32 v205, 0x2380, v13
	v_dual_add_nc_u32 v206, v200, v7 :: v_dual_add_nc_u32 v207, v190, v10
	v_dual_add_nc_u32 v208, v190, v9 :: v_dual_bitop2_b32 v211, 1, v196 bitop3:0x54
	v_add_nc_u32_e32 v209, 0x2380, v189
	v_add_nc_u32_e32 v210, 0x2180, v189
	v_dual_add_nc_u32 v214, 16, v196 :: v_dual_bitop2_b32 v212, 2, v196 bitop3:0x54
	v_dual_add_nc_u32 v215, 17, v196 :: v_dual_bitop2_b32 v213, 3, v196 bitop3:0x54
	v_dual_add_nc_u32 v216, 18, v196 :: v_dual_add_nc_u32 v217, 19, v196
	v_dual_add_nc_u32 v218, 32, v196 :: v_dual_add_nc_u32 v219, 33, v196
	;; [unrolled: 1-line block ×5, first 2 shown]
	v_add_nc_u32_e32 v225, 64, v58
	s_sub_nc_u64 s[60:61], 0, s[60:61]
	s_add_co_i32 s43, s40, -2
	s_and_b32 s80, s0, s62
	s_sub_nc_u64 s[62:63], 0, s[44:45]
	s_lshl_b64 s[64:65], s[66:67], 6
	s_lshl_b32 s81, s81, 6
	s_lshl_b64 s[66:67], s[54:55], 5
	s_mov_b64 s[68:69], 0xffffffffffffff00
	s_mov_b64 s[70:71], 0xfffffffffffffef8
	s_lshl_b64 s[30:31], s[30:31], 3
	s_lshl_b64 s[26:27], s[26:27], 3
	;; [unrolled: 1-line block ×3, first 2 shown]
	s_branch .LBB181_4
.LBB181_2:                              ;   in Loop: Header=BB181_4 Depth=1
	s_wait_xcnt 0x0
	s_or_b32 exec_lo, exec_lo, s74
.LBB181_3:                              ;   in Loop: Header=BB181_4 Depth=1
	s_add_co_i32 s34, s34, 0x10000
	s_delay_alu instid0(SALU_CYCLE_1)
	s_cmp_lt_u32 s34, s33
	s_cbranch_scc0 .LBB181_132
.LBB181_4:                              ; =>This Loop Header: Depth=1
                                        ;     Child Loop BB181_69 Depth 2
	s_mul_u64 s[18:19], s[22:23], s[34:35]
	s_delay_alu instid0(SALU_CYCLE_1) | instskip(NEXT) | instid1(SALU_CYCLE_1)
	s_lshl_b64 s[18:19], s[18:19], 3
	s_add_nc_u64 s[18:19], s[20:21], s[18:19]
	global_load_b64 v[0:1], v65, s[18:19]
	s_wait_xcnt 0x0
	s_mov_b32 s18, -1
	s_wait_loadcnt 0x0
	v_or_b32_e32 v0, v0, v1
	s_delay_alu instid0(VALU_DEP_1) | instskip(NEXT) | instid1(VALU_DEP_1)
	v_and_b32_e32 v0, 0x7fffffff, v0
	v_cmp_ne_u32_e32 vcc_lo, 0, v0
	s_cbranch_vccz .LBB181_6
; %bb.5:                                ;   in Loop: Header=BB181_4 Depth=1
	s_and_not1_b32 vcc_lo, exec_lo, s18
	s_cbranch_vccnz .LBB181_3
	s_branch .LBB181_7
.LBB181_6:                              ;   in Loop: Header=BB181_4 Depth=1
	s_mul_u64 s[18:19], s[38:39], s[34:35]
	s_delay_alu instid0(SALU_CYCLE_1) | instskip(NEXT) | instid1(SALU_CYCLE_1)
	s_lshl_b64 s[18:19], s[18:19], 3
	s_add_nc_u64 s[18:19], s[36:37], s[18:19]
	global_load_b64 v[0:1], v65, s[18:19]
	s_wait_loadcnt 0x0
	v_cmp_eq_f32_e32 vcc_lo, 1.0, v0
	s_wait_xcnt 0x0
	v_cmp_eq_f32_e64 s18, 0, v1
	s_and_b32 s18, vcc_lo, s18
	s_delay_alu instid0(SALU_CYCLE_1)
	s_and_not1_b32 vcc_lo, exec_lo, s18
	s_cbranch_execnz .LBB181_3
.LBB181_7:                              ;   in Loop: Header=BB181_4 Depth=1
	s_lshl_b64 s[18:19], s[34:35], 3
	s_delay_alu instid0(SALU_CYCLE_1)
	s_add_nc_u64 s[74:75], s[28:29], s[18:19]
	s_add_nc_u64 s[18:19], s[24:25], s[18:19]
	s_clause 0x1
	global_load_b64 v[2:3], v65, s[74:75]
	global_load_b64 v[0:1], v65, s[18:19]
	s_wait_loadcnt 0x1
	v_add_nc_u64_e32 v[2:3], s[30:31], v[2:3]
	s_delay_alu instid0(VALU_DEP_1)
	v_lshl_add_u64 v[12:13], v[60:61], 3, v[2:3]
	s_wait_xcnt 0x0
	s_and_saveexec_b32 s18, s0
	s_cbranch_execz .LBB181_12
; %bb.8:                                ;   in Loop: Header=BB181_4 Depth=1
	s_and_saveexec_b32 s19, s78
	s_delay_alu instid0(SALU_CYCLE_1)
	s_xor_b32 s19, exec_lo, s19
; %bb.9:                                ;   in Loop: Header=BB181_4 Depth=1
	ds_store_b64 v209, v[110:111]
; %bb.10:                               ;   in Loop: Header=BB181_4 Depth=1
	s_and_not1_saveexec_b32 s19, s19
	s_cbranch_execz .LBB181_12
; %bb.11:                               ;   in Loop: Header=BB181_4 Depth=1
	flat_load_b64 v[2:3], v[12:13]
	s_wait_loadcnt_dscnt 0x0
	ds_store_b64 v209, v[2:3]
.LBB181_12:                             ;   in Loop: Header=BB181_4 Depth=1
	s_wait_xcnt 0x0
	s_or_b32 exec_lo, exec_lo, s18
	s_wait_loadcnt 0x0
	v_add_nc_u64_e32 v[0:1], s[26:27], v[0:1]
	s_and_b32 vcc_lo, exec_lo, s77
	s_mov_b32 s18, -1
	s_delay_alu instid0(VALU_DEP_1) | instskip(NEXT) | instid1(VALU_DEP_1)
	v_add_nc_u64_e32 v[0:1], s[72:73], v[0:1]
	v_lshl_add_u64 v[0:1], v[62:63], 3, v[0:1]
	s_delay_alu instid0(VALU_DEP_1)
	v_lshl_add_u64 v[2:3], s[50:51], 3, v[0:1]
                                        ; implicit-def: $vgpr0_vgpr1
	s_cbranch_vccz .LBB181_22
; %bb.13:                               ;   in Loop: Header=BB181_4 Depth=1
	s_delay_alu instid0(VALU_DEP_1) | instskip(SKIP_2) | instid1(VALU_DEP_3)
	v_lshl_add_u64 v[0:1], v[102:103], 3, v[2:3]
	v_dual_mov_b32 v6, 0 :: v_dual_mov_b32 v4, 0
	v_mov_b32_e32 v5, 0
	v_lshl_add_u64 v[0:1], s[44:45], 3, v[0:1]
	s_delay_alu instid0(VALU_DEP_1) | instskip(NEXT) | instid1(VALU_DEP_1)
	v_add_nc_u64_e32 v[0:1], -8, v[0:1]
	v_dual_cndmask_b32 v1, v1, v3, s1 :: v_dual_cndmask_b32 v0, v0, v2, s1
	s_and_saveexec_b32 s18, s2
	s_cbranch_execz .LBB181_15
; %bb.14:                               ;   in Loop: Header=BB181_4 Depth=1
	flat_load_b64 v[4:5], v[0:1]
.LBB181_15:                             ;   in Loop: Header=BB181_4 Depth=1
	s_wait_xcnt 0x0
	s_or_b32 exec_lo, exec_lo, s18
	v_dual_mov_b32 v7, 0 :: v_dual_add_nc_u32 v10, v190, v191
	s_wait_loadcnt_dscnt 0x0
	ds_store_b64 v10, v[4:5]
	s_and_saveexec_b32 s18, s3
	s_cbranch_execz .LBB181_17
; %bb.16:                               ;   in Loop: Header=BB181_4 Depth=1
	v_lshl_add_u64 v[4:5], s[52:53], 3, v[0:1]
	flat_load_b64 v[6:7], v[4:5]
.LBB181_17:                             ;   in Loop: Header=BB181_4 Depth=1
	s_wait_xcnt 0x0
	s_or_b32 exec_lo, exec_lo, s18
	v_dual_mov_b32 v4, 0 :: v_dual_mov_b32 v8, 0
	v_mov_b32_e32 v9, 0
	s_wait_loadcnt_dscnt 0x0
	ds_store_b64 v10, v[6:7] offset:2112
	s_and_saveexec_b32 s18, s4
	s_cbranch_execz .LBB181_19
; %bb.18:                               ;   in Loop: Header=BB181_4 Depth=1
	v_lshl_add_u64 v[6:7], s[54:55], 3, v[0:1]
	flat_load_b64 v[8:9], v[6:7]
.LBB181_19:                             ;   in Loop: Header=BB181_4 Depth=1
	s_wait_xcnt 0x0
	s_or_b32 exec_lo, exec_lo, s18
	v_mov_b32_e32 v5, 0
	s_wait_loadcnt_dscnt 0x0
	ds_store_b64 v10, v[8:9] offset:4224
	s_and_saveexec_b32 s18, s5
	s_cbranch_execz .LBB181_21
; %bb.20:                               ;   in Loop: Header=BB181_4 Depth=1
	v_lshl_add_u64 v[4:5], s[56:57], 3, v[0:1]
	flat_load_b64 v[4:5], v[4:5]
.LBB181_21:                             ;   in Loop: Header=BB181_4 Depth=1
	s_wait_xcnt 0x0
	s_or_b32 exec_lo, exec_lo, s18
	v_lshlrev_b32_e32 v64, 3, v56
	s_mov_b32 s18, 0
	s_wait_loadcnt_dscnt 0x0
	ds_store_b64 v10, v[4:5] offset:6336
	v_add_nc_u64_e32 v[0:1], v[0:1], v[64:65]
	s_delay_alu instid0(VALU_DEP_1) | instskip(NEXT) | instid1(VALU_DEP_1)
	v_lshl_add_u64 v[0:1], s[62:63], 3, v[0:1]
	v_add_nc_u64_e32 v[0:1], 8, v[0:1]
	s_delay_alu instid0(VALU_DEP_1)
	v_dual_cndmask_b32 v1, v1, v3, s1 :: v_dual_cndmask_b32 v0, v0, v2, s1
.LBB181_22:                             ;   in Loop: Header=BB181_4 Depth=1
	v_add_nc_u32_e32 v16, v190, v191
	s_and_b32 vcc_lo, exec_lo, s18
	s_cbranch_vccz .LBB181_24
; %bb.23:                               ;   in Loop: Header=BB181_4 Depth=1
	v_lshl_add_u64 v[0:1], s[52:53], 3, v[2:3]
	s_delay_alu instid0(VALU_DEP_1) | instskip(NEXT) | instid1(VALU_DEP_1)
	v_add_nc_u64_e32 v[4:5], s[64:65], v[0:1]
	v_add_nc_u64_e32 v[6:7], s[64:65], v[4:5]
	s_clause 0x3
	flat_load_b64 v[8:9], v[2:3]
	flat_load_b64 v[10:11], v[0:1]
	;; [unrolled: 1-line block ×4, first 2 shown]
	s_wait_xcnt 0x2
	v_mov_b64_e32 v[0:1], v[2:3]
	s_wait_loadcnt_dscnt 0x303
	ds_store_b64 v16, v[8:9]
	s_wait_loadcnt_dscnt 0x203
	ds_store_b64 v16, v[10:11] offset:2112
	s_wait_loadcnt_dscnt 0x103
	ds_store_b64 v16, v[4:5] offset:4224
	;; [unrolled: 2-line block ×3, first 2 shown]
.LBB181_24:                             ;   in Loop: Header=BB181_4 Depth=1
	s_wait_dscnt 0x0
	s_barrier_signal -1
	s_barrier_wait -1
	s_wait_xcnt 0x0
	s_and_saveexec_b32 s18, s6
	s_cbranch_execnz .LBB181_126
; %bb.25:                               ;   in Loop: Header=BB181_4 Depth=1
	s_or_b32 exec_lo, exec_lo, s18
	s_and_saveexec_b32 s18, s7
	s_cbranch_execnz .LBB181_127
.LBB181_26:                             ;   in Loop: Header=BB181_4 Depth=1
	s_or_b32 exec_lo, exec_lo, s18
	s_and_saveexec_b32 s18, s8
	s_cbranch_execnz .LBB181_128
.LBB181_27:                             ;   in Loop: Header=BB181_4 Depth=1
	s_or_b32 exec_lo, exec_lo, s18
	s_and_saveexec_b32 s18, s9
	s_cbranch_execz .LBB181_29
.LBB181_28:                             ;   in Loop: Header=BB181_4 Depth=1
	ds_load_b64 v[2:3], v208 offset:528
	s_wait_dscnt 0x0
	ds_store_b64 v193, v[2:3] offset:24
.LBB181_29:                             ;   in Loop: Header=BB181_4 Depth=1
	s_or_b32 exec_lo, exec_lo, s18
	s_wait_dscnt 0x0
	s_barrier_signal -1
	s_barrier_wait -1
	ds_load_b64 v[10:11], v207
	ds_load_b128 v[2:5], v194
	ds_load_2addr_b64 v[6:9], v208 offset1:33
	ds_load_b128 v[18:21], v194 offset:16
	ds_load_b64 v[14:15], v208 offset:528
	v_mov_b64_e32 v[112:113], 0
	s_wait_dscnt 0x0
	s_barrier_signal -1
	s_barrier_wait -1
	v_pk_mul_f32 v[22:23], v[2:3], v[10:11] op_sel:[1,1] op_sel_hi:[0,1]
	v_dual_mov_b32 v24, v5 :: v_dual_mov_b32 v25, v4
	v_pk_mul_f32 v[26:27], v[18:19], v[8:9] op_sel:[1,1] op_sel_hi:[0,1]
	v_dual_mov_b32 v30, v21 :: v_dual_mov_b32 v31, v20
	s_delay_alu instid0(VALU_DEP_4) | instskip(NEXT) | instid1(VALU_DEP_4)
	v_pk_fma_f32 v[28:29], v[2:3], v[10:11], v[22:23] op_sel_hi:[1,0,1]
	v_pk_mul_f32 v[24:25], v[24:25], v[6:7] op_sel:[0,1]
	v_pk_fma_f32 v[2:3], v[2:3], v[10:11], v[22:23] neg_lo:[0,0,1] neg_hi:[0,0,1]
	v_pk_fma_f32 v[22:23], v[18:19], v[8:9], v[26:27] op_sel_hi:[1,0,1]
	s_delay_alu instid0(VALU_DEP_3)
	v_pk_fma_f32 v[10:11], v[4:5], v[6:7], v[24:25] op_sel_hi:[1,0,1]
	v_mov_b32_e32 v3, v29
	v_pk_fma_f32 v[4:5], v[4:5], v[6:7], v[24:25] neg_lo:[0,0,1] neg_hi:[0,0,1]
	v_pk_mul_f32 v[28:29], v[30:31], v[14:15] op_sel:[0,1]
	v_pk_fma_f32 v[6:7], v[18:19], v[8:9], v[26:27] neg_lo:[0,0,1] neg_hi:[0,0,1]
	v_mov_b32_e32 v5, v11
	v_pk_add_f32 v[2:3], v[2:3], 0 op_sel_hi:[1,0]
	s_delay_alu instid0(VALU_DEP_4) | instskip(SKIP_1) | instid1(VALU_DEP_3)
	v_pk_fma_f32 v[8:9], v[20:21], v[14:15], v[28:29] op_sel_hi:[1,0,1]
	v_mov_b32_e32 v7, v23
	v_pk_add_f32 v[2:3], v[2:3], v[4:5]
	v_pk_fma_f32 v[4:5], v[20:21], v[14:15], v[28:29] neg_lo:[0,0,1] neg_hi:[0,0,1]
	s_delay_alu instid0(VALU_DEP_4) | instskip(NEXT) | instid1(VALU_DEP_3)
	v_mov_b32_e32 v5, v9
	v_pk_add_f32 v[2:3], v[2:3], v[6:7]
	s_delay_alu instid0(VALU_DEP_1)
	v_pk_add_f32 v[2:3], v[2:3], v[4:5]
	ds_store_b64 v195, v[2:3]
	s_wait_dscnt 0x0
	s_barrier_signal -1
	s_barrier_wait -1
	s_and_saveexec_b32 s18, s10
	s_cbranch_execz .LBB181_31
; %bb.30:                               ;   in Loop: Header=BB181_4 Depth=1
	ds_load_2addr_b64 v[2:5], v192 offset1:7
	ds_load_2addr_b64 v[6:9], v192 offset0:1 offset1:2
	ds_load_2addr_b64 v[18:21], v192 offset0:3 offset1:4
	;; [unrolled: 1-line block ×3, first 2 shown]
	s_wait_dscnt 0x2
	v_dual_add_f32 v2, v6, v2 :: v_dual_add_f32 v3, v7, v3
	s_delay_alu instid0(VALU_DEP_1) | instskip(SKIP_1) | instid1(VALU_DEP_1)
	v_dual_add_f32 v2, v8, v2 :: v_dual_add_f32 v3, v9, v3
	s_wait_dscnt 0x1
	v_dual_add_f32 v2, v2, v18 :: v_dual_add_f32 v3, v3, v19
	s_delay_alu instid0(VALU_DEP_1) | instskip(SKIP_1) | instid1(VALU_DEP_1)
	v_dual_add_f32 v2, v2, v20 :: v_dual_add_f32 v3, v3, v21
	s_wait_dscnt 0x0
	v_dual_add_f32 v2, v2, v22 :: v_dual_add_f32 v3, v3, v23
	s_delay_alu instid0(VALU_DEP_1) | instskip(NEXT) | instid1(VALU_DEP_1)
	v_dual_add_f32 v2, v2, v24 :: v_dual_add_f32 v3, v3, v25
	v_pk_add_f32 v[112:113], v[2:3], v[4:5]
.LBB181_31:                             ;   in Loop: Header=BB181_4 Depth=1
	s_or_b32 exec_lo, exec_lo, s18
	v_lshl_add_u64 v[4:5], s[58:59], 3, v[0:1]
	s_and_b32 vcc_lo, exec_lo, s77
	s_mov_b32 s18, -1
	s_barrier_signal -1
	s_delay_alu instid0(VALU_DEP_1)
	v_add_nc_u64_e32 v[2:3], 0x100, v[4:5]
	s_barrier_wait -1
                                        ; implicit-def: $vgpr0_vgpr1
	s_cbranch_vccz .LBB181_41
; %bb.32:                               ;   in Loop: Header=BB181_4 Depth=1
	v_lshl_add_u64 v[0:1], v[102:103], 3, v[4:5]
	v_dual_mov_b32 v8, 0 :: v_dual_mov_b32 v6, 0
	v_mov_b32_e32 v7, 0
	s_delay_alu instid0(VALU_DEP_3) | instskip(NEXT) | instid1(VALU_DEP_1)
	v_lshl_add_u64 v[0:1], s[44:45], 3, v[0:1]
	v_add_nc_u64_e32 v[0:1], -8, v[0:1]
	s_delay_alu instid0(VALU_DEP_1)
	v_dual_cndmask_b32 v1, v1, v3, s11 :: v_dual_cndmask_b32 v0, v0, v2, s11
	s_and_saveexec_b32 s18, s12
	s_cbranch_execz .LBB181_34
; %bb.33:                               ;   in Loop: Header=BB181_4 Depth=1
	flat_load_b64 v[6:7], v[0:1]
.LBB181_34:                             ;   in Loop: Header=BB181_4 Depth=1
	s_wait_xcnt 0x0
	s_or_b32 exec_lo, exec_lo, s18
	v_mov_b32_e32 v9, 0
	s_wait_loadcnt_dscnt 0x0
	ds_store_b64 v16, v[6:7]
	s_and_saveexec_b32 s18, s13
	s_cbranch_execz .LBB181_36
; %bb.35:                               ;   in Loop: Header=BB181_4 Depth=1
	v_lshl_add_u64 v[6:7], s[52:53], 3, v[0:1]
	flat_load_b64 v[8:9], v[6:7]
.LBB181_36:                             ;   in Loop: Header=BB181_4 Depth=1
	s_wait_xcnt 0x0
	s_or_b32 exec_lo, exec_lo, s18
	v_dual_mov_b32 v6, 0 :: v_dual_mov_b32 v10, 0
	v_mov_b32_e32 v11, 0
	s_wait_loadcnt_dscnt 0x0
	ds_store_b64 v16, v[8:9] offset:2112
	s_and_saveexec_b32 s18, s14
	s_cbranch_execz .LBB181_38
; %bb.37:                               ;   in Loop: Header=BB181_4 Depth=1
	v_lshl_add_u64 v[8:9], s[54:55], 3, v[0:1]
	flat_load_b64 v[10:11], v[8:9]
.LBB181_38:                             ;   in Loop: Header=BB181_4 Depth=1
	s_wait_xcnt 0x0
	s_or_b32 exec_lo, exec_lo, s18
	v_mov_b32_e32 v7, 0
	s_wait_loadcnt_dscnt 0x0
	ds_store_b64 v16, v[10:11] offset:4224
	s_and_saveexec_b32 s18, s15
	s_cbranch_execz .LBB181_40
; %bb.39:                               ;   in Loop: Header=BB181_4 Depth=1
	v_lshl_add_u64 v[6:7], s[56:57], 3, v[0:1]
	flat_load_b64 v[6:7], v[6:7]
.LBB181_40:                             ;   in Loop: Header=BB181_4 Depth=1
	s_wait_xcnt 0x0
	s_or_b32 exec_lo, exec_lo, s18
	v_lshlrev_b32_e32 v64, 3, v56
	s_mov_b32 s18, 0
	s_wait_loadcnt_dscnt 0x0
	ds_store_b64 v16, v[6:7] offset:6336
	v_add_nc_u64_e32 v[0:1], v[0:1], v[64:65]
	s_delay_alu instid0(VALU_DEP_1) | instskip(NEXT) | instid1(VALU_DEP_1)
	v_lshl_add_u64 v[0:1], s[62:63], 3, v[0:1]
	v_add_nc_u64_e32 v[0:1], 0x108, v[0:1]
	s_delay_alu instid0(VALU_DEP_1)
	v_dual_cndmask_b32 v1, v1, v3, s11 :: v_dual_cndmask_b32 v0, v0, v2, s11
.LBB181_41:                             ;   in Loop: Header=BB181_4 Depth=1
	s_and_b32 vcc_lo, exec_lo, s18
	s_cbranch_vccz .LBB181_43
; %bb.42:                               ;   in Loop: Header=BB181_4 Depth=1
	v_lshl_add_u64 v[0:1], s[52:53], 3, v[4:5]
	s_delay_alu instid0(VALU_DEP_1) | instskip(NEXT) | instid1(VALU_DEP_1)
	v_add_nc_u64_e32 v[6:7], s[64:65], v[0:1]
	v_add_nc_u64_e32 v[8:9], s[64:65], v[6:7]
	s_clause 0x3
	flat_load_b64 v[4:5], v[4:5] offset:256
	flat_load_b64 v[10:11], v[0:1] offset:256
	;; [unrolled: 1-line block ×4, first 2 shown]
	s_wait_xcnt 0x2
	v_mov_b64_e32 v[0:1], v[2:3]
	s_wait_loadcnt_dscnt 0x303
	ds_store_b64 v16, v[4:5]
	s_wait_loadcnt_dscnt 0x203
	ds_store_b64 v16, v[10:11] offset:2112
	s_wait_loadcnt_dscnt 0x103
	ds_store_b64 v16, v[6:7] offset:4224
	s_wait_loadcnt_dscnt 0x3
	ds_store_b64 v16, v[8:9] offset:6336
.LBB181_43:                             ;   in Loop: Header=BB181_4 Depth=1
	s_wait_dscnt 0x0
	s_barrier_signal -1
	s_barrier_wait -1
	s_wait_xcnt 0x0
	s_and_saveexec_b32 s18, s6
	s_cbranch_execnz .LBB181_129
; %bb.44:                               ;   in Loop: Header=BB181_4 Depth=1
	s_or_b32 exec_lo, exec_lo, s18
	s_and_saveexec_b32 s18, s7
	s_cbranch_execnz .LBB181_130
.LBB181_45:                             ;   in Loop: Header=BB181_4 Depth=1
	s_or_b32 exec_lo, exec_lo, s18
	s_and_saveexec_b32 s18, s8
	s_cbranch_execnz .LBB181_131
.LBB181_46:                             ;   in Loop: Header=BB181_4 Depth=1
	s_or_b32 exec_lo, exec_lo, s18
	s_and_saveexec_b32 s18, s9
	s_cbranch_execz .LBB181_48
.LBB181_47:                             ;   in Loop: Header=BB181_4 Depth=1
	ds_load_b64 v[2:3], v208 offset:528
	s_wait_dscnt 0x0
	ds_store_b64 v193, v[2:3] offset:24
.LBB181_48:                             ;   in Loop: Header=BB181_4 Depth=1
	s_or_b32 exec_lo, exec_lo, s18
	s_wait_dscnt 0x0
	s_barrier_signal -1
	s_barrier_wait -1
	ds_load_b64 v[10:11], v207
	ds_load_b128 v[2:5], v194 offset:256
	ds_load_2addr_b64 v[6:9], v208 offset1:33
	ds_load_b128 v[18:21], v194 offset:272
	ds_load_b64 v[14:15], v208 offset:528
	s_wait_dscnt 0x0
	s_barrier_signal -1
	s_barrier_wait -1
	v_pk_mul_f32 v[22:23], v[2:3], v[10:11] op_sel:[1,1] op_sel_hi:[0,1]
	v_dual_mov_b32 v24, v5 :: v_dual_mov_b32 v25, v4
	v_pk_mul_f32 v[26:27], v[18:19], v[8:9] op_sel:[1,1] op_sel_hi:[0,1]
	v_dual_mov_b32 v30, v21 :: v_dual_mov_b32 v31, v20
	s_delay_alu instid0(VALU_DEP_4) | instskip(NEXT) | instid1(VALU_DEP_4)
	v_pk_fma_f32 v[28:29], v[2:3], v[10:11], v[22:23] op_sel_hi:[1,0,1]
	v_pk_mul_f32 v[24:25], v[24:25], v[6:7] op_sel:[0,1]
	v_pk_fma_f32 v[2:3], v[2:3], v[10:11], v[22:23] neg_lo:[0,0,1] neg_hi:[0,0,1]
	v_pk_fma_f32 v[22:23], v[18:19], v[8:9], v[26:27] op_sel_hi:[1,0,1]
	s_delay_alu instid0(VALU_DEP_3)
	v_pk_fma_f32 v[10:11], v[4:5], v[6:7], v[24:25] op_sel_hi:[1,0,1]
	v_mov_b32_e32 v3, v29
	v_pk_fma_f32 v[4:5], v[4:5], v[6:7], v[24:25] neg_lo:[0,0,1] neg_hi:[0,0,1]
	v_pk_mul_f32 v[28:29], v[30:31], v[14:15] op_sel:[0,1]
	v_pk_fma_f32 v[6:7], v[18:19], v[8:9], v[26:27] neg_lo:[0,0,1] neg_hi:[0,0,1]
	v_mov_b32_e32 v5, v11
	v_pk_add_f32 v[2:3], v[2:3], 0 op_sel_hi:[1,0]
	s_delay_alu instid0(VALU_DEP_4) | instskip(SKIP_1) | instid1(VALU_DEP_3)
	v_pk_fma_f32 v[8:9], v[20:21], v[14:15], v[28:29] op_sel_hi:[1,0,1]
	v_mov_b32_e32 v7, v23
	v_pk_add_f32 v[2:3], v[2:3], v[4:5]
	v_pk_fma_f32 v[4:5], v[20:21], v[14:15], v[28:29] neg_lo:[0,0,1] neg_hi:[0,0,1]
	s_delay_alu instid0(VALU_DEP_4) | instskip(NEXT) | instid1(VALU_DEP_3)
	v_mov_b32_e32 v5, v9
	v_pk_add_f32 v[2:3], v[2:3], v[6:7]
	s_delay_alu instid0(VALU_DEP_1)
	v_pk_add_f32 v[2:3], v[2:3], v[4:5]
	ds_store_b64 v195, v[2:3]
	s_wait_dscnt 0x0
	s_barrier_signal -1
	s_barrier_wait -1
	s_and_saveexec_b32 s18, s16
	s_cbranch_execz .LBB181_50
; %bb.49:                               ;   in Loop: Header=BB181_4 Depth=1
	ds_load_2addr_b64 v[2:5], v192 offset1:7
	ds_load_2addr_b64 v[6:9], v192 offset0:1 offset1:2
	ds_load_2addr_b64 v[18:21], v192 offset0:3 offset1:4
	;; [unrolled: 1-line block ×3, first 2 shown]
	s_wait_dscnt 0x2
	v_dual_add_f32 v2, v6, v2 :: v_dual_add_f32 v3, v7, v3
	s_delay_alu instid0(VALU_DEP_1) | instskip(SKIP_1) | instid1(VALU_DEP_1)
	v_dual_add_f32 v2, v8, v2 :: v_dual_add_f32 v3, v9, v3
	s_wait_dscnt 0x1
	v_dual_add_f32 v2, v2, v18 :: v_dual_add_f32 v3, v3, v19
	s_delay_alu instid0(VALU_DEP_1) | instskip(SKIP_1) | instid1(VALU_DEP_1)
	v_dual_add_f32 v2, v2, v20 :: v_dual_add_f32 v3, v3, v21
	s_wait_dscnt 0x0
	v_dual_add_f32 v2, v2, v22 :: v_dual_add_f32 v3, v3, v23
	s_delay_alu instid0(VALU_DEP_1) | instskip(NEXT) | instid1(VALU_DEP_1)
	v_pk_add_f32 v[2:3], v[2:3], v[24:25]
	v_pk_add_f32 v[112:113], v[2:3], v[4:5]
.LBB181_50:                             ;   in Loop: Header=BB181_4 Depth=1
	s_or_b32 exec_lo, exec_lo, s18
	v_add_nc_u64_e32 v[2:3], s[68:69], v[0:1]
	s_and_b32 vcc_lo, exec_lo, s77
	s_mov_b32 s18, -1
	s_barrier_signal -1
	s_barrier_wait -1
                                        ; implicit-def: $vgpr14_vgpr15
	s_cbranch_vccz .LBB181_60
; %bb.51:                               ;   in Loop: Header=BB181_4 Depth=1
	v_lshl_add_u64 v[4:5], v[102:103], 3, v[0:1]
	v_dual_mov_b32 v8, 0 :: v_dual_mov_b32 v6, 0
	v_mov_b32_e32 v7, 0
	s_delay_alu instid0(VALU_DEP_3) | instskip(NEXT) | instid1(VALU_DEP_1)
	v_lshl_add_u64 v[4:5], s[44:45], 3, v[4:5]
	v_add_nc_u64_e32 v[4:5], s[70:71], v[4:5]
	s_delay_alu instid0(VALU_DEP_1)
	v_dual_cndmask_b32 v5, v5, v3, s1 :: v_dual_cndmask_b32 v4, v4, v2, s1
	s_and_saveexec_b32 s18, s12
	s_cbranch_execz .LBB181_53
; %bb.52:                               ;   in Loop: Header=BB181_4 Depth=1
	flat_load_b64 v[6:7], v[4:5]
.LBB181_53:                             ;   in Loop: Header=BB181_4 Depth=1
	s_wait_xcnt 0x0
	s_or_b32 exec_lo, exec_lo, s18
	v_mov_b32_e32 v9, 0
	s_wait_loadcnt_dscnt 0x0
	ds_store_b64 v16, v[6:7]
	s_and_saveexec_b32 s18, s13
	s_cbranch_execz .LBB181_55
; %bb.54:                               ;   in Loop: Header=BB181_4 Depth=1
	v_lshl_add_u64 v[6:7], s[52:53], 3, v[4:5]
	flat_load_b64 v[8:9], v[6:7]
.LBB181_55:                             ;   in Loop: Header=BB181_4 Depth=1
	s_wait_xcnt 0x0
	s_or_b32 exec_lo, exec_lo, s18
	v_dual_mov_b32 v6, 0 :: v_dual_mov_b32 v10, 0
	v_mov_b32_e32 v11, 0
	s_wait_loadcnt_dscnt 0x0
	ds_store_b64 v16, v[8:9] offset:2112
	s_and_saveexec_b32 s18, s14
	s_cbranch_execz .LBB181_57
; %bb.56:                               ;   in Loop: Header=BB181_4 Depth=1
	v_lshl_add_u64 v[8:9], s[54:55], 3, v[4:5]
	flat_load_b64 v[10:11], v[8:9]
.LBB181_57:                             ;   in Loop: Header=BB181_4 Depth=1
	s_wait_xcnt 0x0
	s_or_b32 exec_lo, exec_lo, s18
	v_mov_b32_e32 v7, 0
	s_wait_loadcnt_dscnt 0x0
	ds_store_b64 v16, v[10:11] offset:4224
	s_and_saveexec_b32 s18, s15
	s_cbranch_execz .LBB181_59
; %bb.58:                               ;   in Loop: Header=BB181_4 Depth=1
	v_lshl_add_u64 v[6:7], s[56:57], 3, v[4:5]
	flat_load_b64 v[6:7], v[6:7]
.LBB181_59:                             ;   in Loop: Header=BB181_4 Depth=1
	s_wait_xcnt 0x0
	s_or_b32 exec_lo, exec_lo, s18
	v_lshlrev_b32_e32 v64, 3, v56
	s_mov_b32 s18, 0
	s_wait_loadcnt_dscnt 0x0
	ds_store_b64 v16, v[6:7] offset:6336
	v_add_nc_u64_e32 v[4:5], v[4:5], v[64:65]
	s_delay_alu instid0(VALU_DEP_1) | instskip(NEXT) | instid1(VALU_DEP_1)
	v_lshl_add_u64 v[4:5], s[62:63], 3, v[4:5]
	v_add_nc_u64_e32 v[4:5], 8, v[4:5]
	s_delay_alu instid0(VALU_DEP_1)
	v_dual_cndmask_b32 v15, v5, v3, s1 :: v_dual_cndmask_b32 v14, v4, v2, s1
.LBB181_60:                             ;   in Loop: Header=BB181_4 Depth=1
	s_and_b32 vcc_lo, exec_lo, s18
	s_cbranch_vccz .LBB181_62
; %bb.61:                               ;   in Loop: Header=BB181_4 Depth=1
	v_lshl_add_u64 v[4:5], s[52:53], 3, v[0:1]
	v_mov_b64_e32 v[14:15], v[2:3]
	s_delay_alu instid0(VALU_DEP_2) | instskip(NEXT) | instid1(VALU_DEP_1)
	v_add_nc_u64_e32 v[6:7], s[64:65], v[4:5]
	v_add_nc_u64_e32 v[8:9], s[64:65], v[6:7]
	s_clause 0x3
	flat_load_b64 v[0:1], v[0:1] offset:-256
	flat_load_b64 v[4:5], v[4:5] offset:-256
	;; [unrolled: 1-line block ×4, first 2 shown]
	s_wait_loadcnt_dscnt 0x303
	ds_store_b64 v16, v[0:1]
	s_wait_loadcnt_dscnt 0x203
	ds_store_b64 v16, v[4:5] offset:2112
	s_wait_loadcnt_dscnt 0x103
	ds_store_b64 v16, v[6:7] offset:4224
	;; [unrolled: 2-line block ×3, first 2 shown]
.LBB181_62:                             ;   in Loop: Header=BB181_4 Depth=1
	s_wait_xcnt 0x3
	v_dual_add_nc_u32 v0, v193, v197 :: v_dual_add_nc_u32 v1, v194, v197
	s_wait_dscnt 0x0
	s_barrier_signal -1
	s_barrier_wait -1
	s_wait_xcnt 0x2
	ds_load_b64 v[4:5], v0
	s_wait_xcnt 0x1
	ds_load_b64 v[6:7], v1
	ds_load_2addr_b64 v[20:23], v204 offset0:8 offset1:16
	ds_load_2addr_b64 v[24:27], v205 offset0:8 offset1:16
	ds_load_b64 v[28:29], v204 offset:192
	ds_load_b64 v[30:31], v205 offset:192
	ds_load_2addr_b64 v[0:3], v208 offset1:33
	ds_load_b64 v[18:19], v207
	ds_load_b64 v[16:17], v208 offset:528
	s_wait_dscnt 0x7
	s_wait_xcnt 0x0
	v_pk_mul_f32 v[8:9], v[6:7], v[4:5] op_sel:[1,1] op_sel_hi:[0,1]
	s_wait_dscnt 0x5
	v_pk_mul_f32 v[10:11], v[24:25], v[20:21] op_sel:[1,1] op_sel_hi:[0,1]
	v_pk_mul_f32 v[34:35], v[26:27], v[22:23] op_sel:[1,1] op_sel_hi:[0,1]
	s_delay_alu instid0(VALU_DEP_3) | instskip(SKIP_1) | instid1(VALU_DEP_4)
	v_pk_fma_f32 v[32:33], v[6:7], v[4:5], v[8:9] op_sel_hi:[1,0,1]
	v_pk_fma_f32 v[4:5], v[6:7], v[4:5], v[8:9] neg_lo:[0,0,1] neg_hi:[0,0,1]
	v_pk_fma_f32 v[36:37], v[24:25], v[20:21], v[10:11] op_sel_hi:[1,0,1]
	v_pk_fma_f32 v[20:21], v[24:25], v[20:21], v[10:11] neg_lo:[0,0,1] neg_hi:[0,0,1]
	v_pk_fma_f32 v[24:25], v[26:27], v[22:23], v[34:35] op_sel_hi:[1,0,1]
	v_mov_b32_e32 v5, v33
	s_wait_dscnt 0x3
	v_pk_mul_f32 v[32:33], v[30:31], v[28:29] op_sel:[1,1] op_sel_hi:[0,1]
	v_mov_b32_e32 v21, v37
	v_pk_fma_f32 v[22:23], v[26:27], v[22:23], v[34:35] neg_lo:[0,0,1] neg_hi:[0,0,1]
	v_mov_b32_e32 v23, v25
	v_pk_add_f32 v[36:37], v[4:5], 0 op_sel_hi:[1,0]
	ds_load_b128 v[8:11], v194 offset:256
	ds_load_b128 v[4:7], v194 offset:272
	v_pk_fma_f32 v[24:25], v[30:31], v[28:29], v[32:33] op_sel_hi:[1,0,1]
	v_pk_fma_f32 v[26:27], v[30:31], v[28:29], v[32:33] neg_lo:[0,0,1] neg_hi:[0,0,1]
	s_wait_dscnt 0x0
	v_pk_add_f32 v[20:21], v[36:37], v[20:21]
	s_barrier_signal -1
	v_mov_b32_e32 v27, v25
	s_barrier_wait -1
	s_delay_alu instid0(VALU_DEP_2) | instskip(NEXT) | instid1(VALU_DEP_1)
	v_pk_add_f32 v[20:21], v[20:21], v[22:23]
	v_pk_add_f32 v[20:21], v[20:21], v[26:27]
	ds_store_b64 v195, v[20:21]
	s_wait_dscnt 0x0
	s_barrier_signal -1
	s_barrier_wait -1
	s_and_saveexec_b32 s18, s16
	s_cbranch_execz .LBB181_64
; %bb.63:                               ;   in Loop: Header=BB181_4 Depth=1
	ds_load_2addr_b64 v[20:23], v192 offset1:1
	ds_load_2addr_b64 v[24:27], v192 offset0:2 offset1:3
	ds_load_2addr_b64 v[28:31], v192 offset0:4 offset1:5
	s_wait_dscnt 0x2
	v_pk_add_f32 v[20:21], v[112:113], v[20:21]
	s_delay_alu instid0(VALU_DEP_1) | instskip(SKIP_1) | instid1(VALU_DEP_1)
	v_pk_add_f32 v[20:21], v[20:21], v[22:23]
	s_wait_dscnt 0x1
	v_pk_add_f32 v[24:25], v[20:21], v[24:25]
	ds_load_2addr_b64 v[20:23], v192 offset0:6 offset1:7
	v_pk_add_f32 v[24:25], v[24:25], v[26:27]
	s_wait_dscnt 0x1
	s_delay_alu instid0(VALU_DEP_1) | instskip(NEXT) | instid1(VALU_DEP_1)
	v_pk_add_f32 v[24:25], v[24:25], v[28:29]
	v_pk_add_f32 v[24:25], v[24:25], v[30:31]
	s_wait_dscnt 0x0
	s_delay_alu instid0(VALU_DEP_1) | instskip(NEXT) | instid1(VALU_DEP_1)
	v_pk_add_f32 v[20:21], v[24:25], v[20:21]
	v_pk_add_f32 v[112:113], v[20:21], v[22:23]
.LBB181_64:                             ;   in Loop: Header=BB181_4 Depth=1
	s_or_b32 exec_lo, exec_lo, s18
	v_pk_mul_f32 v[20:21], v[8:9], v[18:19] op_sel:[1,1] op_sel_hi:[0,1]
	v_dual_mov_b32 v22, v11 :: v_dual_mov_b32 v23, v10
	v_pk_mul_f32 v[24:25], v[4:5], v[2:3] op_sel:[1,1] op_sel_hi:[0,1]
	v_dual_mov_b32 v28, v7 :: v_dual_mov_b32 v29, v6
	s_delay_alu instid0(VALU_DEP_4) | instskip(NEXT) | instid1(VALU_DEP_4)
	v_pk_fma_f32 v[26:27], v[8:9], v[18:19], v[20:21] op_sel_hi:[1,0,1]
	v_pk_mul_f32 v[22:23], v[22:23], v[0:1] op_sel:[0,1]
	v_pk_fma_f32 v[8:9], v[8:9], v[18:19], v[20:21] neg_lo:[0,0,1] neg_hi:[0,0,1]
	v_pk_fma_f32 v[20:21], v[4:5], v[2:3], v[24:25] op_sel_hi:[1,0,1]
	v_pk_fma_f32 v[2:3], v[4:5], v[2:3], v[24:25] neg_lo:[0,0,1] neg_hi:[0,0,1]
	s_delay_alu instid0(VALU_DEP_4)
	v_pk_fma_f32 v[18:19], v[10:11], v[0:1], v[22:23] op_sel_hi:[1,0,1]
	v_mov_b32_e32 v9, v27
	v_pk_fma_f32 v[0:1], v[10:11], v[0:1], v[22:23] neg_lo:[0,0,1] neg_hi:[0,0,1]
	v_pk_mul_f32 v[26:27], v[28:29], v[16:17] op_sel:[0,1]
	s_barrier_signal -1
	v_mov_b32_e32 v1, v19
	v_pk_add_f32 v[8:9], v[8:9], 0 op_sel_hi:[1,0]
	s_barrier_wait -1
	v_pk_fma_f32 v[4:5], v[6:7], v[16:17], v[26:27] op_sel_hi:[1,0,1]
	v_mov_b32_e32 v3, v21
	v_pk_fma_f32 v[6:7], v[6:7], v[16:17], v[26:27] neg_lo:[0,0,1] neg_hi:[0,0,1]
	v_pk_add_f32 v[0:1], v[8:9], v[0:1]
	s_delay_alu instid0(VALU_DEP_4) | instskip(NEXT) | instid1(VALU_DEP_2)
	v_mov_b32_e32 v7, v5
	v_pk_add_f32 v[0:1], v[0:1], v[2:3]
	s_delay_alu instid0(VALU_DEP_1)
	v_pk_add_f32 v[0:1], v[0:1], v[6:7]
	ds_store_b64 v195, v[0:1]
	s_wait_dscnt 0x0
	s_barrier_signal -1
	s_barrier_wait -1
	s_and_saveexec_b32 s18, s10
	s_cbranch_execz .LBB181_66
; %bb.65:                               ;   in Loop: Header=BB181_4 Depth=1
	ds_load_2addr_b64 v[0:3], v192 offset1:1
	ds_load_2addr_b64 v[4:7], v192 offset0:2 offset1:3
	ds_load_2addr_b64 v[8:11], v192 offset0:4 offset1:5
	s_wait_dscnt 0x2
	v_pk_add_f32 v[0:1], v[112:113], v[0:1]
	s_delay_alu instid0(VALU_DEP_1) | instskip(SKIP_1) | instid1(VALU_DEP_1)
	v_pk_add_f32 v[0:1], v[0:1], v[2:3]
	s_wait_dscnt 0x1
	v_pk_add_f32 v[4:5], v[0:1], v[4:5]
	ds_load_2addr_b64 v[0:3], v192 offset0:6 offset1:7
	v_pk_add_f32 v[4:5], v[4:5], v[6:7]
	s_wait_dscnt 0x1
	s_delay_alu instid0(VALU_DEP_1) | instskip(NEXT) | instid1(VALU_DEP_1)
	v_pk_add_f32 v[4:5], v[4:5], v[8:9]
	v_pk_add_f32 v[4:5], v[4:5], v[10:11]
	s_wait_dscnt 0x0
	s_delay_alu instid0(VALU_DEP_1) | instskip(NEXT) | instid1(VALU_DEP_1)
	v_pk_add_f32 v[0:1], v[4:5], v[0:1]
	v_pk_add_f32 v[112:113], v[0:1], v[2:3]
.LBB181_66:                             ;   in Loop: Header=BB181_4 Depth=1
	s_or_b32 exec_lo, exec_lo, s18
	s_mul_u64 s[18:19], s[46:47], s[34:35]
	s_and_not1_b32 vcc_lo, exec_lo, s41
	s_lshl_b64 s[18:19], s[18:19], 3
	s_delay_alu instid0(SALU_CYCLE_1)
	s_add_nc_u64 s[18:19], s[48:49], s[18:19]
	s_barrier_signal -1
	s_barrier_wait -1
	s_cbranch_vccnz .LBB181_124
; %bb.67:                               ;   in Loop: Header=BB181_4 Depth=1
	v_add_nc_u64_e32 v[114:115], v[14:15], v[68:69]
	v_add_nc_u64_e32 v[116:117], v[14:15], v[70:71]
	;; [unrolled: 1-line block ×20, first 2 shown]
	v_lshl_add_u64 v[154:155], s[60:61], 3, v[12:13]
	v_mov_b32_e32 v64, v225
	s_mov_b32 s74, s81
	s_mov_b32 s82, s42
	s_branch .LBB181_69
.LBB181_68:                             ;   in Loop: Header=BB181_69 Depth=2
	s_wait_xcnt 0x0
	s_or_b32 exec_lo, exec_lo, s75
	v_dual_mul_f32 v22, v5, v159 :: v_dual_mul_f32 v5, v5, v158
	v_dual_mov_b32 v20, v177 :: v_dual_mov_b32 v21, v177
	v_mov_b32_e32 v177, v176
	s_delay_alu instid0(VALU_DEP_3) | instskip(NEXT) | instid1(VALU_DEP_4)
	v_dual_fma_f32 v22, v4, v158, -v22 :: v_dual_mul_f32 v23, v7, v157
	v_dual_fmac_f32 v5, v4, v159 :: v_dual_mul_f32 v4, v7, v156
	v_dual_mov_b32 v16, v175 :: v_dual_mov_b32 v17, v175
	s_delay_alu instid0(VALU_DEP_3) | instskip(SKIP_1) | instid1(VALU_DEP_4)
	v_dual_add_f32 v7, v112, v22 :: v_dual_fma_f32 v22, v6, v156, -v23
	v_mul_f32_e32 v23, v1, v161
	v_add_f32_e32 v5, v113, v5
	v_dual_fmac_f32 v4, v6, v157 :: v_dual_mul_f32 v1, v1, v160
	s_delay_alu instid0(VALU_DEP_3) | instskip(NEXT) | instid1(VALU_DEP_2)
	v_dual_add_f32 v6, v7, v22 :: v_dual_fma_f32 v7, v0, v160, -v23
	v_dual_mul_f32 v22, v3, v163 :: v_dual_add_f32 v4, v5, v4
	s_delay_alu instid0(VALU_DEP_3) | instskip(NEXT) | instid1(VALU_DEP_3)
	v_dual_fmac_f32 v1, v0, v161 :: v_dual_mul_f32 v0, v3, v162
	v_add_f32_e32 v3, v6, v7
	s_delay_alu instid0(VALU_DEP_3) | instskip(NEXT) | instid1(VALU_DEP_3)
	v_dual_fma_f32 v5, v2, v162, -v22 :: v_dual_mul_f32 v6, v13, v167
	v_dual_add_f32 v1, v4, v1 :: v_dual_fmac_f32 v0, v2, v163
	s_delay_alu instid0(VALU_DEP_2) | instskip(NEXT) | instid1(VALU_DEP_3)
	v_dual_mul_f32 v2, v13, v166 :: v_dual_add_f32 v3, v3, v5
	v_dual_fma_f32 v4, v12, v166, -v6 :: v_dual_mul_f32 v5, v15, v165
	s_delay_alu instid0(VALU_DEP_2) | instskip(SKIP_1) | instid1(VALU_DEP_3)
	v_dual_add_f32 v0, v1, v0 :: v_dual_fmac_f32 v2, v12, v167
	v_mul_f32_e32 v6, v15, v164
	v_add_f32_e32 v3, v3, v4
	s_delay_alu instid0(VALU_DEP_4) | instskip(NEXT) | instid1(VALU_DEP_3)
	v_dual_fma_f32 v4, v14, v164, -v5 :: v_dual_mul_f32 v5, v9, v169
	v_dual_add_f32 v7, v0, v2 :: v_dual_fmac_f32 v6, v14, v165
	v_dual_mul_f32 v1, v9, v168 :: v_dual_mov_b32 v175, v174
	s_delay_alu instid0(VALU_DEP_3) | instskip(NEXT) | instid1(VALU_DEP_2)
	v_dual_mov_b32 v18, v173 :: v_dual_fma_f32 v0, v8, v168, -v5
	v_dual_add_f32 v2, v3, v4 :: v_dual_fmac_f32 v1, v8, v169
	v_dual_mul_f32 v4, v11, v171 :: v_dual_mul_f32 v5, v11, v170
	v_dual_add_f32 v3, v7, v6 :: v_dual_mov_b32 v19, v173
	v_dual_mov_b32 v173, v172 :: v_dual_mov_b32 v6, v179
	s_delay_alu instid0(VALU_DEP_3) | instskip(SKIP_4) | instid1(VALU_DEP_4)
	v_fma_f32 v4, v10, v170, -v4
	v_pk_mul_f32 v[8:9], v[28:29], v[16:17]
	v_fmac_f32_e32 v5, v10, v171
	v_pk_add_f32 v[0:1], v[2:3], v[0:1]
	v_dual_mov_b32 v7, v179 :: v_dual_mov_b32 v179, v178
	v_pk_fma_f32 v[2:3], v[28:29], v[174:175], v[8:9] op_sel:[0,0,1] op_sel_hi:[1,1,0]
	v_pk_fma_f32 v[8:9], v[28:29], v[174:175], v[8:9] op_sel:[0,0,1] op_sel_hi:[1,1,0] neg_lo:[0,0,1] neg_hi:[0,0,1]
	s_delay_alu instid0(VALU_DEP_4) | instskip(SKIP_1) | instid1(VALU_DEP_4)
	v_pk_add_f32 v[0:1], v[0:1], v[4:5]
	v_pk_mul_f32 v[4:5], v[30:31], v[18:19]
	v_dual_mov_b32 v2, v183 :: v_dual_mov_b32 v9, v3
	v_dual_mov_b32 v3, v183 :: v_dual_mov_b32 v183, v182
	s_delay_alu instid0(VALU_DEP_3)
	v_pk_fma_f32 v[10:11], v[30:31], v[172:173], v[4:5] op_sel:[0,0,1] op_sel_hi:[1,1,0]
	v_pk_fma_f32 v[4:5], v[30:31], v[172:173], v[4:5] op_sel:[0,0,1] op_sel_hi:[1,1,0] neg_lo:[0,0,1] neg_hi:[0,0,1]
	v_mov_b32_e32 v10, v181
	v_pk_add_f32 v[0:1], v[0:1], v[8:9]
	v_pk_mul_f32 v[8:9], v[24:25], v[20:21]
	v_dual_mov_b32 v5, v11 :: v_dual_mov_b32 v11, v181
	v_mov_b32_e32 v181, v180
	v_pk_mul_f32 v[2:3], v[40:41], v[2:3]
	s_delay_alu instid0(VALU_DEP_4) | instskip(NEXT) | instid1(VALU_DEP_4)
	v_pk_fma_f32 v[12:13], v[24:25], v[176:177], v[8:9] op_sel:[0,0,1] op_sel_hi:[1,1,0]
	v_pk_add_f32 v[0:1], v[0:1], v[4:5]
	v_pk_mul_f32 v[4:5], v[26:27], v[6:7]
	v_pk_fma_f32 v[6:7], v[24:25], v[176:177], v[8:9] op_sel:[0,0,1] op_sel_hi:[1,1,0] neg_lo:[0,0,1] neg_hi:[0,0,1]
	s_delay_alu instid0(VALU_DEP_4) | instskip(SKIP_1) | instid1(VALU_DEP_4)
	v_dual_mov_b32 v12, v185 :: v_dual_mov_b32 v7, v13
	v_dual_mov_b32 v13, v185 :: v_dual_mov_b32 v185, v184
	v_pk_fma_f32 v[8:9], v[26:27], v[178:179], v[4:5] op_sel:[0,0,1] op_sel_hi:[1,1,0]
	v_pk_fma_f32 v[4:5], v[26:27], v[178:179], v[4:5] op_sel:[0,0,1] op_sel_hi:[1,1,0] neg_lo:[0,0,1] neg_hi:[0,0,1]
	v_mov_b32_e32 v8, v187
	v_pk_add_f32 v[0:1], v[0:1], v[6:7]
	v_pk_mul_f32 v[6:7], v[42:43], v[10:11]
	v_mov_b32_e32 v5, v9
	v_pk_fma_f32 v[10:11], v[40:41], v[182:183], v[2:3] op_sel:[0,0,1] op_sel_hi:[1,1,0]
	v_pk_fma_f32 v[2:3], v[40:41], v[182:183], v[2:3] op_sel:[0,0,1] op_sel_hi:[1,1,0] neg_lo:[0,0,1] neg_hi:[0,0,1]
	v_dual_mov_b32 v9, v187 :: v_dual_mov_b32 v187, v186
	s_delay_alu instid0(VALU_DEP_4)
	v_pk_add_f32 v[0:1], v[0:1], v[4:5]
	v_pk_fma_f32 v[4:5], v[42:43], v[180:181], v[6:7] op_sel:[0,0,1] op_sel_hi:[1,1,0]
	v_pk_mul_f32 v[12:13], v[44:45], v[12:13]
	v_mov_b32_e32 v3, v11
	v_pk_fma_f32 v[6:7], v[42:43], v[180:181], v[6:7] op_sel:[0,0,1] op_sel_hi:[1,1,0] neg_lo:[0,0,1] neg_hi:[0,0,1]
	v_pk_mul_f32 v[8:9], v[46:47], v[8:9]
	v_mov_b32_e32 v7, v5
	v_pk_fma_f32 v[4:5], v[44:45], v[184:185], v[12:13] op_sel:[0,0,1] op_sel_hi:[1,1,0]
	v_pk_add_f32 v[0:1], v[0:1], v[2:3]
	v_pk_fma_f32 v[2:3], v[44:45], v[184:185], v[12:13] op_sel:[0,0,1] op_sel_hi:[1,1,0] neg_lo:[0,0,1] neg_hi:[0,0,1]
	v_add_nc_u64_e32 v[114:115], s[66:67], v[114:115]
	v_add_nc_u64_e32 v[116:117], s[66:67], v[116:117]
	v_mov_b32_e32 v3, v5
	v_pk_fma_f32 v[4:5], v[46:47], v[186:187], v[8:9] op_sel:[0,0,1] op_sel_hi:[1,1,0]
	v_pk_add_f32 v[0:1], v[0:1], v[6:7]
	v_pk_fma_f32 v[6:7], v[46:47], v[186:187], v[8:9] op_sel:[0,0,1] op_sel_hi:[1,1,0] neg_lo:[0,0,1] neg_hi:[0,0,1]
	v_add_nc_u64_e32 v[118:119], s[66:67], v[118:119]
	v_add_nc_u64_e32 v[120:121], s[66:67], v[120:121]
	v_mov_b32_e32 v7, v5
	v_pk_add_f32 v[0:1], v[0:1], v[2:3]
	v_add_nc_u64_e32 v[122:123], s[66:67], v[122:123]
	v_add_nc_u64_e32 v[124:125], s[66:67], v[124:125]
	;; [unrolled: 1-line block ×16, first 2 shown]
	v_pk_add_f32 v[112:113], v[0:1], v[6:7]
	v_add_nc_u32_e32 v64, 64, v64
	s_add_co_i32 s75, s82, 1
	s_add_co_i32 s82, s82, 2
	;; [unrolled: 1-line block ×3, first 2 shown]
	s_cmp_ge_u32 s82, s40
	s_mov_b32 s82, s75
	s_wait_storecnt 0x0
	s_barrier_signal -1
	s_barrier_wait -1
	s_cbranch_scc1 .LBB181_124
.LBB181_69:                             ;   Parent Loop BB181_4 Depth=1
                                        ; =>  This Inner Loop Header: Depth=2
	s_cmp_eq_u32 s43, s82
	s_cselect_b32 s83, s76, 0
	s_and_saveexec_b32 s84, s0
	s_cbranch_execz .LBB181_74
; %bb.70:                               ;   in Loop: Header=BB181_69 Depth=2
	v_cmp_le_i32_e32 vcc_lo, s83, v188
	s_cmp_lg_u32 s83, 0
	s_cselect_b32 s75, -1, 0
	s_delay_alu instid0(SALU_CYCLE_1) | instskip(NEXT) | instid1(SALU_CYCLE_1)
	s_and_b32 s75, s75, vcc_lo
	s_and_saveexec_b32 s85, s75
	s_delay_alu instid0(SALU_CYCLE_1)
	s_xor_b32 s75, exec_lo, s85
; %bb.71:                               ;   in Loop: Header=BB181_69 Depth=2
	ds_store_b64 v210, v[110:111]
; %bb.72:                               ;   in Loop: Header=BB181_69 Depth=2
	s_and_not1_saveexec_b32 s75, s75
	s_cbranch_execz .LBB181_74
; %bb.73:                               ;   in Loop: Header=BB181_69 Depth=2
	s_ashr_i32 s75, s74, 31
	s_delay_alu instid0(SALU_CYCLE_1)
	v_lshl_add_u64 v[0:1], s[74:75], 3, v[154:155]
	flat_load_b64 v[0:1], v[0:1]
	s_wait_loadcnt_dscnt 0x0
	ds_store_b64 v210, v[0:1]
.LBB181_74:                             ;   in Loop: Header=BB181_69 Depth=2
	s_wait_xcnt 0x0
	s_or_b32 exec_lo, exec_lo, s84
	s_cmp_eq_u32 s83, 0
	v_add_nc_u64_e32 v[0:1], v[118:119], v[66:67]
	s_cselect_b32 s75, -1, 0
	s_cmp_lg_u32 s83, 0
	s_wait_dscnt 0x0
	s_cselect_b32 s84, -1, 0
	s_barrier_signal -1
	s_and_b32 vcc_lo, exec_lo, s84
	s_barrier_wait -1
	s_cbranch_vccz .LBB181_82
; %bb.75:                               ;   in Loop: Header=BB181_69 Depth=2
	v_mov_b64_e32 v[156:157], 0
	v_mov_b64_e32 v[158:159], 0
	s_mov_b32 s85, exec_lo
	v_cmpx_gt_i32_e64 s83, v196
	s_cbranch_execz .LBB181_77
; %bb.76:                               ;   in Loop: Header=BB181_69 Depth=2
	flat_load_b64 v[158:159], v[0:1]
.LBB181_77:                             ;   in Loop: Header=BB181_69 Depth=2
	s_wait_xcnt 0x0
	s_or_b32 exec_lo, exec_lo, s85
	s_delay_alu instid0(SALU_CYCLE_1)
	s_mov_b32 s85, exec_lo
	v_cmpx_gt_i32_e64 s83, v211
	s_cbranch_execz .LBB181_79
; %bb.78:                               ;   in Loop: Header=BB181_69 Depth=2
	v_add_nc_u64_e32 v[2:3], v[116:117], v[66:67]
	flat_load_b64 v[156:157], v[2:3]
.LBB181_79:                             ;   in Loop: Header=BB181_69 Depth=2
	s_wait_xcnt 0x0
	s_or_b32 exec_lo, exec_lo, s85
	v_mov_b64_e32 v[160:161], 0
	s_mov_b32 s85, exec_lo
	v_cmpx_gt_i32_e64 s83, v212
	s_cbranch_execz .LBB181_81
; %bb.80:                               ;   in Loop: Header=BB181_69 Depth=2
	v_add_nc_u64_e32 v[2:3], v[120:121], v[66:67]
	flat_load_b64 v[160:161], v[2:3]
.LBB181_81:                             ;   in Loop: Header=BB181_69 Depth=2
	s_wait_xcnt 0x0
	s_or_b32 exec_lo, exec_lo, s85
	v_cmp_gt_i32_e64 s85, s83, v213
	s_branch .LBB181_84
.LBB181_82:                             ;   in Loop: Header=BB181_69 Depth=2
	s_mov_b32 s85, 0
                                        ; implicit-def: $vgpr160_vgpr161
                                        ; implicit-def: $vgpr156_vgpr157
                                        ; implicit-def: $vgpr158_vgpr159
	s_cbranch_execz .LBB181_84
; %bb.83:                               ;   in Loop: Header=BB181_69 Depth=2
	v_add_nc_u64_e32 v[2:3], v[116:117], v[66:67]
	v_add_nc_u64_e32 v[4:5], v[114:115], v[66:67]
	s_or_b32 s85, s85, exec_lo
	s_wait_loadcnt_dscnt 0x0
	flat_load_b64 v[158:159], v[0:1]
	flat_load_b64 v[156:157], v[2:3]
	flat_load_b64 v[160:161], v[4:5]
.LBB181_84:                             ;   in Loop: Header=BB181_69 Depth=2
	v_mov_b64_e32 v[162:163], 0
	s_wait_xcnt 0x0
	s_delay_alu instid0(VALU_DEP_2)
	s_and_saveexec_b32 s86, s85
	s_cbranch_execz .LBB181_86
; %bb.85:                               ;   in Loop: Header=BB181_69 Depth=2
	v_add_nc_u64_e32 v[0:1], v[122:123], v[66:67]
	flat_load_b64 v[162:163], v[0:1]
.LBB181_86:                             ;   in Loop: Header=BB181_69 Depth=2
	s_wait_xcnt 0x0
	s_or_b32 exec_lo, exec_lo, s86
	ds_load_b64 v[0:1], v209
	v_cndmask_b32_e64 v40, 0, 1, s84
	s_and_not1_b32 vcc_lo, exec_lo, s84
	s_wait_loadcnt_dscnt 0x0
	v_pk_mul_f32 v[2:3], v[0:1], v[158:159] op_sel:[1,1] op_sel_hi:[0,1]
	v_pk_mul_f32 v[4:5], v[0:1], v[156:157] op_sel:[1,1] op_sel_hi:[0,1]
	;; [unrolled: 1-line block ×4, first 2 shown]
	s_delay_alu instid0(VALU_DEP_4)
	v_pk_fma_f32 v[10:11], v[0:1], v[158:159], v[2:3] neg_lo:[0,0,1] neg_hi:[0,0,1]
	v_pk_fma_f32 v[2:3], v[0:1], v[158:159], v[2:3] op_sel_hi:[1,0,1]
	v_pk_fma_f32 v[12:13], v[0:1], v[156:157], v[4:5] neg_lo:[0,0,1] neg_hi:[0,0,1]
	v_pk_fma_f32 v[4:5], v[0:1], v[156:157], v[4:5] op_sel_hi:[1,0,1]
	;; [unrolled: 2-line block ×3, first 2 shown]
	v_pk_fma_f32 v[16:17], v[0:1], v[162:163], v[8:9] op_sel_hi:[1,0,1]
	v_pk_fma_f32 v[8:9], v[0:1], v[162:163], v[8:9] neg_lo:[0,0,1] neg_hi:[0,0,1]
	v_dual_mov_b32 v11, v3 :: v_dual_mov_b32 v13, v5
	s_delay_alu instid0(VALU_DEP_3)
	v_dual_mov_b32 v15, v7 :: v_dual_mov_b32 v9, v17
	ds_load_b128 v[4:7], v198
	ds_load_b128 v[0:3], v198 offset:16
	ds_store_2addr_b64 v199, v[10:11], v[12:13] offset1:67
	ds_store_2addr_b64 v199, v[14:15], v[8:9] offset0:134 offset1:201
	s_wait_dscnt 0x0
	s_barrier_signal -1
	s_barrier_wait -1
	ds_load_2addr_b64 v[20:23], v200 offset1:1
	ds_load_2addr_b64 v[16:19], v200 offset0:2 offset1:3
	v_add_nc_u64_e32 v[8:9], v[128:129], v[66:67]
	s_wait_dscnt 0x0
	s_barrier_signal -1
	s_barrier_wait -1
	s_cbranch_vccnz .LBB181_94
; %bb.87:                               ;   in Loop: Header=BB181_69 Depth=2
	v_mov_b64_e32 v[164:165], 0
	v_mov_b64_e32 v[166:167], 0
	s_mov_b32 s84, exec_lo
	v_cmpx_gt_i32_e64 s83, v214
	s_cbranch_execz .LBB181_89
; %bb.88:                               ;   in Loop: Header=BB181_69 Depth=2
	flat_load_b64 v[166:167], v[8:9]
.LBB181_89:                             ;   in Loop: Header=BB181_69 Depth=2
	s_wait_xcnt 0x0
	s_or_b32 exec_lo, exec_lo, s84
	s_delay_alu instid0(SALU_CYCLE_1)
	s_mov_b32 s84, exec_lo
	v_cmpx_gt_i32_e64 s83, v215
	s_cbranch_execz .LBB181_91
; %bb.90:                               ;   in Loop: Header=BB181_69 Depth=2
	v_add_nc_u64_e32 v[10:11], v[126:127], v[66:67]
	flat_load_b64 v[164:165], v[10:11]
.LBB181_91:                             ;   in Loop: Header=BB181_69 Depth=2
	s_wait_xcnt 0x0
	s_or_b32 exec_lo, exec_lo, s84
	v_mov_b64_e32 v[168:169], 0
	s_mov_b32 s84, exec_lo
	v_cmpx_gt_i32_e64 s83, v216
	s_cbranch_execz .LBB181_93
; %bb.92:                               ;   in Loop: Header=BB181_69 Depth=2
	v_add_nc_u64_e32 v[10:11], v[130:131], v[66:67]
	flat_load_b64 v[168:169], v[10:11]
.LBB181_93:                             ;   in Loop: Header=BB181_69 Depth=2
	s_wait_xcnt 0x0
	s_or_b32 exec_lo, exec_lo, s84
	v_cmp_gt_i32_e64 s84, s83, v217
	s_branch .LBB181_96
.LBB181_94:                             ;   in Loop: Header=BB181_69 Depth=2
	s_mov_b32 s84, 0
                                        ; implicit-def: $vgpr168_vgpr169
                                        ; implicit-def: $vgpr164_vgpr165
                                        ; implicit-def: $vgpr166_vgpr167
	s_cbranch_execz .LBB181_96
; %bb.95:                               ;   in Loop: Header=BB181_69 Depth=2
	v_add_nc_u64_e32 v[10:11], v[126:127], v[66:67]
	v_add_nc_u64_e32 v[12:13], v[124:125], v[66:67]
	s_or_b32 s84, s84, exec_lo
	s_wait_loadcnt_dscnt 0x0
	flat_load_b64 v[166:167], v[8:9]
	flat_load_b64 v[164:165], v[10:11]
	;; [unrolled: 1-line block ×3, first 2 shown]
.LBB181_96:                             ;   in Loop: Header=BB181_69 Depth=2
	v_mov_b64_e32 v[170:171], 0
	s_wait_xcnt 0x0
	s_delay_alu instid0(VALU_DEP_2)
	s_and_saveexec_b32 s85, s84
	s_cbranch_execz .LBB181_98
; %bb.97:                               ;   in Loop: Header=BB181_69 Depth=2
	v_add_nc_u64_e32 v[8:9], v[132:133], v[66:67]
	flat_load_b64 v[170:171], v[8:9]
.LBB181_98:                             ;   in Loop: Header=BB181_69 Depth=2
	s_wait_xcnt 0x0
	s_or_b32 exec_lo, exec_lo, s85
	ds_load_b64 v[8:9], v209
	v_cmp_ne_u32_e32 vcc_lo, 1, v40
	s_and_b32 vcc_lo, exec_lo, vcc_lo
	s_wait_loadcnt_dscnt 0x0
	v_pk_mul_f32 v[10:11], v[8:9], v[166:167] op_sel:[1,1] op_sel_hi:[0,1]
	v_pk_mul_f32 v[12:13], v[8:9], v[164:165] op_sel:[1,1] op_sel_hi:[0,1]
	;; [unrolled: 1-line block ×4, first 2 shown]
	s_delay_alu instid0(VALU_DEP_4)
	v_pk_fma_f32 v[26:27], v[8:9], v[166:167], v[10:11] neg_lo:[0,0,1] neg_hi:[0,0,1]
	v_pk_fma_f32 v[10:11], v[8:9], v[166:167], v[10:11] op_sel_hi:[1,0,1]
	v_pk_fma_f32 v[28:29], v[8:9], v[164:165], v[12:13] neg_lo:[0,0,1] neg_hi:[0,0,1]
	v_pk_fma_f32 v[12:13], v[8:9], v[164:165], v[12:13] op_sel_hi:[1,0,1]
	;; [unrolled: 2-line block ×3, first 2 shown]
	v_pk_fma_f32 v[32:33], v[8:9], v[170:171], v[24:25] op_sel_hi:[1,0,1]
	v_pk_fma_f32 v[24:25], v[8:9], v[170:171], v[24:25] neg_lo:[0,0,1] neg_hi:[0,0,1]
	v_dual_mov_b32 v27, v11 :: v_dual_mov_b32 v29, v13
	s_delay_alu instid0(VALU_DEP_3)
	v_dual_mov_b32 v31, v15 :: v_dual_mov_b32 v25, v33
	ds_load_b128 v[12:15], v198 offset:128
	ds_load_b128 v[8:11], v198 offset:144
	ds_store_2addr_b64 v199, v[26:27], v[28:29] offset1:67
	ds_store_2addr_b64 v199, v[30:31], v[24:25] offset0:134 offset1:201
	s_wait_dscnt 0x0
	s_barrier_signal -1
	s_barrier_wait -1
	ds_load_2addr_b64 v[36:39], v200 offset1:1
	ds_load_2addr_b64 v[32:35], v200 offset0:2 offset1:3
	v_add_nc_u64_e32 v[24:25], v[138:139], v[66:67]
	s_wait_dscnt 0x0
	s_barrier_signal -1
	s_barrier_wait -1
	s_cbranch_vccnz .LBB181_106
; %bb.99:                               ;   in Loop: Header=BB181_69 Depth=2
	v_mov_b64_e32 v[172:173], 0
	v_mov_b64_e32 v[174:175], 0
	s_mov_b32 s84, exec_lo
	v_cmpx_gt_i32_e64 s83, v218
	s_cbranch_execz .LBB181_101
; %bb.100:                              ;   in Loop: Header=BB181_69 Depth=2
	flat_load_b64 v[174:175], v[24:25]
.LBB181_101:                            ;   in Loop: Header=BB181_69 Depth=2
	s_wait_xcnt 0x0
	s_or_b32 exec_lo, exec_lo, s84
	s_delay_alu instid0(SALU_CYCLE_1)
	s_mov_b32 s84, exec_lo
	v_cmpx_gt_i32_e64 s83, v219
	s_cbranch_execz .LBB181_103
; %bb.102:                              ;   in Loop: Header=BB181_69 Depth=2
	v_add_nc_u64_e32 v[26:27], v[136:137], v[66:67]
	flat_load_b64 v[172:173], v[26:27]
.LBB181_103:                            ;   in Loop: Header=BB181_69 Depth=2
	s_wait_xcnt 0x0
	s_or_b32 exec_lo, exec_lo, s84
	v_mov_b64_e32 v[176:177], 0
	s_mov_b32 s84, exec_lo
	v_cmpx_gt_i32_e64 s83, v220
	s_cbranch_execz .LBB181_105
; %bb.104:                              ;   in Loop: Header=BB181_69 Depth=2
	v_add_nc_u64_e32 v[26:27], v[140:141], v[66:67]
	flat_load_b64 v[176:177], v[26:27]
.LBB181_105:                            ;   in Loop: Header=BB181_69 Depth=2
	s_wait_xcnt 0x0
	s_or_b32 exec_lo, exec_lo, s84
	v_cmp_gt_i32_e64 s84, s83, v221
	s_branch .LBB181_108
.LBB181_106:                            ;   in Loop: Header=BB181_69 Depth=2
	s_mov_b32 s84, 0
                                        ; implicit-def: $vgpr176_vgpr177
                                        ; implicit-def: $vgpr172_vgpr173
                                        ; implicit-def: $vgpr174_vgpr175
	s_cbranch_execz .LBB181_108
; %bb.107:                              ;   in Loop: Header=BB181_69 Depth=2
	v_add_nc_u64_e32 v[26:27], v[136:137], v[66:67]
	v_add_nc_u64_e32 v[28:29], v[134:135], v[66:67]
	s_or_b32 s84, s84, exec_lo
	s_wait_loadcnt_dscnt 0x0
	flat_load_b64 v[174:175], v[24:25]
	flat_load_b64 v[172:173], v[26:27]
	flat_load_b64 v[176:177], v[28:29]
.LBB181_108:                            ;   in Loop: Header=BB181_69 Depth=2
	v_mov_b64_e32 v[178:179], 0
	s_wait_xcnt 0x0
	s_delay_alu instid0(VALU_DEP_2)
	s_and_saveexec_b32 s85, s84
	s_cbranch_execz .LBB181_110
; %bb.109:                              ;   in Loop: Header=BB181_69 Depth=2
	v_add_nc_u64_e32 v[24:25], v[142:143], v[66:67]
	flat_load_b64 v[178:179], v[24:25]
.LBB181_110:                            ;   in Loop: Header=BB181_69 Depth=2
	s_wait_xcnt 0x0
	s_or_b32 exec_lo, exec_lo, s85
	ds_load_b64 v[24:25], v209
	ds_load_b128 v[28:31], v198 offset:256
	v_cmp_ne_u32_e32 vcc_lo, 1, v40
	v_add_nc_u64_e32 v[40:41], v[148:149], v[66:67]
	s_and_b32 vcc_lo, exec_lo, vcc_lo
	s_wait_loadcnt_dscnt 0x1
	v_pk_mul_f32 v[26:27], v[24:25], v[174:175] op_sel:[0,1]
	v_pk_mul_f32 v[42:43], v[24:25], v[172:173] op_sel:[0,1]
	;; [unrolled: 1-line block ×4, first 2 shown]
	s_delay_alu instid0(VALU_DEP_4)
	v_pk_fma_f32 v[48:49], v[24:25], v[174:175], v[26:27] op_sel:[0,0,1] op_sel_hi:[1,1,0] neg_lo:[0,0,1] neg_hi:[0,0,1]
	v_pk_fma_f32 v[26:27], v[24:25], v[174:175], v[26:27] op_sel:[0,0,1] op_sel_hi:[1,0,0]
	v_pk_fma_f32 v[50:51], v[24:25], v[172:173], v[42:43] op_sel:[0,0,1] op_sel_hi:[1,1,0] neg_lo:[0,0,1] neg_hi:[0,0,1]
	v_pk_fma_f32 v[42:43], v[24:25], v[172:173], v[42:43] op_sel:[0,0,1] op_sel_hi:[1,0,0]
	;; [unrolled: 2-line block ×3, first 2 shown]
	v_pk_fma_f32 v[54:55], v[24:25], v[178:179], v[46:47] op_sel:[0,0,1] op_sel_hi:[1,0,0]
	v_pk_fma_f32 v[46:47], v[24:25], v[178:179], v[46:47] op_sel:[0,0,1] op_sel_hi:[1,1,0] neg_lo:[0,0,1] neg_hi:[0,0,1]
	v_dual_mov_b32 v49, v27 :: v_dual_mov_b32 v51, v43
	s_delay_alu instid0(VALU_DEP_3)
	v_dual_mov_b32 v53, v45 :: v_dual_mov_b32 v47, v55
	ds_load_b128 v[24:27], v198 offset:272
	ds_store_2addr_b64 v199, v[48:49], v[50:51] offset1:67
	ds_store_2addr_b64 v199, v[52:53], v[46:47] offset0:134 offset1:201
	s_wait_dscnt 0x0
	s_barrier_signal -1
	s_barrier_wait -1
	ds_load_2addr_b64 v[52:55], v200 offset1:1
	ds_load_2addr_b64 v[48:51], v200 offset0:2 offset1:3
	s_wait_dscnt 0x0
	s_barrier_signal -1
	s_barrier_wait -1
	s_cbranch_vccnz .LBB181_118
; %bb.111:                              ;   in Loop: Header=BB181_69 Depth=2
	v_mov_b64_e32 v[180:181], 0
	v_mov_b64_e32 v[182:183], 0
	s_mov_b32 s84, exec_lo
	v_cmpx_gt_i32_e64 s83, v222
	s_cbranch_execz .LBB181_113
; %bb.112:                              ;   in Loop: Header=BB181_69 Depth=2
	flat_load_b64 v[182:183], v[40:41]
.LBB181_113:                            ;   in Loop: Header=BB181_69 Depth=2
	s_wait_xcnt 0x0
	s_or_b32 exec_lo, exec_lo, s84
	s_delay_alu instid0(SALU_CYCLE_1)
	s_mov_b32 s84, exec_lo
	v_cmpx_gt_i32_e64 s83, v223
	s_cbranch_execz .LBB181_115
; %bb.114:                              ;   in Loop: Header=BB181_69 Depth=2
	v_add_nc_u64_e32 v[42:43], v[146:147], v[66:67]
	flat_load_b64 v[180:181], v[42:43]
.LBB181_115:                            ;   in Loop: Header=BB181_69 Depth=2
	s_wait_xcnt 0x0
	s_or_b32 exec_lo, exec_lo, s84
	v_mov_b64_e32 v[184:185], 0
	s_mov_b32 s84, exec_lo
	v_cmpx_gt_i32_e64 s83, v224
	s_cbranch_execz .LBB181_117
; %bb.116:                              ;   in Loop: Header=BB181_69 Depth=2
	v_add_nc_u64_e32 v[42:43], v[150:151], v[66:67]
	flat_load_b64 v[184:185], v[42:43]
.LBB181_117:                            ;   in Loop: Header=BB181_69 Depth=2
	s_wait_xcnt 0x0
	s_or_b32 exec_lo, exec_lo, s84
	v_cmp_gt_i32_e64 s84, s83, v57
	s_branch .LBB181_120
.LBB181_118:                            ;   in Loop: Header=BB181_69 Depth=2
	s_mov_b32 s84, 0
                                        ; implicit-def: $vgpr184_vgpr185
                                        ; implicit-def: $vgpr180_vgpr181
                                        ; implicit-def: $vgpr182_vgpr183
	s_cbranch_execz .LBB181_120
; %bb.119:                              ;   in Loop: Header=BB181_69 Depth=2
	v_add_nc_u64_e32 v[42:43], v[146:147], v[66:67]
	v_add_nc_u64_e32 v[44:45], v[144:145], v[66:67]
	s_or_b32 s84, s84, exec_lo
	s_wait_loadcnt_dscnt 0x0
	flat_load_b64 v[182:183], v[40:41]
	flat_load_b64 v[180:181], v[42:43]
	;; [unrolled: 1-line block ×3, first 2 shown]
.LBB181_120:                            ;   in Loop: Header=BB181_69 Depth=2
	v_mov_b64_e32 v[186:187], 0
	s_wait_xcnt 0x0
	s_delay_alu instid0(VALU_DEP_2)
	s_and_saveexec_b32 s85, s84
	s_cbranch_execz .LBB181_122
; %bb.121:                              ;   in Loop: Header=BB181_69 Depth=2
	v_add_nc_u64_e32 v[40:41], v[152:153], v[66:67]
	flat_load_b64 v[186:187], v[40:41]
.LBB181_122:                            ;   in Loop: Header=BB181_69 Depth=2
	s_wait_xcnt 0x0
	s_or_b32 exec_lo, exec_lo, s85
	ds_load_b64 v[44:45], v209
	ds_load_b128 v[40:43], v198 offset:384
	v_pk_add_f32 v[36:37], v[36:37], 0 op_sel_hi:[1,0]
	v_pk_add_f32 v[20:21], v[20:21], 0 op_sel_hi:[1,0]
	;; [unrolled: 1-line block ×3, first 2 shown]
	v_cmp_gt_i32_e32 vcc_lo, s83, v188
	s_delay_alu instid0(VALU_DEP_4) | instskip(NEXT) | instid1(VALU_DEP_4)
	v_pk_add_f32 v[36:37], v[36:37], v[38:39]
	v_pk_add_f32 v[20:21], v[20:21], v[22:23]
	s_delay_alu instid0(VALU_DEP_4) | instskip(SKIP_1) | instid1(VALU_DEP_3)
	v_pk_add_f32 v[52:53], v[52:53], v[54:55]
	s_or_b32 s75, s75, vcc_lo
	v_pk_add_f32 v[32:33], v[36:37], v[32:33]
	s_delay_alu instid0(VALU_DEP_3) | instskip(NEXT) | instid1(VALU_DEP_3)
	v_pk_add_f32 v[16:17], v[20:21], v[16:17]
	v_pk_add_f32 v[38:39], v[52:53], v[48:49]
	s_and_b32 s83, s17, s75
	s_delay_alu instid0(VALU_DEP_3) | instskip(NEXT) | instid1(VALU_DEP_3)
	v_pk_add_f32 v[32:33], v[32:33], v[34:35]
	v_pk_add_f32 v[16:17], v[16:17], v[18:19]
	s_wait_loadcnt_dscnt 0x1
	v_pk_mul_f32 v[46:47], v[44:45], v[182:183] op_sel:[0,1]
	v_pk_mul_f32 v[226:227], v[44:45], v[180:181] op_sel:[0,1]
	;; [unrolled: 1-line block ×4, first 2 shown]
	s_delay_alu instid0(VALU_DEP_4)
	v_pk_fma_f32 v[232:233], v[44:45], v[182:183], v[46:47] op_sel:[0,0,1] op_sel_hi:[1,1,0] neg_lo:[0,0,1] neg_hi:[0,0,1]
	v_pk_fma_f32 v[46:47], v[44:45], v[182:183], v[46:47] op_sel:[0,0,1] op_sel_hi:[1,0,0]
	v_pk_fma_f32 v[234:235], v[44:45], v[180:181], v[226:227] op_sel:[0,0,1] op_sel_hi:[1,1,0] neg_lo:[0,0,1] neg_hi:[0,0,1]
	v_pk_fma_f32 v[226:227], v[44:45], v[180:181], v[226:227] op_sel:[0,0,1] op_sel_hi:[1,0,0]
	;; [unrolled: 2-line block ×3, first 2 shown]
	v_pk_fma_f32 v[238:239], v[44:45], v[186:187], v[230:231] op_sel:[0,0,1] op_sel_hi:[1,0,0]
	v_pk_fma_f32 v[230:231], v[44:45], v[186:187], v[230:231] op_sel:[0,0,1] op_sel_hi:[1,1,0] neg_lo:[0,0,1] neg_hi:[0,0,1]
	v_dual_mov_b32 v233, v47 :: v_dual_mov_b32 v235, v227
	s_delay_alu instid0(VALU_DEP_3)
	v_dual_mov_b32 v237, v229 :: v_dual_mov_b32 v231, v239
	ds_load_b128 v[44:47], v198 offset:400
	ds_store_2addr_b64 v199, v[232:233], v[234:235] offset1:67
	ds_store_2addr_b64 v199, v[236:237], v[230:231] offset0:134 offset1:201
	s_wait_dscnt 0x0
	s_barrier_signal -1
	s_barrier_wait -1
	ds_load_2addr_b64 v[226:229], v200 offset1:1
	ds_load_2addr_b64 v[230:233], v200 offset0:2 offset1:3
	s_wait_dscnt 0x0
	s_barrier_signal -1
	s_barrier_wait -1
	v_pk_add_f32 v[226:227], v[226:227], 0 op_sel_hi:[1,0]
	s_delay_alu instid0(VALU_DEP_1) | instskip(NEXT) | instid1(VALU_DEP_1)
	v_pk_add_f32 v[22:23], v[226:227], v[228:229]
	v_pk_add_f32 v[20:21], v[22:23], v[230:231]
	;; [unrolled: 1-line block ×3, first 2 shown]
	s_delay_alu instid0(VALU_DEP_2)
	v_pk_add_f32 v[18:19], v[20:21], v[232:233]
	ds_store_2addr_b64 v206, v[16:17], v[32:33] offset1:16
	ds_store_2addr_b64 v206, v[22:23], v[18:19] offset0:32 offset1:48
	s_wait_dscnt 0x0
	s_barrier_signal -1
	s_barrier_wait -1
	s_and_saveexec_b32 s75, s83
	s_cbranch_execz .LBB181_68
; %bb.123:                              ;   in Loop: Header=BB181_69 Depth=2
	ds_load_b64 v[36:37], v201
	ds_load_2addr_b64 v[16:19], v201 offset0:1 offset1:2
	ds_load_2addr_b64 v[20:23], v201 offset0:3 offset1:4
	;; [unrolled: 1-line block ×3, first 2 shown]
	s_wait_dscnt 0x2
	v_dual_add_f32 v16, v16, v36 :: v_dual_add_f32 v17, v17, v37
	s_delay_alu instid0(VALU_DEP_1) | instskip(SKIP_3) | instid1(VALU_DEP_1)
	v_dual_add_f32 v36, v18, v16 :: v_dual_add_f32 v37, v19, v17
	ds_load_2addr_b64 v[16:19], v201 offset0:7 offset1:8
	s_wait_dscnt 0x2
	v_dual_add_f32 v20, v36, v20 :: v_dual_add_f32 v21, v37, v21
	v_dual_add_f32 v36, v20, v22 :: v_dual_add_f32 v37, v21, v23
	ds_load_2addr_b64 v[20:23], v201 offset0:9 offset1:10
	s_wait_dscnt 0x2
	v_pk_add_f32 v[32:33], v[36:37], v[32:33]
	s_delay_alu instid0(VALU_DEP_1) | instskip(SKIP_3) | instid1(VALU_DEP_1)
	v_pk_add_f32 v[36:37], v[32:33], v[34:35]
	ds_load_2addr_b64 v[32:35], v201 offset0:11 offset1:12
	s_wait_dscnt 0x2
	v_pk_add_f32 v[16:17], v[36:37], v[16:17]
	v_pk_add_f32 v[16:17], v[16:17], v[18:19]
	s_wait_dscnt 0x1
	s_delay_alu instid0(VALU_DEP_1)
	v_pk_add_f32 v[20:21], v[16:17], v[20:21]
	ds_load_2addr_b64 v[16:19], v201 offset0:13 offset1:14
	v_pk_add_f32 v[20:21], v[20:21], v[22:23]
	ds_load_b64 v[22:23], v202
	s_wait_dscnt 0x2
	v_pk_add_f32 v[20:21], v[20:21], v[32:33]
	s_delay_alu instid0(VALU_DEP_1) | instskip(SKIP_1) | instid1(VALU_DEP_1)
	v_pk_add_f32 v[20:21], v[20:21], v[34:35]
	s_wait_dscnt 0x1
	v_pk_add_f32 v[16:17], v[20:21], v[16:17]
	s_delay_alu instid0(VALU_DEP_1) | instskip(SKIP_1) | instid1(VALU_DEP_1)
	v_pk_add_f32 v[16:17], v[16:17], v[18:19]
	s_wait_dscnt 0x0
	v_pk_add_f32 v[16:17], v[16:17], v[22:23]
	global_store_b64 v64, v[16:17], s[18:19] scale_offset
	s_branch .LBB181_68
.LBB181_124:                            ;   in Loop: Header=BB181_4 Depth=1
	ds_store_b64 v203, v[112:113]
	s_wait_dscnt 0x0
	s_barrier_signal -1
	s_barrier_wait -1
	s_and_saveexec_b32 s74, s80
	s_cbranch_execz .LBB181_2
; %bb.125:                              ;   in Loop: Header=BB181_4 Depth=1
	ds_load_2addr_b64 v[0:3], v189 offset1:67
	ds_load_2addr_b64 v[4:7], v189 offset0:134 offset1:201
	s_wait_dscnt 0x1
	v_pk_add_f32 v[0:1], v[2:3], v[0:1]
	v_lshl_add_u64 v[2:3], v[58:59], 3, s[18:19]
	s_wait_dscnt 0x0
	s_delay_alu instid0(VALU_DEP_2) | instskip(NEXT) | instid1(VALU_DEP_1)
	v_pk_add_f32 v[0:1], v[4:5], v[0:1]
	v_pk_add_f32 v[0:1], v[0:1], v[6:7]
	global_store_b64 v[2:3], v[0:1], off
	s_branch .LBB181_2
.LBB181_126:                            ;   in Loop: Header=BB181_4 Depth=1
	ds_load_b64 v[2:3], v207
	s_wait_dscnt 0x0
	ds_store_b64 v193, v[2:3]
	s_or_b32 exec_lo, exec_lo, s18
	s_and_saveexec_b32 s18, s7
	s_cbranch_execz .LBB181_26
.LBB181_127:                            ;   in Loop: Header=BB181_4 Depth=1
	ds_load_b64 v[2:3], v208
	s_wait_dscnt 0x0
	ds_store_b64 v193, v[2:3] offset:8
	s_or_b32 exec_lo, exec_lo, s18
	s_and_saveexec_b32 s18, s8
	s_cbranch_execz .LBB181_27
.LBB181_128:                            ;   in Loop: Header=BB181_4 Depth=1
	ds_load_b64 v[2:3], v208 offset:264
	s_wait_dscnt 0x0
	ds_store_b64 v193, v[2:3] offset:16
	s_or_b32 exec_lo, exec_lo, s18
	s_and_saveexec_b32 s18, s9
	s_cbranch_execnz .LBB181_28
	s_branch .LBB181_29
.LBB181_129:                            ;   in Loop: Header=BB181_4 Depth=1
	ds_load_b64 v[2:3], v207
	s_wait_dscnt 0x0
	ds_store_b64 v193, v[2:3]
	s_or_b32 exec_lo, exec_lo, s18
	s_and_saveexec_b32 s18, s7
	s_cbranch_execz .LBB181_45
.LBB181_130:                            ;   in Loop: Header=BB181_4 Depth=1
	ds_load_b64 v[2:3], v208
	s_wait_dscnt 0x0
	ds_store_b64 v193, v[2:3] offset:8
	s_or_b32 exec_lo, exec_lo, s18
	s_and_saveexec_b32 s18, s8
	s_cbranch_execz .LBB181_46
.LBB181_131:                            ;   in Loop: Header=BB181_4 Depth=1
	ds_load_b64 v[2:3], v208 offset:264
	s_wait_dscnt 0x0
	ds_store_b64 v193, v[2:3] offset:16
	s_or_b32 exec_lo, exec_lo, s18
	s_and_saveexec_b32 s18, s9
	s_cbranch_execnz .LBB181_47
	s_branch .LBB181_48
.LBB181_132:
	s_sendmsg sendmsg(MSG_DEALLOC_VGPRS)
	s_endpgm
	.section	.rodata,"a",@progbits
	.p2align	6, 0x0
	.amdhsa_kernel _ZL26rocblas_hemvn_kernel_upperILb0ELi64ELi4ELi33ELi32ELi16EiPK19rocblas_complex_numIfEPKS3_PS1_EviT6_lT7_lT5_lS8_lS9_lS7_lT8_i
		.amdhsa_group_segment_fixed_size 9600
		.amdhsa_private_segment_fixed_size 0
		.amdhsa_kernarg_size 376
		.amdhsa_user_sgpr_count 2
		.amdhsa_user_sgpr_dispatch_ptr 0
		.amdhsa_user_sgpr_queue_ptr 0
		.amdhsa_user_sgpr_kernarg_segment_ptr 1
		.amdhsa_user_sgpr_dispatch_id 0
		.amdhsa_user_sgpr_kernarg_preload_length 0
		.amdhsa_user_sgpr_kernarg_preload_offset 0
		.amdhsa_user_sgpr_private_segment_size 0
		.amdhsa_wavefront_size32 1
		.amdhsa_uses_dynamic_stack 0
		.amdhsa_enable_private_segment 0
		.amdhsa_system_sgpr_workgroup_id_x 1
		.amdhsa_system_sgpr_workgroup_id_y 0
		.amdhsa_system_sgpr_workgroup_id_z 1
		.amdhsa_system_sgpr_workgroup_info 0
		.amdhsa_system_vgpr_workitem_id 1
		.amdhsa_next_free_vgpr 240
		.amdhsa_next_free_sgpr 94
		.amdhsa_named_barrier_count 0
		.amdhsa_reserve_vcc 1
		.amdhsa_float_round_mode_32 0
		.amdhsa_float_round_mode_16_64 0
		.amdhsa_float_denorm_mode_32 3
		.amdhsa_float_denorm_mode_16_64 3
		.amdhsa_fp16_overflow 0
		.amdhsa_memory_ordered 1
		.amdhsa_forward_progress 1
		.amdhsa_inst_pref_size 68
		.amdhsa_round_robin_scheduling 0
		.amdhsa_exception_fp_ieee_invalid_op 0
		.amdhsa_exception_fp_denorm_src 0
		.amdhsa_exception_fp_ieee_div_zero 0
		.amdhsa_exception_fp_ieee_overflow 0
		.amdhsa_exception_fp_ieee_underflow 0
		.amdhsa_exception_fp_ieee_inexact 0
		.amdhsa_exception_int_div_zero 0
	.end_amdhsa_kernel
	.section	.text._ZL26rocblas_hemvn_kernel_upperILb0ELi64ELi4ELi33ELi32ELi16EiPK19rocblas_complex_numIfEPKS3_PS1_EviT6_lT7_lT5_lS8_lS9_lS7_lT8_i,"axG",@progbits,_ZL26rocblas_hemvn_kernel_upperILb0ELi64ELi4ELi33ELi32ELi16EiPK19rocblas_complex_numIfEPKS3_PS1_EviT6_lT7_lT5_lS8_lS9_lS7_lT8_i,comdat
.Lfunc_end181:
	.size	_ZL26rocblas_hemvn_kernel_upperILb0ELi64ELi4ELi33ELi32ELi16EiPK19rocblas_complex_numIfEPKS3_PS1_EviT6_lT7_lT5_lS8_lS9_lS7_lT8_i, .Lfunc_end181-_ZL26rocblas_hemvn_kernel_upperILb0ELi64ELi4ELi33ELi32ELi16EiPK19rocblas_complex_numIfEPKS3_PS1_EviT6_lT7_lT5_lS8_lS9_lS7_lT8_i
                                        ; -- End function
	.set _ZL26rocblas_hemvn_kernel_upperILb0ELi64ELi4ELi33ELi32ELi16EiPK19rocblas_complex_numIfEPKS3_PS1_EviT6_lT7_lT5_lS8_lS9_lS7_lT8_i.num_vgpr, 240
	.set _ZL26rocblas_hemvn_kernel_upperILb0ELi64ELi4ELi33ELi32ELi16EiPK19rocblas_complex_numIfEPKS3_PS1_EviT6_lT7_lT5_lS8_lS9_lS7_lT8_i.num_agpr, 0
	.set _ZL26rocblas_hemvn_kernel_upperILb0ELi64ELi4ELi33ELi32ELi16EiPK19rocblas_complex_numIfEPKS3_PS1_EviT6_lT7_lT5_lS8_lS9_lS7_lT8_i.numbered_sgpr, 94
	.set _ZL26rocblas_hemvn_kernel_upperILb0ELi64ELi4ELi33ELi32ELi16EiPK19rocblas_complex_numIfEPKS3_PS1_EviT6_lT7_lT5_lS8_lS9_lS7_lT8_i.num_named_barrier, 0
	.set _ZL26rocblas_hemvn_kernel_upperILb0ELi64ELi4ELi33ELi32ELi16EiPK19rocblas_complex_numIfEPKS3_PS1_EviT6_lT7_lT5_lS8_lS9_lS7_lT8_i.private_seg_size, 0
	.set _ZL26rocblas_hemvn_kernel_upperILb0ELi64ELi4ELi33ELi32ELi16EiPK19rocblas_complex_numIfEPKS3_PS1_EviT6_lT7_lT5_lS8_lS9_lS7_lT8_i.uses_vcc, 1
	.set _ZL26rocblas_hemvn_kernel_upperILb0ELi64ELi4ELi33ELi32ELi16EiPK19rocblas_complex_numIfEPKS3_PS1_EviT6_lT7_lT5_lS8_lS9_lS7_lT8_i.uses_flat_scratch, 1
	.set _ZL26rocblas_hemvn_kernel_upperILb0ELi64ELi4ELi33ELi32ELi16EiPK19rocblas_complex_numIfEPKS3_PS1_EviT6_lT7_lT5_lS8_lS9_lS7_lT8_i.has_dyn_sized_stack, 0
	.set _ZL26rocblas_hemvn_kernel_upperILb0ELi64ELi4ELi33ELi32ELi16EiPK19rocblas_complex_numIfEPKS3_PS1_EviT6_lT7_lT5_lS8_lS9_lS7_lT8_i.has_recursion, 0
	.set _ZL26rocblas_hemvn_kernel_upperILb0ELi64ELi4ELi33ELi32ELi16EiPK19rocblas_complex_numIfEPKS3_PS1_EviT6_lT7_lT5_lS8_lS9_lS7_lT8_i.has_indirect_call, 0
	.section	.AMDGPU.csdata,"",@progbits
; Kernel info:
; codeLenInByte = 8632
; TotalNumSgprs: 96
; NumVgprs: 240
; ScratchSize: 0
; MemoryBound: 1
; FloatMode: 240
; IeeeMode: 1
; LDSByteSize: 9600 bytes/workgroup (compile time only)
; SGPRBlocks: 0
; VGPRBlocks: 14
; NumSGPRsForWavesPerEU: 96
; NumVGPRsForWavesPerEU: 240
; NamedBarCnt: 0
; Occupancy: 4
; WaveLimiterHint : 1
; COMPUTE_PGM_RSRC2:SCRATCH_EN: 0
; COMPUTE_PGM_RSRC2:USER_SGPR: 2
; COMPUTE_PGM_RSRC2:TRAP_HANDLER: 0
; COMPUTE_PGM_RSRC2:TGID_X_EN: 1
; COMPUTE_PGM_RSRC2:TGID_Y_EN: 0
; COMPUTE_PGM_RSRC2:TGID_Z_EN: 1
; COMPUTE_PGM_RSRC2:TIDIG_COMP_CNT: 1
	.section	.text._ZL26rocblas_hemvn_kernel_upperILb0ELi64ELi4ELi33ELi32ELi16El19rocblas_complex_numIfEPKPKS1_PS1_EviT6_lT7_lT5_lS8_lS9_lS7_lT8_i,"axG",@progbits,_ZL26rocblas_hemvn_kernel_upperILb0ELi64ELi4ELi33ELi32ELi16El19rocblas_complex_numIfEPKPKS1_PS1_EviT6_lT7_lT5_lS8_lS9_lS7_lT8_i,comdat
	.globl	_ZL26rocblas_hemvn_kernel_upperILb0ELi64ELi4ELi33ELi32ELi16El19rocblas_complex_numIfEPKPKS1_PS1_EviT6_lT7_lT5_lS8_lS9_lS7_lT8_i ; -- Begin function _ZL26rocblas_hemvn_kernel_upperILb0ELi64ELi4ELi33ELi32ELi16El19rocblas_complex_numIfEPKPKS1_PS1_EviT6_lT7_lT5_lS8_lS9_lS7_lT8_i
	.p2align	8
	.type	_ZL26rocblas_hemvn_kernel_upperILb0ELi64ELi4ELi33ELi32ELi16El19rocblas_complex_numIfEPKPKS1_PS1_EviT6_lT7_lT5_lS8_lS9_lS7_lT8_i,@function
_ZL26rocblas_hemvn_kernel_upperILb0ELi64ELi4ELi33ELi32ELi16El19rocblas_complex_numIfEPKPKS1_PS1_EviT6_lT7_lT5_lS8_lS9_lS7_lT8_i: ; @_ZL26rocblas_hemvn_kernel_upperILb0ELi64ELi4ELi33ELi32ELi16El19rocblas_complex_numIfEPKPKS1_PS1_EviT6_lT7_lT5_lS8_lS9_lS7_lT8_i
; %bb.0:
	s_clause 0x1
	s_load_b64 s[2:3], s[0:1], 0x84
	s_load_b32 s33, s[0:1], 0x70
	s_bfe_u32 s4, ttmp6, 0x40014
	s_lshr_b32 s5, ttmp7, 16
	s_add_co_i32 s4, s4, 1
	s_bfe_u32 s7, ttmp6, 0x40008
	s_mul_i32 s4, s5, s4
	s_getreg_b32 s6, hwreg(HW_REG_IB_STS2, 6, 4)
	s_add_co_i32 s7, s7, s4
	s_mov_b32 s19, 0
	s_wait_kmcnt 0x0
	s_lshr_b32 s4, s2, 16
	s_and_b32 s2, s2, 0xffff
	s_and_b32 s3, s3, 0xffff
	s_mul_i32 s2, s4, s2
	s_cmp_eq_u32 s6, 0
	s_mul_i32 s2, s2, s3
	s_cselect_b32 s18, s5, s7
	s_cmp_lg_u32 s2, 0x100
	s_cselect_b32 s2, -1, 0
	s_cmp_ge_u32 s18, s33
	s_cselect_b32 s3, -1, 0
	s_delay_alu instid0(SALU_CYCLE_1) | instskip(NEXT) | instid1(SALU_CYCLE_1)
	s_or_b32 s2, s2, s3
	s_and_b32 vcc_lo, exec_lo, s2
	s_cbranch_vccnz .LBB182_133
; %bb.1:
	s_clause 0x3
	s_load_b32 s2, s[0:1], 0x0
	s_load_b64 s[8:9], s[0:1], 0x4
	s_load_b64 s[4:5], s[0:1], 0x68
	;; [unrolled: 1-line block ×3, first 2 shown]
	v_and_b32_e32 v172, 0x3ff, v0
	v_bfe_u32 v1, v0, 10, 10
	s_bfe_u32 s3, ttmp6, 0x4000c
	s_and_b32 s7, ttmp6, 15
	s_add_co_i32 s3, s3, 1
	s_add_nc_u64 s[10:11], s[0:1], 0x78
	v_lshl_add_u32 v36, v1, 6, v172
	s_mul_i32 s3, ttmp9, s3
	s_clause 0x1
	s_load_b128 s[20:23], s[0:1], 0x18
	s_load_b64 s[56:57], s[0:1], 0x28
	s_add_co_i32 s7, s7, s3
	s_clause 0x1
	s_load_b128 s[24:27], s[0:1], 0x38
	s_load_b64 s[28:29], s[0:1], 0x48
	v_lshrrev_b32_e32 v37, 5, v36
	s_load_b32 s34, s[10:11], 0x0
	v_dual_mov_b32 v59, 0 :: v_dual_bitop2_b32 v56, 31, v0 bitop3:0x40
	v_and_b32_e32 v6, 0x7fe0, v36
	s_delay_alu instid0(VALU_DEP_3)
	v_lshlrev_b32_e32 v2, 2, v37
	s_wait_kmcnt 0x0
	s_ashr_i32 s3, s2, 31
	s_cmp_eq_u32 s6, 0
	v_dual_mov_b32 v57, v59 :: v_dual_lshlrev_b32 v60, 3, v172
	s_cselect_b32 s30, ttmp9, s7
	s_or_b32 s0, s8, s9
	v_or_b32_e32 v3, 1, v2
	s_bitset0_b32 s0, 31
	v_dual_lshlrev_b32 v38, 3, v56 :: v_dual_add_nc_u32 v40, 24, v37
	s_cmp_eq_u32 s0, 0
	s_delay_alu instid0(VALU_DEP_2)
	v_mul_u32_u24_e32 v42, 0x108, v3
	s_cselect_b32 s68, -1, 0
	s_cmp_lg_u32 s0, 0
	v_lshl_or_b32 v173, v56, 8, v38
	s_cselect_b32 s64, -1, 0
	s_cmp_neq_f32 s12, 1.0
	v_mul_u32_u24_e32 v9, 33, v56
	s_delay_alu instid0(VALU_DEP_2)
	v_dual_lshlrev_b32 v43, 3, v37 :: v_dual_add_nc_u32 v174, v173, v6
	s_cselect_b32 s54, -1, 0
	s_cmp_neq_f32 s13, 0
	v_dual_lshlrev_b32 v58, 5, v1 :: v_dual_bitop2_b32 v7, 2, v2 bitop3:0x54
	v_cmp_ge_u32_e64 s7, v2, v56
	s_cselect_b32 s55, -1, 0
	s_lshr_b32 s1, s3, 26
	s_add_co_i32 s6, s34, -1
	s_add_co_i32 s1, s2, s1
	s_lshl_b32 s62, s30, 6
	s_and_not1_b32 s1, s1, 63
	v_or_b32_e32 v8, 3, v2
	s_sub_co_i32 s69, s2, s1
	s_cmp_eq_u32 s30, s6
	v_cmp_gt_u32_e64 s6, v2, v56
	v_add_nc_u64_e32 v[2:3], 0x110, v[58:59]
	v_add_nc_u64_e32 v[4:5], 0x108, v[58:59]
	v_mad_nc_u64_u32 v[62:63], s56, v37, v[56:57]
	v_cmp_gt_u32_e64 s8, v7, v56
	v_cmp_gt_u32_e64 s9, v8, v56
	v_add_nc_u32_e32 v175, 0x2380, v6
	v_lshl_add_u32 v176, v9, 3, v43
	v_mul_u64_e32 v[2:3], s[56:57], v[2:3]
	v_mul_u64_e32 v[4:5], s[56:57], v[4:5]
	v_add_nc_u64_e32 v[6:7], 0x100, v[58:59]
	v_add_nc_u64_e32 v[8:9], 0x118, v[58:59]
	;; [unrolled: 1-line block ×14, first 2 shown]
	v_dual_add_nc_u32 v64, s62, v172 :: v_dual_add_nc_u32 v34, 8, v37
	s_cselect_b32 s36, s69, 0
	v_mul_u64_e32 v[6:7], s[56:57], v[6:7]
	v_mul_u64_e32 v[8:9], s[56:57], v[8:9]
	;; [unrolled: 1-line block ×14, first 2 shown]
	v_mad_u32 v63, s57, v37, v63
	s_mov_b32 s35, s19
	s_cmp_lg_u32 s36, 0
	v_dual_ashrrev_i32 v65, 31, v64 :: v_dual_add_nc_u32 v35, 16, v37
	s_mul_u64 s[38:39], s[34:35], s[2:3]
	s_cselect_b32 s35, -1, 0
	s_cmp_eq_u32 s36, 0
	s_delay_alu instid0(VALU_DEP_1)
	v_mul_u64_e32 v[98:99], s[28:29], v[64:65]
	s_cselect_b32 s1, -1, 0
	s_ashr_i32 s31, s30, 31
	s_sub_co_i32 s15, s36, 32
	s_mul_u64 s[2:3], s[2:3], s[30:31]
	v_cmp_gt_i32_e64 s13, s15, v34
	s_lshl_b64 s[2:3], s[2:3], 3
	v_cmp_gt_i32_e64 s14, s15, v35
	s_add_nc_u64 s[40:41], s[4:5], s[2:3]
	v_cmp_gt_i32_e64 s3, s36, v34
	v_cmp_gt_i32_e64 s4, s36, v35
	v_lshlrev_b64_e32 v[34:35], 3, v[62:63]
	v_cmp_gt_i32_e64 s2, s36, v37
	v_mul_u32_u24_e32 v39, 0x108, v37
	v_mul_u32_u24_e32 v41, 0x420, v37
	v_cmp_gt_i32_e64 s12, s15, v37
	v_cmp_eq_u32_e64 s16, 1, v37
	v_mul_i32_i24_e32 v177, 0xffffffe8, v37
	v_sub_nc_u64_e32 v[66:67], v[2:3], v[34:35]
	v_and_b32_e32 v2, 48, v0
	v_lshrrev_b32_e32 v37, 4, v36
	v_sub_nc_u64_e32 v[68:69], v[4:5], v[34:35]
	v_dual_add_nc_u32 v184, v38, v39 :: v_dual_bitop2_b32 v0, 15, v0 bitop3:0x40
	s_delay_alu instid0(VALU_DEP_3) | instskip(SKIP_3) | instid1(VALU_DEP_4)
	v_dual_lshlrev_b32 v2, 3, v2 :: v_dual_lshlrev_b32 v3, 5, v37
	v_or_b32_e32 v4, 0x78, v60
	v_cmp_gt_i32_e32 vcc_lo, s36, v172
	v_dual_lshlrev_b32 v178, 2, v1 :: v_dual_bitop2_b32 v44, 32, v56 bitop3:0x54
	v_mad_u32_u24 v179, 0x218, v0, v3
	v_mad_u32_u24 v180, 0x218, v0, v2
	;; [unrolled: 1-line block ×3, first 2 shown]
	v_mul_i32_i24_e32 v0, 0xffffffe8, v37
	s_or_b32 s58, s1, vcc_lo
	s_add_co_i32 s17, s30, 1
	v_cmp_eq_u32_e64 s0, 0, v1
	s_xor_b32 s31, s58, -1
	s_ashr_i32 s63, s62, 31
	s_ashr_i32 s37, s36, 31
	s_lshl_b64 s[44:45], s[56:57], 6
	s_lshl_b64 s[46:47], s[56:57], 7
	;; [unrolled: 1-line block ×3, first 2 shown]
	v_sub_nc_u64_e32 v[70:71], v[6:7], v[34:35]
	v_sub_nc_u64_e32 v[72:73], v[8:9], v[34:35]
	;; [unrolled: 1-line block ×15, first 2 shown]
	v_mov_b64_e32 v[102:103], 0
	s_cmp_lt_u32 s17, s34
	v_cmp_gt_i32_e64 s1, s36, v56
	v_cmp_gt_i32_e64 s5, s36, v40
	v_cmp_gt_u32_e64 s10, 32, v36
	v_cmp_gt_i32_e64 s11, s36, v44
	v_cmp_gt_i32_e64 s15, s15, v40
	v_cmp_gt_u32_e64 s17, 64, v36
	v_mad_u32_u24 v182, 0x860, v1, v60
	v_mad_u32_u24 v183, 0x218, v1, v60
	v_dual_add_nc_u32 v185, v38, v41 :: v_dual_add_nc_u32 v186, v38, v42
	v_dual_add_nc_u32 v187, v173, v43 :: v_dual_mov_b32 v61, v59
	v_add_nc_u32_e32 v188, 0x2380, v43
	v_dual_add_nc_u32 v189, v179, v0 :: v_dual_bitop2_b32 v193, 1, v178 bitop3:0x54
	v_add_nc_u32_e32 v190, 0x2380, v60
	v_add_nc_u32_e32 v191, 0x2180, v60
	;; [unrolled: 1-line block ×3, first 2 shown]
	v_dual_add_nc_u32 v196, 16, v178 :: v_dual_bitop2_b32 v194, 2, v178 bitop3:0x54
	v_dual_add_nc_u32 v197, 17, v178 :: v_dual_bitop2_b32 v195, 3, v178 bitop3:0x54
	v_dual_add_nc_u32 v198, 18, v178 :: v_dual_add_nc_u32 v199, 19, v178
	v_dual_add_nc_u32 v200, 32, v178 :: v_dual_add_nc_u32 v201, 33, v178
	;; [unrolled: 1-line block ×5, first 2 shown]
	s_mul_u64 s[52:53], s[28:29], s[62:63]
	s_cselect_b32 s70, -1, 0
	s_or_b32 s65, s54, s55
	s_mul_u64 s[42:43], s[56:57], s[62:63]
	s_mul_u64 s[48:49], s[56:57], 0xc0
	s_sub_nc_u64 s[52:53], 0, s[52:53]
	s_add_co_i32 s71, s34, -2
	s_and_b32 s72, s0, s58
	s_sub_nc_u64 s[54:55], 0, s[36:37]
	s_add_co_i32 s73, s62, 64
	s_lshl_b64 s[56:57], s[56:57], 9
	s_mov_b64 s[58:59], 0xffffffffffffff00
	s_mov_b64 s[60:61], 0xfffffffffffffef8
	s_or_b32 s74, s65, s64
	s_lshl_b64 s[26:27], s[26:27], 3
	s_lshl_b64 s[22:23], s[22:23], 3
	;; [unrolled: 1-line block ×3, first 2 shown]
	s_branch .LBB182_4
.LBB182_2:                              ;   in Loop: Header=BB182_4 Depth=1
	s_wait_xcnt 0x0
	s_or_b32 exec_lo, exec_lo, s66
.LBB182_3:                              ;   in Loop: Header=BB182_4 Depth=1
	s_add_co_i32 s18, s18, 0x10000
	s_delay_alu instid0(SALU_CYCLE_1)
	s_cmp_lt_u32 s18, s33
	s_cbranch_scc0 .LBB182_133
.LBB182_4:                              ; =>This Loop Header: Depth=1
                                        ;     Child Loop BB182_70 Depth 2
	s_and_not1_b32 vcc_lo, exec_lo, s74
	s_cbranch_vccnz .LBB182_3
; %bb.5:                                ;   in Loop: Header=BB182_4 Depth=1
	s_and_b32 vcc_lo, exec_lo, s68
	s_mov_b32 s64, -1
	s_cbranch_vccz .LBB182_7
; %bb.6:                                ;   in Loop: Header=BB182_4 Depth=1
	s_mov_b32 s64, 0
.LBB182_7:                              ;   in Loop: Header=BB182_4 Depth=1
	s_delay_alu instid0(SALU_CYCLE_1)
	s_and_not1_b32 vcc_lo, exec_lo, s64
	s_cbranch_vccnz .LBB182_3
; %bb.8:                                ;   in Loop: Header=BB182_4 Depth=1
	v_mov_b32_e32 v0, s18
	s_clause 0x1
	global_load_b64 v[2:3], v0, s[24:25] scale_offset
	global_load_b64 v[0:1], v0, s[20:21] scale_offset
	s_wait_loadcnt 0x1
	v_add_nc_u64_e32 v[2:3], s[26:27], v[2:3]
	s_delay_alu instid0(VALU_DEP_1)
	v_lshl_add_u64 v[12:13], v[98:99], 3, v[2:3]
	s_wait_xcnt 0x0
	s_and_saveexec_b32 s64, s0
	s_cbranch_execz .LBB182_13
; %bb.9:                                ;   in Loop: Header=BB182_4 Depth=1
	s_and_saveexec_b32 s65, s31
	s_delay_alu instid0(SALU_CYCLE_1)
	s_xor_b32 s65, exec_lo, s65
; %bb.10:                               ;   in Loop: Header=BB182_4 Depth=1
	ds_store_b64 v190, v[102:103]
; %bb.11:                               ;   in Loop: Header=BB182_4 Depth=1
	s_and_not1_saveexec_b32 s65, s65
	s_cbranch_execz .LBB182_13
; %bb.12:                               ;   in Loop: Header=BB182_4 Depth=1
	flat_load_b64 v[2:3], v[12:13]
	s_wait_loadcnt_dscnt 0x0
	ds_store_b64 v190, v[2:3]
.LBB182_13:                             ;   in Loop: Header=BB182_4 Depth=1
	s_wait_xcnt 0x0
	s_or_b32 exec_lo, exec_lo, s64
	s_wait_loadcnt 0x0
	v_add_nc_u64_e32 v[0:1], s[22:23], v[0:1]
	s_and_b32 vcc_lo, exec_lo, s35
	s_mov_b32 s64, -1
	s_delay_alu instid0(VALU_DEP_1) | instskip(NEXT) | instid1(VALU_DEP_1)
	v_add_nc_u64_e32 v[0:1], s[62:63], v[0:1]
	v_lshl_add_u64 v[0:1], v[62:63], 3, v[0:1]
	s_delay_alu instid0(VALU_DEP_1)
	v_lshl_add_u64 v[2:3], s[42:43], 3, v[0:1]
                                        ; implicit-def: $vgpr0_vgpr1
	s_cbranch_vccz .LBB182_23
; %bb.14:                               ;   in Loop: Header=BB182_4 Depth=1
	s_delay_alu instid0(VALU_DEP_1) | instskip(SKIP_2) | instid1(VALU_DEP_3)
	v_lshl_add_u64 v[0:1], v[100:101], 3, v[2:3]
	v_dual_mov_b32 v6, 0 :: v_dual_mov_b32 v4, 0
	v_mov_b32_e32 v5, 0
	v_lshl_add_u64 v[0:1], s[36:37], 3, v[0:1]
	s_delay_alu instid0(VALU_DEP_1) | instskip(NEXT) | instid1(VALU_DEP_1)
	v_add_nc_u64_e32 v[0:1], -8, v[0:1]
	v_dual_cndmask_b32 v1, v1, v3, s1 :: v_dual_cndmask_b32 v0, v0, v2, s1
	s_and_saveexec_b32 s64, s2
	s_cbranch_execz .LBB182_16
; %bb.15:                               ;   in Loop: Header=BB182_4 Depth=1
	flat_load_b64 v[4:5], v[0:1]
.LBB182_16:                             ;   in Loop: Header=BB182_4 Depth=1
	s_wait_xcnt 0x0
	s_or_b32 exec_lo, exec_lo, s64
	v_mov_b32_e32 v7, 0
	s_wait_loadcnt_dscnt 0x0
	ds_store_b64 v184, v[4:5]
	s_and_saveexec_b32 s64, s3
	s_cbranch_execz .LBB182_18
; %bb.17:                               ;   in Loop: Header=BB182_4 Depth=1
	v_add_nc_u64_e32 v[4:5], s[44:45], v[0:1]
	flat_load_b64 v[6:7], v[4:5]
.LBB182_18:                             ;   in Loop: Header=BB182_4 Depth=1
	s_wait_xcnt 0x0
	s_or_b32 exec_lo, exec_lo, s64
	v_dual_mov_b32 v4, 0 :: v_dual_mov_b32 v8, 0
	v_mov_b32_e32 v9, 0
	s_wait_loadcnt_dscnt 0x0
	ds_store_b64 v184, v[6:7] offset:2112
	s_and_saveexec_b32 s64, s4
	s_cbranch_execz .LBB182_20
; %bb.19:                               ;   in Loop: Header=BB182_4 Depth=1
	v_add_nc_u64_e32 v[6:7], s[46:47], v[0:1]
	flat_load_b64 v[8:9], v[6:7]
.LBB182_20:                             ;   in Loop: Header=BB182_4 Depth=1
	s_wait_xcnt 0x0
	s_or_b32 exec_lo, exec_lo, s64
	v_mov_b32_e32 v5, 0
	s_wait_loadcnt_dscnt 0x0
	ds_store_b64 v184, v[8:9] offset:4224
	s_and_saveexec_b32 s64, s5
	s_cbranch_execz .LBB182_22
; %bb.21:                               ;   in Loop: Header=BB182_4 Depth=1
	v_add_nc_u64_e32 v[4:5], s[48:49], v[0:1]
	flat_load_b64 v[4:5], v[4:5]
.LBB182_22:                             ;   in Loop: Header=BB182_4 Depth=1
	s_wait_xcnt 0x0
	s_or_b32 exec_lo, exec_lo, s64
	v_lshlrev_b32_e32 v58, 3, v56
	s_mov_b32 s64, 0
	s_wait_loadcnt_dscnt 0x0
	ds_store_b64 v184, v[4:5] offset:6336
	v_add_nc_u64_e32 v[0:1], v[0:1], v[58:59]
	s_delay_alu instid0(VALU_DEP_1) | instskip(NEXT) | instid1(VALU_DEP_1)
	v_lshl_add_u64 v[0:1], s[54:55], 3, v[0:1]
	v_add_nc_u64_e32 v[0:1], 8, v[0:1]
	s_delay_alu instid0(VALU_DEP_1)
	v_dual_cndmask_b32 v1, v1, v3, s1 :: v_dual_cndmask_b32 v0, v0, v2, s1
.LBB182_23:                             ;   in Loop: Header=BB182_4 Depth=1
	s_and_b32 vcc_lo, exec_lo, s64
	s_cbranch_vccz .LBB182_25
; %bb.24:                               ;   in Loop: Header=BB182_4 Depth=1
	s_delay_alu instid0(VALU_DEP_1) | instskip(NEXT) | instid1(VALU_DEP_1)
	v_add_nc_u64_e32 v[0:1], s[44:45], v[2:3]
	v_add_nc_u64_e32 v[4:5], s[44:45], v[0:1]
	s_delay_alu instid0(VALU_DEP_1)
	v_add_nc_u64_e32 v[6:7], s[44:45], v[4:5]
	s_clause 0x3
	flat_load_b64 v[8:9], v[2:3]
	flat_load_b64 v[10:11], v[0:1]
	flat_load_b64 v[4:5], v[4:5]
	flat_load_b64 v[6:7], v[6:7]
	s_wait_xcnt 0x2
	v_mov_b64_e32 v[0:1], v[2:3]
	s_wait_loadcnt_dscnt 0x303
	ds_store_b64 v184, v[8:9]
	s_wait_loadcnt_dscnt 0x203
	ds_store_b64 v184, v[10:11] offset:2112
	s_wait_loadcnt_dscnt 0x103
	ds_store_b64 v184, v[4:5] offset:4224
	;; [unrolled: 2-line block ×3, first 2 shown]
.LBB182_25:                             ;   in Loop: Header=BB182_4 Depth=1
	s_wait_dscnt 0x0
	s_barrier_signal -1
	s_barrier_wait -1
	s_wait_xcnt 0x0
	s_and_saveexec_b32 s64, s6
	s_cbranch_execnz .LBB182_127
; %bb.26:                               ;   in Loop: Header=BB182_4 Depth=1
	s_or_b32 exec_lo, exec_lo, s64
	s_and_saveexec_b32 s64, s7
	s_cbranch_execnz .LBB182_128
.LBB182_27:                             ;   in Loop: Header=BB182_4 Depth=1
	s_or_b32 exec_lo, exec_lo, s64
	s_and_saveexec_b32 s64, s8
	s_cbranch_execnz .LBB182_129
.LBB182_28:                             ;   in Loop: Header=BB182_4 Depth=1
	s_or_b32 exec_lo, exec_lo, s64
	s_and_saveexec_b32 s64, s9
	s_cbranch_execz .LBB182_30
.LBB182_29:                             ;   in Loop: Header=BB182_4 Depth=1
	ds_load_b64 v[2:3], v186 offset:528
	s_wait_dscnt 0x0
	ds_store_b64 v174, v[2:3] offset:24
.LBB182_30:                             ;   in Loop: Header=BB182_4 Depth=1
	s_or_b32 exec_lo, exec_lo, s64
	s_wait_dscnt 0x0
	s_barrier_signal -1
	s_barrier_wait -1
	ds_load_b64 v[10:11], v185
	ds_load_b128 v[2:5], v175
	ds_load_2addr_b64 v[6:9], v186 offset1:33
	ds_load_b128 v[14:17], v175 offset:16
	ds_load_b64 v[18:19], v186 offset:528
	v_mov_b64_e32 v[104:105], 0
	s_wait_dscnt 0x0
	s_barrier_signal -1
	s_barrier_wait -1
	v_pk_mul_f32 v[20:21], v[2:3], v[10:11] op_sel:[1,1] op_sel_hi:[0,1]
	v_dual_mov_b32 v22, v5 :: v_dual_mov_b32 v23, v4
	v_pk_mul_f32 v[24:25], v[14:15], v[8:9] op_sel:[1,1] op_sel_hi:[0,1]
	v_dual_mov_b32 v28, v17 :: v_dual_mov_b32 v29, v16
	s_delay_alu instid0(VALU_DEP_4) | instskip(NEXT) | instid1(VALU_DEP_4)
	v_pk_fma_f32 v[26:27], v[2:3], v[10:11], v[20:21] op_sel_hi:[1,0,1]
	v_pk_mul_f32 v[22:23], v[22:23], v[6:7] op_sel:[0,1]
	v_pk_fma_f32 v[2:3], v[2:3], v[10:11], v[20:21] neg_lo:[0,0,1] neg_hi:[0,0,1]
	v_pk_fma_f32 v[20:21], v[14:15], v[8:9], v[24:25] op_sel_hi:[1,0,1]
	s_delay_alu instid0(VALU_DEP_3)
	v_pk_fma_f32 v[10:11], v[4:5], v[6:7], v[22:23] op_sel_hi:[1,0,1]
	v_mov_b32_e32 v3, v27
	v_pk_fma_f32 v[4:5], v[4:5], v[6:7], v[22:23] neg_lo:[0,0,1] neg_hi:[0,0,1]
	v_pk_mul_f32 v[26:27], v[28:29], v[18:19] op_sel:[0,1]
	v_pk_fma_f32 v[6:7], v[14:15], v[8:9], v[24:25] neg_lo:[0,0,1] neg_hi:[0,0,1]
	v_mov_b32_e32 v5, v11
	v_pk_add_f32 v[2:3], v[2:3], 0 op_sel_hi:[1,0]
	s_delay_alu instid0(VALU_DEP_4) | instskip(SKIP_1) | instid1(VALU_DEP_3)
	v_pk_fma_f32 v[8:9], v[16:17], v[18:19], v[26:27] op_sel_hi:[1,0,1]
	v_mov_b32_e32 v7, v21
	v_pk_add_f32 v[2:3], v[2:3], v[4:5]
	v_pk_fma_f32 v[4:5], v[16:17], v[18:19], v[26:27] neg_lo:[0,0,1] neg_hi:[0,0,1]
	s_delay_alu instid0(VALU_DEP_4) | instskip(NEXT) | instid1(VALU_DEP_3)
	v_mov_b32_e32 v5, v9
	v_pk_add_f32 v[2:3], v[2:3], v[6:7]
	s_delay_alu instid0(VALU_DEP_1)
	v_pk_add_f32 v[2:3], v[2:3], v[4:5]
	ds_store_b64 v176, v[2:3]
	s_wait_dscnt 0x0
	s_barrier_signal -1
	s_barrier_wait -1
	s_and_saveexec_b32 s64, s10
	s_cbranch_execz .LBB182_32
; %bb.31:                               ;   in Loop: Header=BB182_4 Depth=1
	ds_load_2addr_b64 v[2:5], v173 offset1:7
	ds_load_2addr_b64 v[6:9], v173 offset0:1 offset1:2
	ds_load_2addr_b64 v[14:17], v173 offset0:3 offset1:4
	;; [unrolled: 1-line block ×3, first 2 shown]
	s_wait_dscnt 0x2
	v_dual_add_f32 v2, v6, v2 :: v_dual_add_f32 v3, v7, v3
	s_delay_alu instid0(VALU_DEP_1) | instskip(SKIP_1) | instid1(VALU_DEP_1)
	v_dual_add_f32 v2, v8, v2 :: v_dual_add_f32 v3, v9, v3
	s_wait_dscnt 0x1
	v_dual_add_f32 v2, v2, v14 :: v_dual_add_f32 v3, v3, v15
	s_delay_alu instid0(VALU_DEP_1) | instskip(SKIP_1) | instid1(VALU_DEP_1)
	v_dual_add_f32 v2, v2, v16 :: v_dual_add_f32 v3, v3, v17
	s_wait_dscnt 0x0
	v_dual_add_f32 v2, v2, v18 :: v_dual_add_f32 v3, v3, v19
	s_delay_alu instid0(VALU_DEP_1) | instskip(NEXT) | instid1(VALU_DEP_1)
	v_dual_add_f32 v2, v2, v20 :: v_dual_add_f32 v3, v3, v21
	v_pk_add_f32 v[104:105], v[2:3], v[4:5]
.LBB182_32:                             ;   in Loop: Header=BB182_4 Depth=1
	s_or_b32 exec_lo, exec_lo, s64
	v_lshl_add_u64 v[4:5], s[50:51], 3, v[0:1]
	s_and_b32 vcc_lo, exec_lo, s35
	s_mov_b32 s64, -1
	s_barrier_signal -1
	s_delay_alu instid0(VALU_DEP_1)
	v_add_nc_u64_e32 v[2:3], 0x100, v[4:5]
	s_barrier_wait -1
                                        ; implicit-def: $vgpr0_vgpr1
	s_cbranch_vccz .LBB182_42
; %bb.33:                               ;   in Loop: Header=BB182_4 Depth=1
	v_lshl_add_u64 v[0:1], v[100:101], 3, v[4:5]
	v_dual_mov_b32 v8, 0 :: v_dual_mov_b32 v6, 0
	v_mov_b32_e32 v7, 0
	s_delay_alu instid0(VALU_DEP_3) | instskip(NEXT) | instid1(VALU_DEP_1)
	v_lshl_add_u64 v[0:1], s[36:37], 3, v[0:1]
	v_add_nc_u64_e32 v[0:1], -8, v[0:1]
	s_delay_alu instid0(VALU_DEP_1)
	v_dual_cndmask_b32 v1, v1, v3, s11 :: v_dual_cndmask_b32 v0, v0, v2, s11
	s_and_saveexec_b32 s64, s12
	s_cbranch_execz .LBB182_35
; %bb.34:                               ;   in Loop: Header=BB182_4 Depth=1
	flat_load_b64 v[6:7], v[0:1]
.LBB182_35:                             ;   in Loop: Header=BB182_4 Depth=1
	s_wait_xcnt 0x0
	s_or_b32 exec_lo, exec_lo, s64
	v_mov_b32_e32 v9, 0
	s_wait_loadcnt_dscnt 0x0
	ds_store_b64 v184, v[6:7]
	s_and_saveexec_b32 s64, s13
	s_cbranch_execz .LBB182_37
; %bb.36:                               ;   in Loop: Header=BB182_4 Depth=1
	v_add_nc_u64_e32 v[6:7], s[44:45], v[0:1]
	flat_load_b64 v[8:9], v[6:7]
.LBB182_37:                             ;   in Loop: Header=BB182_4 Depth=1
	s_wait_xcnt 0x0
	s_or_b32 exec_lo, exec_lo, s64
	v_dual_mov_b32 v6, 0 :: v_dual_mov_b32 v10, 0
	v_mov_b32_e32 v11, 0
	s_wait_loadcnt_dscnt 0x0
	ds_store_b64 v184, v[8:9] offset:2112
	s_and_saveexec_b32 s64, s14
	s_cbranch_execz .LBB182_39
; %bb.38:                               ;   in Loop: Header=BB182_4 Depth=1
	v_add_nc_u64_e32 v[8:9], s[46:47], v[0:1]
	flat_load_b64 v[10:11], v[8:9]
.LBB182_39:                             ;   in Loop: Header=BB182_4 Depth=1
	s_wait_xcnt 0x0
	s_or_b32 exec_lo, exec_lo, s64
	v_mov_b32_e32 v7, 0
	s_wait_loadcnt_dscnt 0x0
	ds_store_b64 v184, v[10:11] offset:4224
	s_and_saveexec_b32 s64, s15
	s_cbranch_execz .LBB182_41
; %bb.40:                               ;   in Loop: Header=BB182_4 Depth=1
	v_add_nc_u64_e32 v[6:7], s[48:49], v[0:1]
	flat_load_b64 v[6:7], v[6:7]
.LBB182_41:                             ;   in Loop: Header=BB182_4 Depth=1
	s_wait_xcnt 0x0
	s_or_b32 exec_lo, exec_lo, s64
	v_lshlrev_b32_e32 v58, 3, v56
	s_mov_b32 s64, 0
	s_wait_loadcnt_dscnt 0x0
	ds_store_b64 v184, v[6:7] offset:6336
	v_add_nc_u64_e32 v[0:1], v[0:1], v[58:59]
	s_delay_alu instid0(VALU_DEP_1) | instskip(NEXT) | instid1(VALU_DEP_1)
	v_lshl_add_u64 v[0:1], s[54:55], 3, v[0:1]
	v_add_nc_u64_e32 v[0:1], 0x108, v[0:1]
	s_delay_alu instid0(VALU_DEP_1)
	v_dual_cndmask_b32 v1, v1, v3, s11 :: v_dual_cndmask_b32 v0, v0, v2, s11
.LBB182_42:                             ;   in Loop: Header=BB182_4 Depth=1
	s_and_b32 vcc_lo, exec_lo, s64
	s_cbranch_vccz .LBB182_44
; %bb.43:                               ;   in Loop: Header=BB182_4 Depth=1
	v_add_nc_u64_e32 v[0:1], s[44:45], v[4:5]
	s_delay_alu instid0(VALU_DEP_1) | instskip(NEXT) | instid1(VALU_DEP_1)
	v_add_nc_u64_e32 v[6:7], s[44:45], v[0:1]
	v_add_nc_u64_e32 v[8:9], s[44:45], v[6:7]
	s_clause 0x3
	flat_load_b64 v[4:5], v[4:5] offset:256
	flat_load_b64 v[10:11], v[0:1] offset:256
	flat_load_b64 v[6:7], v[6:7] offset:256
	flat_load_b64 v[8:9], v[8:9] offset:256
	s_wait_xcnt 0x2
	v_mov_b64_e32 v[0:1], v[2:3]
	s_wait_loadcnt_dscnt 0x303
	ds_store_b64 v184, v[4:5]
	s_wait_loadcnt_dscnt 0x203
	ds_store_b64 v184, v[10:11] offset:2112
	s_wait_loadcnt_dscnt 0x103
	ds_store_b64 v184, v[6:7] offset:4224
	;; [unrolled: 2-line block ×3, first 2 shown]
.LBB182_44:                             ;   in Loop: Header=BB182_4 Depth=1
	s_wait_dscnt 0x0
	s_barrier_signal -1
	s_barrier_wait -1
	s_wait_xcnt 0x0
	s_and_saveexec_b32 s64, s6
	s_cbranch_execnz .LBB182_130
; %bb.45:                               ;   in Loop: Header=BB182_4 Depth=1
	s_or_b32 exec_lo, exec_lo, s64
	s_and_saveexec_b32 s64, s7
	s_cbranch_execnz .LBB182_131
.LBB182_46:                             ;   in Loop: Header=BB182_4 Depth=1
	s_or_b32 exec_lo, exec_lo, s64
	s_and_saveexec_b32 s64, s8
	s_cbranch_execnz .LBB182_132
.LBB182_47:                             ;   in Loop: Header=BB182_4 Depth=1
	s_or_b32 exec_lo, exec_lo, s64
	s_and_saveexec_b32 s64, s9
	s_cbranch_execz .LBB182_49
.LBB182_48:                             ;   in Loop: Header=BB182_4 Depth=1
	ds_load_b64 v[2:3], v186 offset:528
	s_wait_dscnt 0x0
	ds_store_b64 v174, v[2:3] offset:24
.LBB182_49:                             ;   in Loop: Header=BB182_4 Depth=1
	s_or_b32 exec_lo, exec_lo, s64
	s_wait_dscnt 0x0
	s_barrier_signal -1
	s_barrier_wait -1
	ds_load_b64 v[10:11], v185
	ds_load_b128 v[2:5], v175 offset:256
	ds_load_2addr_b64 v[6:9], v186 offset1:33
	ds_load_b128 v[14:17], v175 offset:272
	ds_load_b64 v[18:19], v186 offset:528
	s_wait_dscnt 0x0
	s_barrier_signal -1
	s_barrier_wait -1
	v_pk_mul_f32 v[20:21], v[2:3], v[10:11] op_sel:[1,1] op_sel_hi:[0,1]
	v_dual_mov_b32 v22, v5 :: v_dual_mov_b32 v23, v4
	v_pk_mul_f32 v[24:25], v[14:15], v[8:9] op_sel:[1,1] op_sel_hi:[0,1]
	v_dual_mov_b32 v28, v17 :: v_dual_mov_b32 v29, v16
	s_delay_alu instid0(VALU_DEP_4) | instskip(NEXT) | instid1(VALU_DEP_4)
	v_pk_fma_f32 v[26:27], v[2:3], v[10:11], v[20:21] op_sel_hi:[1,0,1]
	v_pk_mul_f32 v[22:23], v[22:23], v[6:7] op_sel:[0,1]
	v_pk_fma_f32 v[2:3], v[2:3], v[10:11], v[20:21] neg_lo:[0,0,1] neg_hi:[0,0,1]
	v_pk_fma_f32 v[20:21], v[14:15], v[8:9], v[24:25] op_sel_hi:[1,0,1]
	s_delay_alu instid0(VALU_DEP_3)
	v_pk_fma_f32 v[10:11], v[4:5], v[6:7], v[22:23] op_sel_hi:[1,0,1]
	v_mov_b32_e32 v3, v27
	v_pk_fma_f32 v[4:5], v[4:5], v[6:7], v[22:23] neg_lo:[0,0,1] neg_hi:[0,0,1]
	v_pk_mul_f32 v[26:27], v[28:29], v[18:19] op_sel:[0,1]
	v_pk_fma_f32 v[6:7], v[14:15], v[8:9], v[24:25] neg_lo:[0,0,1] neg_hi:[0,0,1]
	v_mov_b32_e32 v5, v11
	v_pk_add_f32 v[2:3], v[2:3], 0 op_sel_hi:[1,0]
	s_delay_alu instid0(VALU_DEP_4) | instskip(SKIP_1) | instid1(VALU_DEP_3)
	v_pk_fma_f32 v[8:9], v[16:17], v[18:19], v[26:27] op_sel_hi:[1,0,1]
	v_mov_b32_e32 v7, v21
	v_pk_add_f32 v[2:3], v[2:3], v[4:5]
	v_pk_fma_f32 v[4:5], v[16:17], v[18:19], v[26:27] neg_lo:[0,0,1] neg_hi:[0,0,1]
	s_delay_alu instid0(VALU_DEP_4) | instskip(NEXT) | instid1(VALU_DEP_3)
	v_mov_b32_e32 v5, v9
	v_pk_add_f32 v[2:3], v[2:3], v[6:7]
	s_delay_alu instid0(VALU_DEP_1)
	v_pk_add_f32 v[2:3], v[2:3], v[4:5]
	ds_store_b64 v176, v[2:3]
	s_wait_dscnt 0x0
	s_barrier_signal -1
	s_barrier_wait -1
	s_and_saveexec_b32 s64, s16
	s_cbranch_execz .LBB182_51
; %bb.50:                               ;   in Loop: Header=BB182_4 Depth=1
	ds_load_2addr_b64 v[2:5], v173 offset1:7
	ds_load_2addr_b64 v[6:9], v173 offset0:1 offset1:2
	ds_load_2addr_b64 v[14:17], v173 offset0:3 offset1:4
	;; [unrolled: 1-line block ×3, first 2 shown]
	s_wait_dscnt 0x2
	v_dual_add_f32 v2, v6, v2 :: v_dual_add_f32 v3, v7, v3
	s_delay_alu instid0(VALU_DEP_1) | instskip(SKIP_1) | instid1(VALU_DEP_1)
	v_dual_add_f32 v2, v8, v2 :: v_dual_add_f32 v3, v9, v3
	s_wait_dscnt 0x1
	v_dual_add_f32 v2, v2, v14 :: v_dual_add_f32 v3, v3, v15
	s_delay_alu instid0(VALU_DEP_1) | instskip(SKIP_1) | instid1(VALU_DEP_1)
	v_dual_add_f32 v2, v2, v16 :: v_dual_add_f32 v3, v3, v17
	s_wait_dscnt 0x0
	v_dual_add_f32 v2, v2, v18 :: v_dual_add_f32 v3, v3, v19
	s_delay_alu instid0(VALU_DEP_1) | instskip(NEXT) | instid1(VALU_DEP_1)
	v_pk_add_f32 v[2:3], v[2:3], v[20:21]
	v_pk_add_f32 v[104:105], v[2:3], v[4:5]
.LBB182_51:                             ;   in Loop: Header=BB182_4 Depth=1
	s_or_b32 exec_lo, exec_lo, s64
	v_add_nc_u64_e32 v[2:3], s[58:59], v[0:1]
	s_and_b32 vcc_lo, exec_lo, s35
	s_mov_b32 s64, -1
	s_barrier_signal -1
	s_barrier_wait -1
                                        ; implicit-def: $vgpr14_vgpr15
	s_cbranch_vccz .LBB182_61
; %bb.52:                               ;   in Loop: Header=BB182_4 Depth=1
	v_lshl_add_u64 v[4:5], v[100:101], 3, v[0:1]
	v_dual_mov_b32 v8, 0 :: v_dual_mov_b32 v6, 0
	v_mov_b32_e32 v7, 0
	s_delay_alu instid0(VALU_DEP_3) | instskip(NEXT) | instid1(VALU_DEP_1)
	v_lshl_add_u64 v[4:5], s[36:37], 3, v[4:5]
	v_add_nc_u64_e32 v[4:5], s[60:61], v[4:5]
	s_delay_alu instid0(VALU_DEP_1)
	v_dual_cndmask_b32 v5, v5, v3, s1 :: v_dual_cndmask_b32 v4, v4, v2, s1
	s_and_saveexec_b32 s64, s12
	s_cbranch_execz .LBB182_54
; %bb.53:                               ;   in Loop: Header=BB182_4 Depth=1
	flat_load_b64 v[6:7], v[4:5]
.LBB182_54:                             ;   in Loop: Header=BB182_4 Depth=1
	s_wait_xcnt 0x0
	s_or_b32 exec_lo, exec_lo, s64
	v_mov_b32_e32 v9, 0
	s_wait_loadcnt_dscnt 0x0
	ds_store_b64 v184, v[6:7]
	s_and_saveexec_b32 s64, s13
	s_cbranch_execz .LBB182_56
; %bb.55:                               ;   in Loop: Header=BB182_4 Depth=1
	v_add_nc_u64_e32 v[6:7], s[44:45], v[4:5]
	flat_load_b64 v[8:9], v[6:7]
.LBB182_56:                             ;   in Loop: Header=BB182_4 Depth=1
	s_wait_xcnt 0x0
	s_or_b32 exec_lo, exec_lo, s64
	v_dual_mov_b32 v6, 0 :: v_dual_mov_b32 v10, 0
	v_mov_b32_e32 v11, 0
	s_wait_loadcnt_dscnt 0x0
	ds_store_b64 v184, v[8:9] offset:2112
	s_and_saveexec_b32 s64, s14
	s_cbranch_execz .LBB182_58
; %bb.57:                               ;   in Loop: Header=BB182_4 Depth=1
	v_add_nc_u64_e32 v[8:9], s[46:47], v[4:5]
	flat_load_b64 v[10:11], v[8:9]
.LBB182_58:                             ;   in Loop: Header=BB182_4 Depth=1
	s_wait_xcnt 0x0
	s_or_b32 exec_lo, exec_lo, s64
	v_mov_b32_e32 v7, 0
	s_wait_loadcnt_dscnt 0x0
	ds_store_b64 v184, v[10:11] offset:4224
	s_and_saveexec_b32 s64, s15
	s_cbranch_execz .LBB182_60
; %bb.59:                               ;   in Loop: Header=BB182_4 Depth=1
	v_add_nc_u64_e32 v[6:7], s[48:49], v[4:5]
	flat_load_b64 v[6:7], v[6:7]
.LBB182_60:                             ;   in Loop: Header=BB182_4 Depth=1
	s_wait_xcnt 0x0
	s_or_b32 exec_lo, exec_lo, s64
	v_lshlrev_b32_e32 v58, 3, v56
	s_mov_b32 s64, 0
	s_wait_loadcnt_dscnt 0x0
	ds_store_b64 v184, v[6:7] offset:6336
	v_add_nc_u64_e32 v[4:5], v[4:5], v[58:59]
	s_delay_alu instid0(VALU_DEP_1) | instskip(NEXT) | instid1(VALU_DEP_1)
	v_lshl_add_u64 v[4:5], s[54:55], 3, v[4:5]
	v_add_nc_u64_e32 v[4:5], 8, v[4:5]
	s_delay_alu instid0(VALU_DEP_1)
	v_dual_cndmask_b32 v15, v5, v3, s1 :: v_dual_cndmask_b32 v14, v4, v2, s1
.LBB182_61:                             ;   in Loop: Header=BB182_4 Depth=1
	s_and_b32 vcc_lo, exec_lo, s64
	s_cbranch_vccz .LBB182_63
; %bb.62:                               ;   in Loop: Header=BB182_4 Depth=1
	v_add_nc_u64_e32 v[4:5], s[44:45], v[0:1]
	v_mov_b64_e32 v[14:15], v[2:3]
	s_delay_alu instid0(VALU_DEP_2) | instskip(NEXT) | instid1(VALU_DEP_1)
	v_add_nc_u64_e32 v[6:7], s[44:45], v[4:5]
	v_add_nc_u64_e32 v[8:9], s[44:45], v[6:7]
	s_clause 0x3
	flat_load_b64 v[0:1], v[0:1] offset:-256
	flat_load_b64 v[4:5], v[4:5] offset:-256
	;; [unrolled: 1-line block ×4, first 2 shown]
	s_wait_loadcnt_dscnt 0x303
	ds_store_b64 v184, v[0:1]
	s_wait_loadcnt_dscnt 0x203
	ds_store_b64 v184, v[4:5] offset:2112
	s_wait_loadcnt_dscnt 0x103
	ds_store_b64 v184, v[6:7] offset:4224
	;; [unrolled: 2-line block ×3, first 2 shown]
.LBB182_63:                             ;   in Loop: Header=BB182_4 Depth=1
	s_wait_xcnt 0x3
	v_dual_add_nc_u32 v0, v174, v177 :: v_dual_add_nc_u32 v1, v175, v177
	s_wait_dscnt 0x0
	s_barrier_signal -1
	s_barrier_wait -1
	s_wait_xcnt 0x2
	ds_load_b64 v[4:5], v0
	s_wait_xcnt 0x1
	ds_load_b64 v[6:7], v1
	ds_load_2addr_b64 v[20:23], v187 offset0:8 offset1:16
	ds_load_2addr_b64 v[24:27], v188 offset0:8 offset1:16
	ds_load_b64 v[28:29], v187 offset:192
	ds_load_b64 v[30:31], v188 offset:192
	ds_load_2addr_b64 v[0:3], v186 offset1:33
	ds_load_b64 v[18:19], v185
	ds_load_b64 v[16:17], v186 offset:528
	s_wait_dscnt 0x7
	s_wait_xcnt 0x0
	v_pk_mul_f32 v[8:9], v[6:7], v[4:5] op_sel:[1,1] op_sel_hi:[0,1]
	s_wait_dscnt 0x5
	v_pk_mul_f32 v[10:11], v[24:25], v[20:21] op_sel:[1,1] op_sel_hi:[0,1]
	v_pk_mul_f32 v[34:35], v[26:27], v[22:23] op_sel:[1,1] op_sel_hi:[0,1]
	s_delay_alu instid0(VALU_DEP_3) | instskip(SKIP_1) | instid1(VALU_DEP_4)
	v_pk_fma_f32 v[32:33], v[6:7], v[4:5], v[8:9] op_sel_hi:[1,0,1]
	v_pk_fma_f32 v[4:5], v[6:7], v[4:5], v[8:9] neg_lo:[0,0,1] neg_hi:[0,0,1]
	v_pk_fma_f32 v[36:37], v[24:25], v[20:21], v[10:11] op_sel_hi:[1,0,1]
	v_pk_fma_f32 v[20:21], v[24:25], v[20:21], v[10:11] neg_lo:[0,0,1] neg_hi:[0,0,1]
	v_pk_fma_f32 v[24:25], v[26:27], v[22:23], v[34:35] op_sel_hi:[1,0,1]
	v_mov_b32_e32 v5, v33
	s_wait_dscnt 0x3
	v_pk_mul_f32 v[32:33], v[30:31], v[28:29] op_sel:[1,1] op_sel_hi:[0,1]
	v_mov_b32_e32 v21, v37
	v_pk_fma_f32 v[22:23], v[26:27], v[22:23], v[34:35] neg_lo:[0,0,1] neg_hi:[0,0,1]
	v_mov_b32_e32 v23, v25
	v_pk_add_f32 v[36:37], v[4:5], 0 op_sel_hi:[1,0]
	ds_load_b128 v[8:11], v175 offset:256
	ds_load_b128 v[4:7], v175 offset:272
	v_pk_fma_f32 v[24:25], v[30:31], v[28:29], v[32:33] op_sel_hi:[1,0,1]
	v_pk_fma_f32 v[26:27], v[30:31], v[28:29], v[32:33] neg_lo:[0,0,1] neg_hi:[0,0,1]
	s_wait_dscnt 0x0
	v_pk_add_f32 v[20:21], v[36:37], v[20:21]
	s_barrier_signal -1
	v_mov_b32_e32 v27, v25
	s_barrier_wait -1
	s_delay_alu instid0(VALU_DEP_2) | instskip(NEXT) | instid1(VALU_DEP_1)
	v_pk_add_f32 v[20:21], v[20:21], v[22:23]
	v_pk_add_f32 v[20:21], v[20:21], v[26:27]
	ds_store_b64 v176, v[20:21]
	s_wait_dscnt 0x0
	s_barrier_signal -1
	s_barrier_wait -1
	s_and_saveexec_b32 s64, s16
	s_cbranch_execz .LBB182_65
; %bb.64:                               ;   in Loop: Header=BB182_4 Depth=1
	ds_load_2addr_b64 v[20:23], v173 offset1:1
	ds_load_2addr_b64 v[24:27], v173 offset0:2 offset1:3
	ds_load_2addr_b64 v[28:31], v173 offset0:4 offset1:5
	s_wait_dscnt 0x2
	v_pk_add_f32 v[20:21], v[104:105], v[20:21]
	s_delay_alu instid0(VALU_DEP_1) | instskip(SKIP_1) | instid1(VALU_DEP_1)
	v_pk_add_f32 v[20:21], v[20:21], v[22:23]
	s_wait_dscnt 0x1
	v_pk_add_f32 v[24:25], v[20:21], v[24:25]
	ds_load_2addr_b64 v[20:23], v173 offset0:6 offset1:7
	v_pk_add_f32 v[24:25], v[24:25], v[26:27]
	s_wait_dscnt 0x1
	s_delay_alu instid0(VALU_DEP_1) | instskip(NEXT) | instid1(VALU_DEP_1)
	v_pk_add_f32 v[24:25], v[24:25], v[28:29]
	v_pk_add_f32 v[24:25], v[24:25], v[30:31]
	s_wait_dscnt 0x0
	s_delay_alu instid0(VALU_DEP_1) | instskip(NEXT) | instid1(VALU_DEP_1)
	v_pk_add_f32 v[20:21], v[24:25], v[20:21]
	v_pk_add_f32 v[104:105], v[20:21], v[22:23]
.LBB182_65:                             ;   in Loop: Header=BB182_4 Depth=1
	s_or_b32 exec_lo, exec_lo, s64
	v_pk_mul_f32 v[20:21], v[8:9], v[18:19] op_sel:[1,1] op_sel_hi:[0,1]
	v_dual_mov_b32 v22, v11 :: v_dual_mov_b32 v23, v10
	v_pk_mul_f32 v[24:25], v[4:5], v[2:3] op_sel:[1,1] op_sel_hi:[0,1]
	v_dual_mov_b32 v28, v7 :: v_dual_mov_b32 v29, v6
	s_delay_alu instid0(VALU_DEP_4) | instskip(NEXT) | instid1(VALU_DEP_4)
	v_pk_fma_f32 v[26:27], v[8:9], v[18:19], v[20:21] op_sel_hi:[1,0,1]
	v_pk_mul_f32 v[22:23], v[22:23], v[0:1] op_sel:[0,1]
	v_pk_fma_f32 v[8:9], v[8:9], v[18:19], v[20:21] neg_lo:[0,0,1] neg_hi:[0,0,1]
	v_pk_fma_f32 v[20:21], v[4:5], v[2:3], v[24:25] op_sel_hi:[1,0,1]
	v_pk_fma_f32 v[2:3], v[4:5], v[2:3], v[24:25] neg_lo:[0,0,1] neg_hi:[0,0,1]
	s_delay_alu instid0(VALU_DEP_4)
	v_pk_fma_f32 v[18:19], v[10:11], v[0:1], v[22:23] op_sel_hi:[1,0,1]
	v_mov_b32_e32 v9, v27
	v_pk_fma_f32 v[0:1], v[10:11], v[0:1], v[22:23] neg_lo:[0,0,1] neg_hi:[0,0,1]
	v_pk_mul_f32 v[26:27], v[28:29], v[16:17] op_sel:[0,1]
	s_barrier_signal -1
	v_mov_b32_e32 v1, v19
	v_pk_add_f32 v[8:9], v[8:9], 0 op_sel_hi:[1,0]
	s_barrier_wait -1
	v_pk_fma_f32 v[4:5], v[6:7], v[16:17], v[26:27] op_sel_hi:[1,0,1]
	v_mov_b32_e32 v3, v21
	v_pk_fma_f32 v[6:7], v[6:7], v[16:17], v[26:27] neg_lo:[0,0,1] neg_hi:[0,0,1]
	v_pk_add_f32 v[0:1], v[8:9], v[0:1]
	s_delay_alu instid0(VALU_DEP_4) | instskip(NEXT) | instid1(VALU_DEP_2)
	v_mov_b32_e32 v7, v5
	v_pk_add_f32 v[0:1], v[0:1], v[2:3]
	s_delay_alu instid0(VALU_DEP_1)
	v_pk_add_f32 v[0:1], v[0:1], v[6:7]
	ds_store_b64 v176, v[0:1]
	s_wait_dscnt 0x0
	s_barrier_signal -1
	s_barrier_wait -1
	s_and_saveexec_b32 s64, s10
	s_cbranch_execz .LBB182_67
; %bb.66:                               ;   in Loop: Header=BB182_4 Depth=1
	ds_load_2addr_b64 v[0:3], v173 offset1:1
	ds_load_2addr_b64 v[4:7], v173 offset0:2 offset1:3
	ds_load_2addr_b64 v[8:11], v173 offset0:4 offset1:5
	s_wait_dscnt 0x2
	v_pk_add_f32 v[0:1], v[104:105], v[0:1]
	s_delay_alu instid0(VALU_DEP_1) | instskip(SKIP_1) | instid1(VALU_DEP_1)
	v_pk_add_f32 v[0:1], v[0:1], v[2:3]
	s_wait_dscnt 0x1
	v_pk_add_f32 v[4:5], v[0:1], v[4:5]
	ds_load_2addr_b64 v[0:3], v173 offset0:6 offset1:7
	v_pk_add_f32 v[4:5], v[4:5], v[6:7]
	s_wait_dscnt 0x1
	s_delay_alu instid0(VALU_DEP_1) | instskip(NEXT) | instid1(VALU_DEP_1)
	v_pk_add_f32 v[4:5], v[4:5], v[8:9]
	v_pk_add_f32 v[4:5], v[4:5], v[10:11]
	s_wait_dscnt 0x0
	s_delay_alu instid0(VALU_DEP_1) | instskip(NEXT) | instid1(VALU_DEP_1)
	v_pk_add_f32 v[0:1], v[4:5], v[0:1]
	v_pk_add_f32 v[104:105], v[0:1], v[2:3]
.LBB182_67:                             ;   in Loop: Header=BB182_4 Depth=1
	s_or_b32 exec_lo, exec_lo, s64
	s_mul_u64 s[64:65], s[38:39], s[18:19]
	s_and_not1_b32 vcc_lo, exec_lo, s70
	s_lshl_b64 s[64:65], s[64:65], 3
	s_delay_alu instid0(SALU_CYCLE_1)
	s_add_nc_u64 s[64:65], s[40:41], s[64:65]
	s_barrier_signal -1
	s_barrier_wait -1
	s_cbranch_vccnz .LBB182_125
; %bb.68:                               ;   in Loop: Header=BB182_4 Depth=1
	v_add_nc_u64_e32 v[106:107], v[14:15], v[66:67]
	v_add_nc_u64_e32 v[108:109], v[14:15], v[68:69]
	;; [unrolled: 1-line block ×16, first 2 shown]
	v_lshl_add_u64 v[138:139], s[52:53], 3, v[12:13]
	s_mov_b32 s66, s73
	s_mov_b32 s75, s30
	s_branch .LBB182_70
.LBB182_69:                             ;   in Loop: Header=BB182_70 Depth=2
	s_wait_xcnt 0x0
	s_or_b32 exec_lo, exec_lo, s67
	v_dual_mul_f32 v22, v5, v143 :: v_dual_mul_f32 v5, v5, v142
	v_dual_mov_b32 v20, v161 :: v_dual_mov_b32 v21, v161
	v_mov_b32_e32 v161, v160
	s_delay_alu instid0(VALU_DEP_3) | instskip(NEXT) | instid1(VALU_DEP_4)
	v_dual_fma_f32 v22, v4, v142, -v22 :: v_dual_mul_f32 v23, v7, v141
	v_dual_fmac_f32 v5, v4, v143 :: v_dual_mul_f32 v4, v7, v140
	v_dual_mov_b32 v16, v159 :: v_dual_mov_b32 v17, v159
	s_delay_alu instid0(VALU_DEP_3) | instskip(SKIP_1) | instid1(VALU_DEP_4)
	v_dual_add_f32 v7, v104, v22 :: v_dual_fma_f32 v22, v6, v140, -v23
	v_mul_f32_e32 v23, v1, v145
	v_add_f32_e32 v5, v105, v5
	v_dual_fmac_f32 v4, v6, v141 :: v_dual_mul_f32 v1, v1, v144
	s_delay_alu instid0(VALU_DEP_3) | instskip(NEXT) | instid1(VALU_DEP_2)
	v_dual_add_f32 v6, v7, v22 :: v_dual_fma_f32 v7, v0, v144, -v23
	v_dual_mul_f32 v22, v3, v147 :: v_dual_add_f32 v4, v5, v4
	s_delay_alu instid0(VALU_DEP_3) | instskip(NEXT) | instid1(VALU_DEP_3)
	v_dual_fmac_f32 v1, v0, v145 :: v_dual_mul_f32 v0, v3, v146
	v_add_f32_e32 v3, v6, v7
	s_delay_alu instid0(VALU_DEP_3) | instskip(NEXT) | instid1(VALU_DEP_3)
	v_dual_fma_f32 v5, v2, v146, -v22 :: v_dual_mul_f32 v6, v13, v151
	v_dual_add_f32 v1, v4, v1 :: v_dual_fmac_f32 v0, v2, v147
	s_delay_alu instid0(VALU_DEP_2) | instskip(NEXT) | instid1(VALU_DEP_3)
	v_dual_mul_f32 v2, v13, v150 :: v_dual_add_f32 v3, v3, v5
	v_dual_fma_f32 v4, v12, v150, -v6 :: v_dual_mul_f32 v5, v15, v149
	s_delay_alu instid0(VALU_DEP_2) | instskip(SKIP_1) | instid1(VALU_DEP_3)
	v_dual_add_f32 v0, v1, v0 :: v_dual_fmac_f32 v2, v12, v151
	v_mul_f32_e32 v6, v15, v148
	v_add_f32_e32 v3, v3, v4
	s_delay_alu instid0(VALU_DEP_4) | instskip(NEXT) | instid1(VALU_DEP_3)
	v_dual_fma_f32 v4, v14, v148, -v5 :: v_dual_mul_f32 v5, v9, v153
	v_dual_add_f32 v7, v0, v2 :: v_dual_fmac_f32 v6, v14, v149
	v_dual_mul_f32 v1, v9, v152 :: v_dual_mov_b32 v159, v158
	s_delay_alu instid0(VALU_DEP_3) | instskip(NEXT) | instid1(VALU_DEP_2)
	v_dual_mov_b32 v18, v157 :: v_dual_fma_f32 v0, v8, v152, -v5
	v_dual_add_f32 v2, v3, v4 :: v_dual_fmac_f32 v1, v8, v153
	v_dual_mul_f32 v4, v11, v155 :: v_dual_mul_f32 v5, v11, v154
	v_dual_add_f32 v3, v7, v6 :: v_dual_mov_b32 v19, v157
	v_dual_mov_b32 v157, v156 :: v_dual_mov_b32 v6, v163
	s_delay_alu instid0(VALU_DEP_3) | instskip(SKIP_4) | instid1(VALU_DEP_4)
	v_fma_f32 v4, v10, v154, -v4
	v_pk_mul_f32 v[8:9], v[28:29], v[16:17]
	v_fmac_f32_e32 v5, v10, v155
	v_pk_add_f32 v[0:1], v[2:3], v[0:1]
	v_dual_mov_b32 v7, v163 :: v_dual_mov_b32 v163, v162
	v_pk_fma_f32 v[2:3], v[28:29], v[158:159], v[8:9] op_sel:[0,0,1] op_sel_hi:[1,1,0]
	v_pk_fma_f32 v[8:9], v[28:29], v[158:159], v[8:9] op_sel:[0,0,1] op_sel_hi:[1,1,0] neg_lo:[0,0,1] neg_hi:[0,0,1]
	s_delay_alu instid0(VALU_DEP_4) | instskip(SKIP_1) | instid1(VALU_DEP_4)
	v_pk_add_f32 v[0:1], v[0:1], v[4:5]
	v_pk_mul_f32 v[4:5], v[30:31], v[18:19]
	v_dual_mov_b32 v2, v167 :: v_dual_mov_b32 v9, v3
	v_dual_mov_b32 v3, v167 :: v_dual_mov_b32 v167, v166
	s_delay_alu instid0(VALU_DEP_3)
	v_pk_fma_f32 v[10:11], v[30:31], v[156:157], v[4:5] op_sel:[0,0,1] op_sel_hi:[1,1,0]
	v_pk_fma_f32 v[4:5], v[30:31], v[156:157], v[4:5] op_sel:[0,0,1] op_sel_hi:[1,1,0] neg_lo:[0,0,1] neg_hi:[0,0,1]
	v_mov_b32_e32 v10, v165
	v_pk_add_f32 v[0:1], v[0:1], v[8:9]
	v_pk_mul_f32 v[8:9], v[24:25], v[20:21]
	v_dual_mov_b32 v5, v11 :: v_dual_mov_b32 v11, v165
	v_mov_b32_e32 v165, v164
	v_pk_mul_f32 v[2:3], v[40:41], v[2:3]
	s_delay_alu instid0(VALU_DEP_4) | instskip(NEXT) | instid1(VALU_DEP_4)
	v_pk_fma_f32 v[12:13], v[24:25], v[160:161], v[8:9] op_sel:[0,0,1] op_sel_hi:[1,1,0]
	v_pk_add_f32 v[0:1], v[0:1], v[4:5]
	v_pk_mul_f32 v[4:5], v[26:27], v[6:7]
	v_pk_fma_f32 v[6:7], v[24:25], v[160:161], v[8:9] op_sel:[0,0,1] op_sel_hi:[1,1,0] neg_lo:[0,0,1] neg_hi:[0,0,1]
	s_delay_alu instid0(VALU_DEP_4) | instskip(SKIP_1) | instid1(VALU_DEP_4)
	v_dual_mov_b32 v12, v169 :: v_dual_mov_b32 v7, v13
	v_dual_mov_b32 v13, v169 :: v_dual_mov_b32 v169, v168
	v_pk_fma_f32 v[8:9], v[26:27], v[162:163], v[4:5] op_sel:[0,0,1] op_sel_hi:[1,1,0]
	v_pk_fma_f32 v[4:5], v[26:27], v[162:163], v[4:5] op_sel:[0,0,1] op_sel_hi:[1,1,0] neg_lo:[0,0,1] neg_hi:[0,0,1]
	v_mov_b32_e32 v8, v171
	v_pk_add_f32 v[0:1], v[0:1], v[6:7]
	v_pk_mul_f32 v[6:7], v[42:43], v[10:11]
	v_mov_b32_e32 v5, v9
	v_pk_fma_f32 v[10:11], v[40:41], v[166:167], v[2:3] op_sel:[0,0,1] op_sel_hi:[1,1,0]
	v_pk_fma_f32 v[2:3], v[40:41], v[166:167], v[2:3] op_sel:[0,0,1] op_sel_hi:[1,1,0] neg_lo:[0,0,1] neg_hi:[0,0,1]
	v_dual_mov_b32 v9, v171 :: v_dual_mov_b32 v171, v170
	s_delay_alu instid0(VALU_DEP_4)
	v_pk_add_f32 v[0:1], v[0:1], v[4:5]
	v_pk_fma_f32 v[4:5], v[42:43], v[164:165], v[6:7] op_sel:[0,0,1] op_sel_hi:[1,1,0]
	v_pk_mul_f32 v[12:13], v[44:45], v[12:13]
	v_mov_b32_e32 v3, v11
	v_pk_fma_f32 v[6:7], v[42:43], v[164:165], v[6:7] op_sel:[0,0,1] op_sel_hi:[1,1,0] neg_lo:[0,0,1] neg_hi:[0,0,1]
	v_pk_mul_f32 v[8:9], v[46:47], v[8:9]
	v_mov_b32_e32 v7, v5
	v_pk_fma_f32 v[4:5], v[44:45], v[168:169], v[12:13] op_sel:[0,0,1] op_sel_hi:[1,1,0]
	v_pk_add_f32 v[0:1], v[0:1], v[2:3]
	v_pk_fma_f32 v[2:3], v[44:45], v[168:169], v[12:13] op_sel:[0,0,1] op_sel_hi:[1,1,0] neg_lo:[0,0,1] neg_hi:[0,0,1]
	v_add_nc_u64_e32 v[106:107], s[56:57], v[106:107]
	v_add_nc_u64_e32 v[108:109], s[56:57], v[108:109]
	v_mov_b32_e32 v3, v5
	v_pk_fma_f32 v[4:5], v[46:47], v[170:171], v[8:9] op_sel:[0,0,1] op_sel_hi:[1,1,0]
	v_pk_add_f32 v[0:1], v[0:1], v[6:7]
	v_pk_fma_f32 v[6:7], v[46:47], v[170:171], v[8:9] op_sel:[0,0,1] op_sel_hi:[1,1,0] neg_lo:[0,0,1] neg_hi:[0,0,1]
	v_add_nc_u64_e32 v[110:111], s[56:57], v[110:111]
	v_add_nc_u64_e32 v[112:113], s[56:57], v[112:113]
	v_mov_b32_e32 v7, v5
	v_pk_add_f32 v[0:1], v[0:1], v[2:3]
	v_add_nc_u64_e32 v[114:115], s[56:57], v[114:115]
	v_add_nc_u64_e32 v[116:117], s[56:57], v[116:117]
	;; [unrolled: 1-line block ×12, first 2 shown]
	v_pk_add_f32 v[104:105], v[0:1], v[6:7]
	s_add_co_i32 s67, s75, 1
	s_add_co_i32 s75, s75, 2
	;; [unrolled: 1-line block ×3, first 2 shown]
	s_cmp_ge_u32 s75, s34
	s_mov_b32 s75, s67
	s_wait_storecnt 0x0
	s_barrier_signal -1
	s_barrier_wait -1
	s_cbranch_scc1 .LBB182_125
.LBB182_70:                             ;   Parent Loop BB182_4 Depth=1
                                        ; =>  This Inner Loop Header: Depth=2
	s_cmp_eq_u32 s71, s75
	s_cselect_b32 s76, s69, 0
	s_and_saveexec_b32 s77, s0
	s_cbranch_execz .LBB182_75
; %bb.71:                               ;   in Loop: Header=BB182_70 Depth=2
	v_cmp_le_i32_e32 vcc_lo, s76, v172
	s_cmp_lg_u32 s76, 0
	s_cselect_b32 s67, -1, 0
	s_delay_alu instid0(SALU_CYCLE_1) | instskip(NEXT) | instid1(SALU_CYCLE_1)
	s_and_b32 s67, s67, vcc_lo
	s_and_saveexec_b32 s78, s67
	s_delay_alu instid0(SALU_CYCLE_1)
	s_xor_b32 s67, exec_lo, s78
; %bb.72:                               ;   in Loop: Header=BB182_70 Depth=2
	ds_store_b64 v191, v[102:103]
; %bb.73:                               ;   in Loop: Header=BB182_70 Depth=2
	s_and_not1_saveexec_b32 s67, s67
	s_cbranch_execz .LBB182_75
; %bb.74:                               ;   in Loop: Header=BB182_70 Depth=2
	s_ashr_i32 s67, s66, 31
	s_delay_alu instid0(SALU_CYCLE_1) | instskip(NEXT) | instid1(SALU_CYCLE_1)
	s_mul_u64 s[78:79], s[28:29], s[66:67]
	v_lshl_add_u64 v[0:1], s[78:79], 3, v[138:139]
	flat_load_b64 v[0:1], v[0:1]
	s_wait_loadcnt_dscnt 0x0
	ds_store_b64 v191, v[0:1]
.LBB182_75:                             ;   in Loop: Header=BB182_70 Depth=2
	s_wait_xcnt 0x0
	s_or_b32 exec_lo, exec_lo, s77
	s_cmp_eq_u32 s76, 0
	v_add_nc_u64_e32 v[0:1], v[110:111], v[60:61]
	s_cselect_b32 s67, -1, 0
	s_cmp_lg_u32 s76, 0
	s_wait_dscnt 0x0
	s_cselect_b32 s77, -1, 0
	s_barrier_signal -1
	s_and_b32 vcc_lo, exec_lo, s77
	s_barrier_wait -1
	s_cbranch_vccz .LBB182_83
; %bb.76:                               ;   in Loop: Header=BB182_70 Depth=2
	v_mov_b64_e32 v[140:141], 0
	v_mov_b64_e32 v[142:143], 0
	s_mov_b32 s78, exec_lo
	v_cmpx_gt_i32_e64 s76, v178
	s_cbranch_execz .LBB182_78
; %bb.77:                               ;   in Loop: Header=BB182_70 Depth=2
	flat_load_b64 v[142:143], v[0:1]
.LBB182_78:                             ;   in Loop: Header=BB182_70 Depth=2
	s_wait_xcnt 0x0
	s_or_b32 exec_lo, exec_lo, s78
	s_delay_alu instid0(SALU_CYCLE_1)
	s_mov_b32 s78, exec_lo
	v_cmpx_gt_i32_e64 s76, v193
	s_cbranch_execz .LBB182_80
; %bb.79:                               ;   in Loop: Header=BB182_70 Depth=2
	v_add_nc_u64_e32 v[2:3], v[108:109], v[60:61]
	flat_load_b64 v[140:141], v[2:3]
.LBB182_80:                             ;   in Loop: Header=BB182_70 Depth=2
	s_wait_xcnt 0x0
	s_or_b32 exec_lo, exec_lo, s78
	v_mov_b64_e32 v[144:145], 0
	s_mov_b32 s78, exec_lo
	v_cmpx_gt_i32_e64 s76, v194
	s_cbranch_execz .LBB182_82
; %bb.81:                               ;   in Loop: Header=BB182_70 Depth=2
	v_add_nc_u64_e32 v[2:3], v[106:107], v[60:61]
	flat_load_b64 v[144:145], v[2:3]
.LBB182_82:                             ;   in Loop: Header=BB182_70 Depth=2
	s_wait_xcnt 0x0
	s_or_b32 exec_lo, exec_lo, s78
	v_cmp_gt_i32_e64 s78, s76, v195
	s_branch .LBB182_85
.LBB182_83:                             ;   in Loop: Header=BB182_70 Depth=2
	s_mov_b32 s78, 0
                                        ; implicit-def: $vgpr144_vgpr145
                                        ; implicit-def: $vgpr140_vgpr141
                                        ; implicit-def: $vgpr142_vgpr143
	s_cbranch_execz .LBB182_85
; %bb.84:                               ;   in Loop: Header=BB182_70 Depth=2
	v_add_nc_u64_e32 v[2:3], v[108:109], v[60:61]
	v_add_nc_u64_e32 v[4:5], v[106:107], v[60:61]
	s_or_b32 s78, s78, exec_lo
	s_wait_loadcnt_dscnt 0x0
	flat_load_b64 v[142:143], v[0:1]
	flat_load_b64 v[140:141], v[2:3]
	;; [unrolled: 1-line block ×3, first 2 shown]
.LBB182_85:                             ;   in Loop: Header=BB182_70 Depth=2
	v_mov_b64_e32 v[146:147], 0
	s_wait_xcnt 0x0
	s_delay_alu instid0(VALU_DEP_2)
	s_and_saveexec_b32 s79, s78
	s_cbranch_execz .LBB182_87
; %bb.86:                               ;   in Loop: Header=BB182_70 Depth=2
	v_add_nc_u64_e32 v[0:1], v[112:113], v[60:61]
	flat_load_b64 v[146:147], v[0:1]
.LBB182_87:                             ;   in Loop: Header=BB182_70 Depth=2
	s_wait_xcnt 0x0
	s_or_b32 exec_lo, exec_lo, s79
	ds_load_b64 v[0:1], v190
	v_cndmask_b32_e64 v40, 0, 1, s77
	s_and_not1_b32 vcc_lo, exec_lo, s77
	s_wait_loadcnt_dscnt 0x0
	v_pk_mul_f32 v[2:3], v[0:1], v[142:143] op_sel:[1,1] op_sel_hi:[0,1]
	v_pk_mul_f32 v[4:5], v[0:1], v[140:141] op_sel:[1,1] op_sel_hi:[0,1]
	;; [unrolled: 1-line block ×4, first 2 shown]
	s_delay_alu instid0(VALU_DEP_4)
	v_pk_fma_f32 v[10:11], v[0:1], v[142:143], v[2:3] neg_lo:[0,0,1] neg_hi:[0,0,1]
	v_pk_fma_f32 v[2:3], v[0:1], v[142:143], v[2:3] op_sel_hi:[1,0,1]
	v_pk_fma_f32 v[12:13], v[0:1], v[140:141], v[4:5] neg_lo:[0,0,1] neg_hi:[0,0,1]
	v_pk_fma_f32 v[4:5], v[0:1], v[140:141], v[4:5] op_sel_hi:[1,0,1]
	;; [unrolled: 2-line block ×3, first 2 shown]
	v_pk_fma_f32 v[16:17], v[0:1], v[146:147], v[8:9] op_sel_hi:[1,0,1]
	v_pk_fma_f32 v[8:9], v[0:1], v[146:147], v[8:9] neg_lo:[0,0,1] neg_hi:[0,0,1]
	v_dual_mov_b32 v11, v3 :: v_dual_mov_b32 v13, v5
	s_delay_alu instid0(VALU_DEP_3)
	v_dual_mov_b32 v15, v7 :: v_dual_mov_b32 v9, v17
	ds_load_b128 v[4:7], v192
	ds_load_b128 v[0:3], v192 offset:16
	ds_store_2addr_b64 v182, v[10:11], v[12:13] offset1:67
	ds_store_2addr_b64 v182, v[14:15], v[8:9] offset0:134 offset1:201
	s_wait_dscnt 0x0
	s_barrier_signal -1
	s_barrier_wait -1
	ds_load_2addr_b64 v[20:23], v179 offset1:1
	ds_load_2addr_b64 v[16:19], v179 offset0:2 offset1:3
	v_add_nc_u64_e32 v[8:9], v[118:119], v[60:61]
	s_wait_dscnt 0x0
	s_barrier_signal -1
	s_barrier_wait -1
	s_cbranch_vccnz .LBB182_95
; %bb.88:                               ;   in Loop: Header=BB182_70 Depth=2
	v_mov_b64_e32 v[148:149], 0
	v_mov_b64_e32 v[150:151], 0
	s_mov_b32 s77, exec_lo
	v_cmpx_gt_i32_e64 s76, v196
	s_cbranch_execz .LBB182_90
; %bb.89:                               ;   in Loop: Header=BB182_70 Depth=2
	flat_load_b64 v[150:151], v[8:9]
.LBB182_90:                             ;   in Loop: Header=BB182_70 Depth=2
	s_wait_xcnt 0x0
	s_or_b32 exec_lo, exec_lo, s77
	s_delay_alu instid0(SALU_CYCLE_1)
	s_mov_b32 s77, exec_lo
	v_cmpx_gt_i32_e64 s76, v197
	s_cbranch_execz .LBB182_92
; %bb.91:                               ;   in Loop: Header=BB182_70 Depth=2
	v_add_nc_u64_e32 v[10:11], v[116:117], v[60:61]
	flat_load_b64 v[148:149], v[10:11]
.LBB182_92:                             ;   in Loop: Header=BB182_70 Depth=2
	s_wait_xcnt 0x0
	s_or_b32 exec_lo, exec_lo, s77
	v_mov_b64_e32 v[152:153], 0
	s_mov_b32 s77, exec_lo
	v_cmpx_gt_i32_e64 s76, v198
	s_cbranch_execz .LBB182_94
; %bb.93:                               ;   in Loop: Header=BB182_70 Depth=2
	v_add_nc_u64_e32 v[10:11], v[114:115], v[60:61]
	flat_load_b64 v[152:153], v[10:11]
.LBB182_94:                             ;   in Loop: Header=BB182_70 Depth=2
	s_wait_xcnt 0x0
	s_or_b32 exec_lo, exec_lo, s77
	v_cmp_gt_i32_e64 s77, s76, v199
	s_branch .LBB182_97
.LBB182_95:                             ;   in Loop: Header=BB182_70 Depth=2
	s_mov_b32 s77, 0
                                        ; implicit-def: $vgpr152_vgpr153
                                        ; implicit-def: $vgpr148_vgpr149
                                        ; implicit-def: $vgpr150_vgpr151
	s_cbranch_execz .LBB182_97
; %bb.96:                               ;   in Loop: Header=BB182_70 Depth=2
	v_add_nc_u64_e32 v[10:11], v[116:117], v[60:61]
	v_add_nc_u64_e32 v[12:13], v[114:115], v[60:61]
	s_or_b32 s77, s77, exec_lo
	s_wait_loadcnt_dscnt 0x0
	flat_load_b64 v[150:151], v[8:9]
	flat_load_b64 v[148:149], v[10:11]
	;; [unrolled: 1-line block ×3, first 2 shown]
.LBB182_97:                             ;   in Loop: Header=BB182_70 Depth=2
	v_mov_b64_e32 v[154:155], 0
	s_wait_xcnt 0x0
	s_delay_alu instid0(VALU_DEP_2)
	s_and_saveexec_b32 s78, s77
	s_cbranch_execz .LBB182_99
; %bb.98:                               ;   in Loop: Header=BB182_70 Depth=2
	v_add_nc_u64_e32 v[8:9], v[120:121], v[60:61]
	flat_load_b64 v[154:155], v[8:9]
.LBB182_99:                             ;   in Loop: Header=BB182_70 Depth=2
	s_wait_xcnt 0x0
	s_or_b32 exec_lo, exec_lo, s78
	ds_load_b64 v[8:9], v190
	v_cmp_ne_u32_e32 vcc_lo, 1, v40
	s_and_b32 vcc_lo, exec_lo, vcc_lo
	s_wait_loadcnt_dscnt 0x0
	v_pk_mul_f32 v[10:11], v[8:9], v[150:151] op_sel:[1,1] op_sel_hi:[0,1]
	v_pk_mul_f32 v[12:13], v[8:9], v[148:149] op_sel:[1,1] op_sel_hi:[0,1]
	;; [unrolled: 1-line block ×4, first 2 shown]
	s_delay_alu instid0(VALU_DEP_4)
	v_pk_fma_f32 v[26:27], v[8:9], v[150:151], v[10:11] neg_lo:[0,0,1] neg_hi:[0,0,1]
	v_pk_fma_f32 v[10:11], v[8:9], v[150:151], v[10:11] op_sel_hi:[1,0,1]
	v_pk_fma_f32 v[28:29], v[8:9], v[148:149], v[12:13] neg_lo:[0,0,1] neg_hi:[0,0,1]
	v_pk_fma_f32 v[12:13], v[8:9], v[148:149], v[12:13] op_sel_hi:[1,0,1]
	;; [unrolled: 2-line block ×3, first 2 shown]
	v_pk_fma_f32 v[32:33], v[8:9], v[154:155], v[24:25] op_sel_hi:[1,0,1]
	v_pk_fma_f32 v[24:25], v[8:9], v[154:155], v[24:25] neg_lo:[0,0,1] neg_hi:[0,0,1]
	v_dual_mov_b32 v27, v11 :: v_dual_mov_b32 v29, v13
	s_delay_alu instid0(VALU_DEP_3)
	v_dual_mov_b32 v31, v15 :: v_dual_mov_b32 v25, v33
	ds_load_b128 v[12:15], v192 offset:128
	ds_load_b128 v[8:11], v192 offset:144
	ds_store_2addr_b64 v182, v[26:27], v[28:29] offset1:67
	ds_store_2addr_b64 v182, v[30:31], v[24:25] offset0:134 offset1:201
	s_wait_dscnt 0x0
	s_barrier_signal -1
	s_barrier_wait -1
	ds_load_2addr_b64 v[36:39], v179 offset1:1
	ds_load_2addr_b64 v[32:35], v179 offset0:2 offset1:3
	v_add_nc_u64_e32 v[24:25], v[126:127], v[60:61]
	s_wait_dscnt 0x0
	s_barrier_signal -1
	s_barrier_wait -1
	s_cbranch_vccnz .LBB182_107
; %bb.100:                              ;   in Loop: Header=BB182_70 Depth=2
	v_mov_b64_e32 v[156:157], 0
	v_mov_b64_e32 v[158:159], 0
	s_mov_b32 s77, exec_lo
	v_cmpx_gt_i32_e64 s76, v200
	s_cbranch_execz .LBB182_102
; %bb.101:                              ;   in Loop: Header=BB182_70 Depth=2
	flat_load_b64 v[158:159], v[24:25]
.LBB182_102:                            ;   in Loop: Header=BB182_70 Depth=2
	s_wait_xcnt 0x0
	s_or_b32 exec_lo, exec_lo, s77
	s_delay_alu instid0(SALU_CYCLE_1)
	s_mov_b32 s77, exec_lo
	v_cmpx_gt_i32_e64 s76, v201
	s_cbranch_execz .LBB182_104
; %bb.103:                              ;   in Loop: Header=BB182_70 Depth=2
	v_add_nc_u64_e32 v[26:27], v[124:125], v[60:61]
	flat_load_b64 v[156:157], v[26:27]
.LBB182_104:                            ;   in Loop: Header=BB182_70 Depth=2
	s_wait_xcnt 0x0
	s_or_b32 exec_lo, exec_lo, s77
	v_mov_b64_e32 v[160:161], 0
	s_mov_b32 s77, exec_lo
	v_cmpx_gt_i32_e64 s76, v202
	s_cbranch_execz .LBB182_106
; %bb.105:                              ;   in Loop: Header=BB182_70 Depth=2
	v_add_nc_u64_e32 v[26:27], v[122:123], v[60:61]
	flat_load_b64 v[160:161], v[26:27]
.LBB182_106:                            ;   in Loop: Header=BB182_70 Depth=2
	s_wait_xcnt 0x0
	s_or_b32 exec_lo, exec_lo, s77
	v_cmp_gt_i32_e64 s77, s76, v203
	s_branch .LBB182_109
.LBB182_107:                            ;   in Loop: Header=BB182_70 Depth=2
	s_mov_b32 s77, 0
                                        ; implicit-def: $vgpr160_vgpr161
                                        ; implicit-def: $vgpr156_vgpr157
                                        ; implicit-def: $vgpr158_vgpr159
	s_cbranch_execz .LBB182_109
; %bb.108:                              ;   in Loop: Header=BB182_70 Depth=2
	v_add_nc_u64_e32 v[26:27], v[124:125], v[60:61]
	v_add_nc_u64_e32 v[28:29], v[122:123], v[60:61]
	s_or_b32 s77, s77, exec_lo
	s_wait_loadcnt_dscnt 0x0
	flat_load_b64 v[158:159], v[24:25]
	flat_load_b64 v[156:157], v[26:27]
	;; [unrolled: 1-line block ×3, first 2 shown]
.LBB182_109:                            ;   in Loop: Header=BB182_70 Depth=2
	v_mov_b64_e32 v[162:163], 0
	s_wait_xcnt 0x0
	s_delay_alu instid0(VALU_DEP_2)
	s_and_saveexec_b32 s78, s77
	s_cbranch_execz .LBB182_111
; %bb.110:                              ;   in Loop: Header=BB182_70 Depth=2
	v_add_nc_u64_e32 v[24:25], v[128:129], v[60:61]
	flat_load_b64 v[162:163], v[24:25]
.LBB182_111:                            ;   in Loop: Header=BB182_70 Depth=2
	s_wait_xcnt 0x0
	s_or_b32 exec_lo, exec_lo, s78
	ds_load_b64 v[24:25], v190
	v_cmp_ne_u32_e32 vcc_lo, 1, v40
	v_add_nc_u64_e32 v[40:41], v[134:135], v[60:61]
	s_and_b32 vcc_lo, exec_lo, vcc_lo
	s_wait_loadcnt_dscnt 0x0
	v_pk_mul_f32 v[26:27], v[24:25], v[158:159] op_sel:[0,1]
	v_pk_mul_f32 v[28:29], v[24:25], v[156:157] op_sel:[0,1]
	;; [unrolled: 1-line block ×4, first 2 shown]
	s_delay_alu instid0(VALU_DEP_4)
	v_pk_fma_f32 v[44:45], v[24:25], v[158:159], v[26:27] op_sel:[0,0,1] op_sel_hi:[1,1,0] neg_lo:[0,0,1] neg_hi:[0,0,1]
	v_pk_fma_f32 v[26:27], v[24:25], v[158:159], v[26:27] op_sel:[0,0,1] op_sel_hi:[1,0,0]
	v_pk_fma_f32 v[46:47], v[24:25], v[156:157], v[28:29] op_sel:[0,0,1] op_sel_hi:[1,1,0] neg_lo:[0,0,1] neg_hi:[0,0,1]
	v_pk_fma_f32 v[28:29], v[24:25], v[156:157], v[28:29] op_sel:[0,0,1] op_sel_hi:[1,0,0]
	;; [unrolled: 2-line block ×3, first 2 shown]
	v_pk_fma_f32 v[50:51], v[24:25], v[162:163], v[42:43] op_sel:[0,0,1] op_sel_hi:[1,0,0]
	v_pk_fma_f32 v[42:43], v[24:25], v[162:163], v[42:43] op_sel:[0,0,1] op_sel_hi:[1,1,0] neg_lo:[0,0,1] neg_hi:[0,0,1]
	v_dual_mov_b32 v45, v27 :: v_dual_mov_b32 v47, v29
	s_delay_alu instid0(VALU_DEP_3)
	v_dual_mov_b32 v49, v31 :: v_dual_mov_b32 v43, v51
	ds_load_b128 v[28:31], v192 offset:256
	ds_load_b128 v[24:27], v192 offset:272
	ds_store_2addr_b64 v182, v[44:45], v[46:47] offset1:67
	ds_store_2addr_b64 v182, v[48:49], v[42:43] offset0:134 offset1:201
	s_wait_dscnt 0x0
	s_barrier_signal -1
	s_barrier_wait -1
	ds_load_2addr_b64 v[52:55], v179 offset1:1
	ds_load_2addr_b64 v[48:51], v179 offset0:2 offset1:3
	s_wait_dscnt 0x0
	s_barrier_signal -1
	s_barrier_wait -1
	s_cbranch_vccnz .LBB182_119
; %bb.112:                              ;   in Loop: Header=BB182_70 Depth=2
	v_mov_b64_e32 v[164:165], 0
	v_mov_b64_e32 v[166:167], 0
	s_mov_b32 s77, exec_lo
	v_cmpx_gt_i32_e64 s76, v204
	s_cbranch_execz .LBB182_114
; %bb.113:                              ;   in Loop: Header=BB182_70 Depth=2
	flat_load_b64 v[166:167], v[40:41]
.LBB182_114:                            ;   in Loop: Header=BB182_70 Depth=2
	s_wait_xcnt 0x0
	s_or_b32 exec_lo, exec_lo, s77
	s_delay_alu instid0(SALU_CYCLE_1)
	s_mov_b32 s77, exec_lo
	v_cmpx_gt_i32_e64 s76, v205
	s_cbranch_execz .LBB182_116
; %bb.115:                              ;   in Loop: Header=BB182_70 Depth=2
	v_add_nc_u64_e32 v[42:43], v[132:133], v[60:61]
	flat_load_b64 v[164:165], v[42:43]
.LBB182_116:                            ;   in Loop: Header=BB182_70 Depth=2
	s_wait_xcnt 0x0
	s_or_b32 exec_lo, exec_lo, s77
	v_mov_b64_e32 v[168:169], 0
	s_mov_b32 s77, exec_lo
	v_cmpx_gt_i32_e64 s76, v206
	s_cbranch_execz .LBB182_118
; %bb.117:                              ;   in Loop: Header=BB182_70 Depth=2
	v_add_nc_u64_e32 v[42:43], v[130:131], v[60:61]
	flat_load_b64 v[168:169], v[42:43]
.LBB182_118:                            ;   in Loop: Header=BB182_70 Depth=2
	s_wait_xcnt 0x0
	s_or_b32 exec_lo, exec_lo, s77
	v_cmp_gt_i32_e64 s77, s76, v207
	s_branch .LBB182_121
.LBB182_119:                            ;   in Loop: Header=BB182_70 Depth=2
	s_mov_b32 s77, 0
                                        ; implicit-def: $vgpr168_vgpr169
                                        ; implicit-def: $vgpr164_vgpr165
                                        ; implicit-def: $vgpr166_vgpr167
	s_cbranch_execz .LBB182_121
; %bb.120:                              ;   in Loop: Header=BB182_70 Depth=2
	v_add_nc_u64_e32 v[42:43], v[132:133], v[60:61]
	v_add_nc_u64_e32 v[44:45], v[130:131], v[60:61]
	s_or_b32 s77, s77, exec_lo
	s_wait_loadcnt_dscnt 0x0
	flat_load_b64 v[166:167], v[40:41]
	flat_load_b64 v[164:165], v[42:43]
	;; [unrolled: 1-line block ×3, first 2 shown]
.LBB182_121:                            ;   in Loop: Header=BB182_70 Depth=2
	v_mov_b64_e32 v[170:171], 0
	s_wait_xcnt 0x0
	s_delay_alu instid0(VALU_DEP_2)
	s_and_saveexec_b32 s78, s77
	s_cbranch_execz .LBB182_123
; %bb.122:                              ;   in Loop: Header=BB182_70 Depth=2
	v_add_nc_u64_e32 v[40:41], v[136:137], v[60:61]
	flat_load_b64 v[170:171], v[40:41]
.LBB182_123:                            ;   in Loop: Header=BB182_70 Depth=2
	s_wait_xcnt 0x0
	s_or_b32 exec_lo, exec_lo, s78
	ds_load_b64 v[44:45], v190
	ds_load_b128 v[40:43], v192 offset:384
	v_pk_add_f32 v[36:37], v[36:37], 0 op_sel_hi:[1,0]
	v_pk_add_f32 v[20:21], v[20:21], 0 op_sel_hi:[1,0]
	;; [unrolled: 1-line block ×3, first 2 shown]
	v_cmp_gt_i32_e32 vcc_lo, s76, v172
	s_delay_alu instid0(VALU_DEP_4) | instskip(NEXT) | instid1(VALU_DEP_4)
	v_pk_add_f32 v[36:37], v[36:37], v[38:39]
	v_pk_add_f32 v[20:21], v[20:21], v[22:23]
	s_delay_alu instid0(VALU_DEP_4) | instskip(SKIP_1) | instid1(VALU_DEP_3)
	v_pk_add_f32 v[52:53], v[52:53], v[54:55]
	s_or_b32 s67, s67, vcc_lo
	v_pk_add_f32 v[32:33], v[36:37], v[32:33]
	s_delay_alu instid0(VALU_DEP_3) | instskip(NEXT) | instid1(VALU_DEP_3)
	v_pk_add_f32 v[16:17], v[20:21], v[16:17]
	v_pk_add_f32 v[38:39], v[52:53], v[48:49]
	s_and_b32 s76, s17, s67
	s_delay_alu instid0(VALU_DEP_3) | instskip(NEXT) | instid1(VALU_DEP_3)
	v_pk_add_f32 v[32:33], v[32:33], v[34:35]
	v_pk_add_f32 v[16:17], v[16:17], v[18:19]
	s_wait_loadcnt_dscnt 0x1
	v_pk_mul_f32 v[46:47], v[44:45], v[166:167] op_sel:[0,1]
	v_pk_mul_f32 v[208:209], v[44:45], v[164:165] op_sel:[0,1]
	;; [unrolled: 1-line block ×4, first 2 shown]
	s_delay_alu instid0(VALU_DEP_4)
	v_pk_fma_f32 v[214:215], v[44:45], v[166:167], v[46:47] op_sel:[0,0,1] op_sel_hi:[1,1,0] neg_lo:[0,0,1] neg_hi:[0,0,1]
	v_pk_fma_f32 v[46:47], v[44:45], v[166:167], v[46:47] op_sel:[0,0,1] op_sel_hi:[1,0,0]
	v_pk_fma_f32 v[216:217], v[44:45], v[164:165], v[208:209] op_sel:[0,0,1] op_sel_hi:[1,1,0] neg_lo:[0,0,1] neg_hi:[0,0,1]
	v_pk_fma_f32 v[208:209], v[44:45], v[164:165], v[208:209] op_sel:[0,0,1] op_sel_hi:[1,0,0]
	;; [unrolled: 2-line block ×3, first 2 shown]
	v_pk_fma_f32 v[220:221], v[44:45], v[170:171], v[212:213] op_sel:[0,0,1] op_sel_hi:[1,0,0]
	v_pk_fma_f32 v[212:213], v[44:45], v[170:171], v[212:213] op_sel:[0,0,1] op_sel_hi:[1,1,0] neg_lo:[0,0,1] neg_hi:[0,0,1]
	v_dual_mov_b32 v215, v47 :: v_dual_mov_b32 v217, v209
	s_delay_alu instid0(VALU_DEP_3)
	v_dual_mov_b32 v219, v211 :: v_dual_mov_b32 v213, v221
	ds_load_b128 v[44:47], v192 offset:400
	ds_store_2addr_b64 v182, v[214:215], v[216:217] offset1:67
	ds_store_2addr_b64 v182, v[218:219], v[212:213] offset0:134 offset1:201
	s_wait_dscnt 0x0
	s_barrier_signal -1
	s_barrier_wait -1
	ds_load_2addr_b64 v[208:211], v179 offset1:1
	ds_load_2addr_b64 v[212:215], v179 offset0:2 offset1:3
	s_wait_dscnt 0x0
	s_barrier_signal -1
	s_barrier_wait -1
	v_pk_add_f32 v[208:209], v[208:209], 0 op_sel_hi:[1,0]
	s_delay_alu instid0(VALU_DEP_1) | instskip(NEXT) | instid1(VALU_DEP_1)
	v_pk_add_f32 v[22:23], v[208:209], v[210:211]
	v_pk_add_f32 v[20:21], v[22:23], v[212:213]
	;; [unrolled: 1-line block ×3, first 2 shown]
	s_delay_alu instid0(VALU_DEP_2)
	v_pk_add_f32 v[18:19], v[20:21], v[214:215]
	ds_store_2addr_b64 v189, v[16:17], v[32:33] offset1:16
	ds_store_2addr_b64 v189, v[22:23], v[18:19] offset0:32 offset1:48
	s_wait_dscnt 0x0
	s_barrier_signal -1
	s_barrier_wait -1
	s_and_saveexec_b32 s67, s76
	s_cbranch_execz .LBB182_69
; %bb.124:                              ;   in Loop: Header=BB182_70 Depth=2
	ds_load_b64 v[36:37], v180
	ds_load_2addr_b64 v[16:19], v180 offset0:1 offset1:2
	ds_load_2addr_b64 v[20:23], v180 offset0:3 offset1:4
	;; [unrolled: 1-line block ×3, first 2 shown]
	s_wait_dscnt 0x2
	v_dual_add_f32 v16, v16, v36 :: v_dual_add_f32 v17, v17, v37
	s_delay_alu instid0(VALU_DEP_1) | instskip(SKIP_3) | instid1(VALU_DEP_1)
	v_dual_add_f32 v36, v18, v16 :: v_dual_add_f32 v37, v19, v17
	ds_load_2addr_b64 v[16:19], v180 offset0:7 offset1:8
	s_wait_dscnt 0x2
	v_dual_add_f32 v20, v36, v20 :: v_dual_add_f32 v21, v37, v21
	v_dual_add_f32 v36, v20, v22 :: v_dual_add_f32 v37, v21, v23
	ds_load_2addr_b64 v[20:23], v180 offset0:9 offset1:10
	s_wait_dscnt 0x2
	v_pk_add_f32 v[32:33], v[36:37], v[32:33]
	s_delay_alu instid0(VALU_DEP_1) | instskip(SKIP_3) | instid1(VALU_DEP_1)
	v_pk_add_f32 v[36:37], v[32:33], v[34:35]
	ds_load_2addr_b64 v[32:35], v180 offset0:11 offset1:12
	s_wait_dscnt 0x2
	v_pk_add_f32 v[16:17], v[36:37], v[16:17]
	v_pk_add_f32 v[16:17], v[16:17], v[18:19]
	s_wait_dscnt 0x1
	s_delay_alu instid0(VALU_DEP_1)
	v_pk_add_f32 v[20:21], v[16:17], v[20:21]
	ds_load_2addr_b64 v[16:19], v180 offset0:13 offset1:14
	v_pk_add_f32 v[20:21], v[20:21], v[22:23]
	ds_load_b64 v[22:23], v181
	s_wait_dscnt 0x2
	v_pk_add_f32 v[20:21], v[20:21], v[32:33]
	s_delay_alu instid0(VALU_DEP_1) | instskip(SKIP_1) | instid1(VALU_DEP_1)
	v_pk_add_f32 v[20:21], v[20:21], v[34:35]
	s_wait_dscnt 0x1
	v_pk_add_f32 v[16:17], v[20:21], v[16:17]
	s_delay_alu instid0(VALU_DEP_1) | instskip(SKIP_2) | instid1(VALU_DEP_2)
	v_pk_add_f32 v[16:17], v[16:17], v[18:19]
	v_add_nc_u32_e32 v18, s66, v172
	s_wait_dscnt 0x0
	v_pk_add_f32 v[16:17], v[16:17], v[22:23]
	global_store_b64 v18, v[16:17], s[64:65] scale_offset
	s_branch .LBB182_69
.LBB182_125:                            ;   in Loop: Header=BB182_4 Depth=1
	ds_store_b64 v183, v[104:105]
	s_wait_dscnt 0x0
	s_barrier_signal -1
	s_barrier_wait -1
	s_and_saveexec_b32 s66, s72
	s_cbranch_execz .LBB182_2
; %bb.126:                              ;   in Loop: Header=BB182_4 Depth=1
	ds_load_2addr_b64 v[0:3], v60 offset1:67
	ds_load_2addr_b64 v[4:7], v60 offset0:134 offset1:201
	s_wait_dscnt 0x1
	v_pk_add_f32 v[0:1], v[2:3], v[0:1]
	v_lshl_add_u64 v[2:3], v[64:65], 3, s[64:65]
	s_wait_dscnt 0x0
	s_delay_alu instid0(VALU_DEP_2) | instskip(NEXT) | instid1(VALU_DEP_1)
	v_pk_add_f32 v[0:1], v[4:5], v[0:1]
	v_pk_add_f32 v[0:1], v[0:1], v[6:7]
	global_store_b64 v[2:3], v[0:1], off
	s_branch .LBB182_2
.LBB182_127:                            ;   in Loop: Header=BB182_4 Depth=1
	ds_load_b64 v[2:3], v185
	s_wait_dscnt 0x0
	ds_store_b64 v174, v[2:3]
	s_or_b32 exec_lo, exec_lo, s64
	s_and_saveexec_b32 s64, s7
	s_cbranch_execz .LBB182_27
.LBB182_128:                            ;   in Loop: Header=BB182_4 Depth=1
	ds_load_b64 v[2:3], v186
	s_wait_dscnt 0x0
	ds_store_b64 v174, v[2:3] offset:8
	s_or_b32 exec_lo, exec_lo, s64
	s_and_saveexec_b32 s64, s8
	s_cbranch_execz .LBB182_28
.LBB182_129:                            ;   in Loop: Header=BB182_4 Depth=1
	ds_load_b64 v[2:3], v186 offset:264
	s_wait_dscnt 0x0
	ds_store_b64 v174, v[2:3] offset:16
	s_or_b32 exec_lo, exec_lo, s64
	s_and_saveexec_b32 s64, s9
	s_cbranch_execnz .LBB182_29
	s_branch .LBB182_30
.LBB182_130:                            ;   in Loop: Header=BB182_4 Depth=1
	ds_load_b64 v[2:3], v185
	s_wait_dscnt 0x0
	ds_store_b64 v174, v[2:3]
	s_or_b32 exec_lo, exec_lo, s64
	s_and_saveexec_b32 s64, s7
	s_cbranch_execz .LBB182_46
.LBB182_131:                            ;   in Loop: Header=BB182_4 Depth=1
	ds_load_b64 v[2:3], v186
	s_wait_dscnt 0x0
	ds_store_b64 v174, v[2:3] offset:8
	s_or_b32 exec_lo, exec_lo, s64
	s_and_saveexec_b32 s64, s8
	s_cbranch_execz .LBB182_47
.LBB182_132:                            ;   in Loop: Header=BB182_4 Depth=1
	ds_load_b64 v[2:3], v186 offset:264
	s_wait_dscnt 0x0
	ds_store_b64 v174, v[2:3] offset:16
	s_or_b32 exec_lo, exec_lo, s64
	s_and_saveexec_b32 s64, s9
	s_cbranch_execnz .LBB182_48
	s_branch .LBB182_49
.LBB182_133:
	s_sendmsg sendmsg(MSG_DEALLOC_VGPRS)
	s_endpgm
	.section	.rodata,"a",@progbits
	.p2align	6, 0x0
	.amdhsa_kernel _ZL26rocblas_hemvn_kernel_upperILb0ELi64ELi4ELi33ELi32ELi16El19rocblas_complex_numIfEPKPKS1_PS1_EviT6_lT7_lT5_lS8_lS9_lS7_lT8_i
		.amdhsa_group_segment_fixed_size 9600
		.amdhsa_private_segment_fixed_size 0
		.amdhsa_kernarg_size 376
		.amdhsa_user_sgpr_count 2
		.amdhsa_user_sgpr_dispatch_ptr 0
		.amdhsa_user_sgpr_queue_ptr 0
		.amdhsa_user_sgpr_kernarg_segment_ptr 1
		.amdhsa_user_sgpr_dispatch_id 0
		.amdhsa_user_sgpr_kernarg_preload_length 0
		.amdhsa_user_sgpr_kernarg_preload_offset 0
		.amdhsa_user_sgpr_private_segment_size 0
		.amdhsa_wavefront_size32 1
		.amdhsa_uses_dynamic_stack 0
		.amdhsa_enable_private_segment 0
		.amdhsa_system_sgpr_workgroup_id_x 1
		.amdhsa_system_sgpr_workgroup_id_y 0
		.amdhsa_system_sgpr_workgroup_id_z 1
		.amdhsa_system_sgpr_workgroup_info 0
		.amdhsa_system_vgpr_workitem_id 1
		.amdhsa_next_free_vgpr 222
		.amdhsa_next_free_sgpr 80
		.amdhsa_named_barrier_count 0
		.amdhsa_reserve_vcc 1
		.amdhsa_float_round_mode_32 0
		.amdhsa_float_round_mode_16_64 0
		.amdhsa_float_denorm_mode_32 3
		.amdhsa_float_denorm_mode_16_64 3
		.amdhsa_fp16_overflow 0
		.amdhsa_memory_ordered 1
		.amdhsa_forward_progress 1
		.amdhsa_inst_pref_size 67
		.amdhsa_round_robin_scheduling 0
		.amdhsa_exception_fp_ieee_invalid_op 0
		.amdhsa_exception_fp_denorm_src 0
		.amdhsa_exception_fp_ieee_div_zero 0
		.amdhsa_exception_fp_ieee_overflow 0
		.amdhsa_exception_fp_ieee_underflow 0
		.amdhsa_exception_fp_ieee_inexact 0
		.amdhsa_exception_int_div_zero 0
	.end_amdhsa_kernel
	.section	.text._ZL26rocblas_hemvn_kernel_upperILb0ELi64ELi4ELi33ELi32ELi16El19rocblas_complex_numIfEPKPKS1_PS1_EviT6_lT7_lT5_lS8_lS9_lS7_lT8_i,"axG",@progbits,_ZL26rocblas_hemvn_kernel_upperILb0ELi64ELi4ELi33ELi32ELi16El19rocblas_complex_numIfEPKPKS1_PS1_EviT6_lT7_lT5_lS8_lS9_lS7_lT8_i,comdat
.Lfunc_end182:
	.size	_ZL26rocblas_hemvn_kernel_upperILb0ELi64ELi4ELi33ELi32ELi16El19rocblas_complex_numIfEPKPKS1_PS1_EviT6_lT7_lT5_lS8_lS9_lS7_lT8_i, .Lfunc_end182-_ZL26rocblas_hemvn_kernel_upperILb0ELi64ELi4ELi33ELi32ELi16El19rocblas_complex_numIfEPKPKS1_PS1_EviT6_lT7_lT5_lS8_lS9_lS7_lT8_i
                                        ; -- End function
	.set _ZL26rocblas_hemvn_kernel_upperILb0ELi64ELi4ELi33ELi32ELi16El19rocblas_complex_numIfEPKPKS1_PS1_EviT6_lT7_lT5_lS8_lS9_lS7_lT8_i.num_vgpr, 222
	.set _ZL26rocblas_hemvn_kernel_upperILb0ELi64ELi4ELi33ELi32ELi16El19rocblas_complex_numIfEPKPKS1_PS1_EviT6_lT7_lT5_lS8_lS9_lS7_lT8_i.num_agpr, 0
	.set _ZL26rocblas_hemvn_kernel_upperILb0ELi64ELi4ELi33ELi32ELi16El19rocblas_complex_numIfEPKPKS1_PS1_EviT6_lT7_lT5_lS8_lS9_lS7_lT8_i.numbered_sgpr, 80
	.set _ZL26rocblas_hemvn_kernel_upperILb0ELi64ELi4ELi33ELi32ELi16El19rocblas_complex_numIfEPKPKS1_PS1_EviT6_lT7_lT5_lS8_lS9_lS7_lT8_i.num_named_barrier, 0
	.set _ZL26rocblas_hemvn_kernel_upperILb0ELi64ELi4ELi33ELi32ELi16El19rocblas_complex_numIfEPKPKS1_PS1_EviT6_lT7_lT5_lS8_lS9_lS7_lT8_i.private_seg_size, 0
	.set _ZL26rocblas_hemvn_kernel_upperILb0ELi64ELi4ELi33ELi32ELi16El19rocblas_complex_numIfEPKPKS1_PS1_EviT6_lT7_lT5_lS8_lS9_lS7_lT8_i.uses_vcc, 1
	.set _ZL26rocblas_hemvn_kernel_upperILb0ELi64ELi4ELi33ELi32ELi16El19rocblas_complex_numIfEPKPKS1_PS1_EviT6_lT7_lT5_lS8_lS9_lS7_lT8_i.uses_flat_scratch, 1
	.set _ZL26rocblas_hemvn_kernel_upperILb0ELi64ELi4ELi33ELi32ELi16El19rocblas_complex_numIfEPKPKS1_PS1_EviT6_lT7_lT5_lS8_lS9_lS7_lT8_i.has_dyn_sized_stack, 0
	.set _ZL26rocblas_hemvn_kernel_upperILb0ELi64ELi4ELi33ELi32ELi16El19rocblas_complex_numIfEPKPKS1_PS1_EviT6_lT7_lT5_lS8_lS9_lS7_lT8_i.has_recursion, 0
	.set _ZL26rocblas_hemvn_kernel_upperILb0ELi64ELi4ELi33ELi32ELi16El19rocblas_complex_numIfEPKPKS1_PS1_EviT6_lT7_lT5_lS8_lS9_lS7_lT8_i.has_indirect_call, 0
	.section	.AMDGPU.csdata,"",@progbits
; Kernel info:
; codeLenInByte = 8508
; TotalNumSgprs: 82
; NumVgprs: 222
; ScratchSize: 0
; MemoryBound: 1
; FloatMode: 240
; IeeeMode: 1
; LDSByteSize: 9600 bytes/workgroup (compile time only)
; SGPRBlocks: 0
; VGPRBlocks: 13
; NumSGPRsForWavesPerEU: 82
; NumVGPRsForWavesPerEU: 222
; NamedBarCnt: 0
; Occupancy: 4
; WaveLimiterHint : 1
; COMPUTE_PGM_RSRC2:SCRATCH_EN: 0
; COMPUTE_PGM_RSRC2:USER_SGPR: 2
; COMPUTE_PGM_RSRC2:TRAP_HANDLER: 0
; COMPUTE_PGM_RSRC2:TGID_X_EN: 1
; COMPUTE_PGM_RSRC2:TGID_Y_EN: 0
; COMPUTE_PGM_RSRC2:TGID_Z_EN: 1
; COMPUTE_PGM_RSRC2:TIDIG_COMP_CNT: 1
	.section	.text._ZL26rocblas_hemvn_kernel_upperILb0ELi64ELi4ELi33ELi32ELi16Ei19rocblas_complex_numIfEPKPKS1_PS1_EviT6_lT7_lT5_lS8_lS9_lS7_lT8_i,"axG",@progbits,_ZL26rocblas_hemvn_kernel_upperILb0ELi64ELi4ELi33ELi32ELi16Ei19rocblas_complex_numIfEPKPKS1_PS1_EviT6_lT7_lT5_lS8_lS9_lS7_lT8_i,comdat
	.globl	_ZL26rocblas_hemvn_kernel_upperILb0ELi64ELi4ELi33ELi32ELi16Ei19rocblas_complex_numIfEPKPKS1_PS1_EviT6_lT7_lT5_lS8_lS9_lS7_lT8_i ; -- Begin function _ZL26rocblas_hemvn_kernel_upperILb0ELi64ELi4ELi33ELi32ELi16Ei19rocblas_complex_numIfEPKPKS1_PS1_EviT6_lT7_lT5_lS8_lS9_lS7_lT8_i
	.p2align	8
	.type	_ZL26rocblas_hemvn_kernel_upperILb0ELi64ELi4ELi33ELi32ELi16Ei19rocblas_complex_numIfEPKPKS1_PS1_EviT6_lT7_lT5_lS8_lS9_lS7_lT8_i,@function
_ZL26rocblas_hemvn_kernel_upperILb0ELi64ELi4ELi33ELi32ELi16Ei19rocblas_complex_numIfEPKPKS1_PS1_EviT6_lT7_lT5_lS8_lS9_lS7_lT8_i: ; @_ZL26rocblas_hemvn_kernel_upperILb0ELi64ELi4ELi33ELi32ELi16Ei19rocblas_complex_numIfEPKPKS1_PS1_EviT6_lT7_lT5_lS8_lS9_lS7_lT8_i
; %bb.0:
	s_clause 0x1
	s_load_b64 s[2:3], s[0:1], 0x84
	s_load_b32 s33, s[0:1], 0x70
	s_bfe_u32 s4, ttmp6, 0x40014
	s_lshr_b32 s5, ttmp7, 16
	s_add_co_i32 s4, s4, 1
	s_bfe_u32 s6, ttmp6, 0x40008
	s_mul_i32 s7, s5, s4
	s_getreg_b32 s4, hwreg(HW_REG_IB_STS2, 6, 4)
	s_add_co_i32 s6, s6, s7
	s_mov_b32 s19, 0
	s_wait_kmcnt 0x0
	s_lshr_b32 s7, s2, 16
	s_and_b32 s2, s2, 0xffff
	s_and_b32 s3, s3, 0xffff
	s_mul_i32 s2, s7, s2
	s_cmp_eq_u32 s4, 0
	s_mul_i32 s2, s2, s3
	s_cselect_b32 s18, s5, s6
	s_cmp_lg_u32 s2, 0x100
	s_cselect_b32 s2, -1, 0
	s_cmp_ge_u32 s18, s33
	s_cselect_b32 s3, -1, 0
	s_delay_alu instid0(SALU_CYCLE_1) | instskip(NEXT) | instid1(SALU_CYCLE_1)
	s_or_b32 s2, s2, s3
	s_and_b32 vcc_lo, exec_lo, s2
	s_cbranch_vccnz .LBB183_133
; %bb.1:
	s_clause 0x5
	s_load_b32 s2, s[0:1], 0x0
	s_load_b32 s56, s[0:1], 0x28
	s_load_b64 s[6:7], s[0:1], 0x4
	s_load_b128 s[20:23], s[0:1], 0x18
	s_load_b64 s[8:9], s[0:1], 0x58
	s_load_b64 s[10:11], s[0:1], 0x68
	s_bfe_u32 s3, ttmp6, 0x4000c
	s_and_b32 s5, ttmp6, 15
	s_add_co_i32 s3, s3, 1
	v_and_b32_e32 v188, 0x3ff, v0
	s_mul_i32 s3, ttmp9, s3
	v_bfe_u32 v1, v0, 10, 10
	s_add_co_i32 s12, s5, s3
	s_clause 0x1
	s_load_b128 s[24:27], s[0:1], 0x38
	s_load_b32 s58, s[0:1], 0x48
	v_dual_mov_b32 v65, 0 :: v_dual_bitop2_b32 v56, 31, v0 bitop3:0x40
	v_lshl_add_u32 v4, v1, 6, v188
	s_mov_b32 s31, s19
	v_lshl_add_u32 v198, v1, 5, 0x2180
	s_delay_alu instid0(VALU_DEP_3)
	v_mul_u32_u24_e32 v12, 33, v56
	s_wait_kmcnt 0x0
	s_ashr_i32 s3, s2, 31
	s_ashr_i32 s57, s56, 31
	s_cmp_eq_u32 s4, 0
	s_add_nc_u64 s[4:5], s[0:1], 0x78
	s_cselect_b32 s28, ttmp9, s12
	s_or_b32 s6, s6, s7
	s_load_b32 s30, s[4:5], 0x0
	s_bitset0_b32 s6, 31
	v_lshrrev_b32_e32 v3, 5, v4
	s_cmp_eq_u32 s6, 0
	v_and_b32_e32 v8, 0x7fe0, v4
	s_cselect_b32 s68, -1, 0
	s_cmp_lg_u32 s6, 0
	v_mad_u32 v62, s56, v3, v56
	s_cselect_b32 s66, -1, 0
	s_cmp_neq_f32 s8, 1.0
	v_cmp_eq_u32_e64 s0, 0, v1
	s_mul_i32 s46, s56, 24
	v_cmp_gt_u32_e64 s17, 64, v4
	s_cselect_b32 s52, -1, 0
	s_cmp_neq_f32 s9, 0
	s_mul_i32 s76, s56, 3
	v_lshlrev_b32_e32 v196, 2, v1
	v_add_nc_u32_e32 v194, 0x2380, v8
	s_cselect_b32 s53, -1, 0
	s_lshr_b32 s1, s3, 26
	s_wait_kmcnt 0x0
	s_add_co_i32 s4, s30, -1
	s_add_co_i32 s1, s2, s1
	s_lshl_b32 s62, s28, 6
	s_and_not1_b32 s1, s1, 63
	v_ashrrev_i32_e32 v63, 31, v62
	s_sub_co_i32 s69, s2, s1
	v_dual_lshlrev_b32 v190, 3, v56 :: v_dual_add_nc_u32 v2, 8, v3
	s_cmp_eq_u32 s28, s4
	s_mul_u64 s[36:37], s[30:31], s[2:3]
	s_cselect_b32 s34, s69, 0
	s_delay_alu instid0(VALU_DEP_1)
	v_lshl_or_b32 v192, v56, 8, v190
	s_cmp_lg_u32 s34, 0
	v_lshlrev_b32_e32 v7, 2, v3
	s_cselect_b32 s70, -1, 0
	s_cmp_eq_u32 s34, 0
	v_add_nc_u32_e32 v193, v192, v8
	s_cselect_b32 s1, -1, 0
	s_ashr_i32 s29, s28, 31
	v_or_b32_e32 v9, 1, v7
	s_mul_u64 s[2:3], s[2:3], s[28:29]
	s_sub_co_i32 s15, s34, 32
	s_lshl_b64 s[2:3], s[2:3], 3
	v_cmp_gt_i32_e64 s13, s15, v2
	s_add_nc_u64 s[38:39], s[10:11], s[2:3]
	v_cmp_gt_i32_e64 s3, s34, v2
	v_mad_u32 v2, s56, v196, v188
	v_dual_add_nc_u32 v5, 16, v3 :: v_dual_add_nc_u32 v6, 24, v3
	v_dual_lshlrev_b32 v189, 3, v188 :: v_dual_add_nc_u32 v58, s62, v188
	v_cmp_gt_u32_e64 s6, v7, v56
	s_delay_alu instid0(VALU_DEP_3) | instskip(NEXT) | instid1(VALU_DEP_4)
	v_cmp_gt_i32_e64 s4, s34, v5
	v_cmp_gt_i32_e64 s5, s34, v6
	v_cmp_ge_u32_e64 s7, v7, v56
	v_or_b32_e32 v11, 2, v7
	v_or_b32_e32 v7, 3, v7
	v_cmp_gt_i32_e64 s12, s15, v3
	v_cmp_gt_i32_e64 s14, s15, v5
	;; [unrolled: 1-line block ×3, first 2 shown]
	v_lshrrev_b32_e32 v5, 4, v4
	v_and_b32_e32 v6, 15, v0
	v_dual_ashrrev_i32 v59, 31, v58 :: v_dual_bitop2_b32 v0, 48, v0 bitop3:0x40
	v_cmp_gt_i32_e64 s2, s34, v3
	v_mul_u32_u24_e32 v191, 0x108, v3
	v_mul_u32_u24_e32 v10, 0x420, v3
	v_lshlrev_b32_e32 v13, 3, v3
	v_cmp_eq_u32_e64 s16, 1, v3
	v_mul_i32_i24_e32 v197, 0xffffffe8, v3
	v_ashrrev_i32_e32 v3, 31, v2
	v_cmp_gt_u32_e64 s9, v7, v56
	v_or_b32_e32 v7, 32, v56
	v_dual_lshlrev_b32 v0, 3, v0 :: v_dual_add_nc_u32 v204, v192, v13
	v_mad_u32_u24 v199, 0x860, v1, v189
	v_mad_u32_u24 v203, 0x218, v1, v189
	s_delay_alu instid0(VALU_DEP_4)
	v_cmp_gt_i32_e64 s11, s34, v7
	v_lshlrev_b32_e32 v7, 5, v5
	v_mad_u32_u24 v201, 0x218, v6, v0
	v_lshlrev_b64_e32 v[0:1], 3, v[62:63]
	v_cmp_gt_i32_e32 vcc_lo, s34, v188
	s_lshl_b32 s48, s56, 5
	s_mul_i32 s40, s56, s62
	s_ashr_i32 s49, s48, 31
	s_lshl_b32 s42, s56, 3
	s_or_b32 s54, s1, vcc_lo
	s_lshl_b32 s44, s56, 4
	s_mul_i32 s50, s58, s62
	v_sub_nc_u64_e32 v[66:67], 0, v[0:1]
	v_add_nc_u64_e32 v[0:1], s[48:49], v[2:3]
	s_add_co_i32 s59, s28, 1
	s_xor_b32 s29, s54, -1
	s_ashr_i32 s63, s62, 31
	s_ashr_i32 s41, s40, 31
	;; [unrolled: 1-line block ×7, first 2 shown]
	s_cmp_lt_u32 s59, s30
	v_cmp_gt_u32_e64 s10, 32, v4
	s_cselect_b32 s31, -1, 0
	s_lshl_b32 s60, s56, 1
	v_mad_u32_u24 v200, 0x218, v6, v7
	v_mul_i32_i24_e32 v7, 0xffffffe8, v5
	v_lshlrev_b64_e32 v[4:5], 3, v[2:3]
	s_ashr_i32 s61, s60, 31
	v_lshlrev_b64_e32 v[0:1], 3, v[0:1]
	v_mul_lo_u32 v60, s58, v58
	s_lshl_b64 s[78:79], s[48:49], 3
	s_lshl_b64 s[84:85], s[60:61], 3
	s_lshl_b32 s72, s58, 6
	s_lshl_b64 s[64:65], s[56:57], 3
	s_mul_i32 s74, s58, s59
	s_lshl_b64 s[58:59], s[56:57], 4
	s_add_nc_u64 s[60:61], s[78:79], s[84:85]
	s_ashr_i32 s77, s76, 31
	s_add_nc_u64 s[80:81], s[58:59], s[78:79]
	s_add_nc_u64 s[82:83], s[64:65], s[78:79]
	v_add_nc_u64_e32 v[74:75], s[60:61], v[4:5]
	s_lshl_b64 s[60:61], s[44:45], 3
	v_mad_nc_i64_i32 v[100:101], s44, 24, v[0:1]
	v_add_nc_u64_e32 v[70:71], s[82:83], v[4:5]
	s_lshl_b64 s[76:77], s[76:77], 3
	s_add_nc_u64 s[88:89], s[80:81], s[60:61]
	s_add_nc_u64 s[82:83], s[82:83], s[60:61]
	;; [unrolled: 1-line block ×3, first 2 shown]
	v_add_nc_u64_e32 v[80:81], s[82:83], v[4:5]
	v_add_nc_u64_e32 v[82:83], s[60:61], v[4:5]
	s_add_nc_u64 s[82:83], s[60:61], s[84:85]
	s_add_nc_u64 s[60:61], s[60:61], s[76:77]
	v_dual_ashrrev_i32 v61, 31, v60 :: v_dual_mov_b32 v57, v65
	v_add_nc_u64_e32 v[86:87], s[60:61], v[4:5]
	s_lshl_b64 s[60:61], s[44:45], 4
	v_add_nc_u64_e32 v[68:69], s[80:81], v[4:5]
	s_add_nc_u64 s[86:87], s[78:79], s[76:77]
	v_add_nc_u64_e32 v[84:85], s[82:83], v[4:5]
	s_add_nc_u64 s[80:81], s[80:81], s[60:61]
	s_add_nc_u64 s[60:61], s[60:61], s[78:79]
	s_mul_u64 s[82:83], s[44:45], 24
	v_mul_u32_u24_e32 v9, 0x108, v9
	v_or_b32_e32 v8, 0x78, v189
	v_add_nc_u64_e32 v[72:73], s[78:79], v[4:5]
	v_add_nc_u64_e32 v[76:77], s[86:87], v[4:5]
	;; [unrolled: 1-line block ×3, first 2 shown]
	s_add_nc_u64 s[78:79], s[60:61], s[64:65]
	s_add_nc_u64 s[80:81], s[60:61], s[84:85]
	;; [unrolled: 1-line block ×4, first 2 shown]
	v_add_nc_u64_e32 v[78:79], s[88:89], v[4:5]
	v_add_nc_u64_e32 v[90:91], s[78:79], v[4:5]
	v_add_nc_u64_e32 v[92:93], s[60:61], v[4:5]
	v_add_nc_u64_e32 v[94:95], s[80:81], v[4:5]
	v_add_nc_u64_e32 v[96:97], s[86:87], v[4:5]
	v_add_nc_u64_e32 v[98:99], s[58:59], v[0:1]
	v_sub_nc_u64_e32 v[102:103], 0, v[56:57]
	v_add_nc_u64_e32 v[104:105], s[64:65], v[100:101]
	v_add_nc_u64_e32 v[106:107], s[84:85], v[100:101]
	v_add_nc_u64_e32 v[108:109], s[76:77], v[100:101]
	v_mov_b64_e32 v[110:111], 0
	v_cmp_gt_i32_e64 s1, s34, v56
	v_cmp_gt_u32_e64 s8, v11, v56
	v_lshl_add_u32 v195, v12, 3, v13
	v_mad_u32_u24 v202, 0x218, v6, v8
	v_add_nc_u32_e32 v205, 0x2380, v13
	v_dual_add_nc_u32 v206, v200, v7 :: v_dual_add_nc_u32 v207, v190, v10
	v_dual_add_nc_u32 v208, v190, v9 :: v_dual_bitop2_b32 v211, 1, v196 bitop3:0x54
	v_add_nc_u32_e32 v209, 0x2380, v189
	v_add_nc_u32_e32 v210, 0x2180, v189
	v_dual_add_nc_u32 v214, 16, v196 :: v_dual_bitop2_b32 v212, 2, v196 bitop3:0x54
	v_dual_add_nc_u32 v215, 17, v196 :: v_dual_bitop2_b32 v213, 3, v196 bitop3:0x54
	v_dual_add_nc_u32 v216, 18, v196 :: v_dual_add_nc_u32 v217, 19, v196
	v_dual_add_nc_u32 v218, 32, v196 :: v_dual_add_nc_u32 v219, 33, v196
	;; [unrolled: 1-line block ×5, first 2 shown]
	v_add_nc_u32_e32 v226, 64, v58
	s_or_b32 s67, s52, s53
	s_sub_nc_u64 s[50:51], 0, s[50:51]
	s_add_co_i32 s71, s30, -2
	s_and_b32 s73, s0, s54
	s_sub_nc_u64 s[52:53], 0, s[34:35]
	s_lshl_b64 s[54:55], s[56:57], 6
	s_lshl_b32 s74, s74, 6
	s_lshl_b64 s[56:57], s[44:45], 5
	s_mov_b64 s[58:59], 0xffffffffffffff00
	s_mov_b64 s[60:61], 0xfffffffffffffef8
	s_or_b32 s75, s67, s66
	s_lshl_b64 s[26:27], s[26:27], 3
	s_lshl_b64 s[22:23], s[22:23], 3
	;; [unrolled: 1-line block ×3, first 2 shown]
	s_branch .LBB183_4
.LBB183_2:                              ;   in Loop: Header=BB183_4 Depth=1
	s_wait_xcnt 0x0
	s_or_b32 exec_lo, exec_lo, s66
.LBB183_3:                              ;   in Loop: Header=BB183_4 Depth=1
	s_add_co_i32 s18, s18, 0x10000
	s_delay_alu instid0(SALU_CYCLE_1)
	s_cmp_lt_u32 s18, s33
	s_cbranch_scc0 .LBB183_133
.LBB183_4:                              ; =>This Loop Header: Depth=1
                                        ;     Child Loop BB183_70 Depth 2
	s_and_not1_b32 vcc_lo, exec_lo, s75
	s_cbranch_vccnz .LBB183_3
; %bb.5:                                ;   in Loop: Header=BB183_4 Depth=1
	s_and_b32 vcc_lo, exec_lo, s68
	s_mov_b32 s64, -1
	s_cbranch_vccz .LBB183_7
; %bb.6:                                ;   in Loop: Header=BB183_4 Depth=1
	s_mov_b32 s64, 0
.LBB183_7:                              ;   in Loop: Header=BB183_4 Depth=1
	s_delay_alu instid0(SALU_CYCLE_1)
	s_and_not1_b32 vcc_lo, exec_lo, s64
	s_cbranch_vccnz .LBB183_3
; %bb.8:                                ;   in Loop: Header=BB183_4 Depth=1
	v_mov_b32_e32 v0, s18
	s_clause 0x1
	global_load_b64 v[2:3], v0, s[24:25] scale_offset
	global_load_b64 v[0:1], v0, s[20:21] scale_offset
	s_wait_loadcnt 0x1
	v_add_nc_u64_e32 v[2:3], s[26:27], v[2:3]
	s_delay_alu instid0(VALU_DEP_1)
	v_lshl_add_u64 v[12:13], v[60:61], 3, v[2:3]
	s_wait_xcnt 0x0
	s_and_saveexec_b32 s64, s0
	s_cbranch_execz .LBB183_13
; %bb.9:                                ;   in Loop: Header=BB183_4 Depth=1
	s_and_saveexec_b32 s65, s29
	s_delay_alu instid0(SALU_CYCLE_1)
	s_xor_b32 s65, exec_lo, s65
; %bb.10:                               ;   in Loop: Header=BB183_4 Depth=1
	ds_store_b64 v209, v[110:111]
; %bb.11:                               ;   in Loop: Header=BB183_4 Depth=1
	s_and_not1_saveexec_b32 s65, s65
	s_cbranch_execz .LBB183_13
; %bb.12:                               ;   in Loop: Header=BB183_4 Depth=1
	flat_load_b64 v[2:3], v[12:13]
	s_wait_loadcnt_dscnt 0x0
	ds_store_b64 v209, v[2:3]
.LBB183_13:                             ;   in Loop: Header=BB183_4 Depth=1
	s_wait_xcnt 0x0
	s_or_b32 exec_lo, exec_lo, s64
	s_wait_loadcnt 0x0
	v_add_nc_u64_e32 v[0:1], s[22:23], v[0:1]
	s_and_b32 vcc_lo, exec_lo, s70
	s_mov_b32 s64, -1
	s_delay_alu instid0(VALU_DEP_1) | instskip(NEXT) | instid1(VALU_DEP_1)
	v_add_nc_u64_e32 v[0:1], s[62:63], v[0:1]
	v_lshl_add_u64 v[0:1], v[62:63], 3, v[0:1]
	s_delay_alu instid0(VALU_DEP_1)
	v_lshl_add_u64 v[2:3], s[40:41], 3, v[0:1]
                                        ; implicit-def: $vgpr0_vgpr1
	s_cbranch_vccz .LBB183_23
; %bb.14:                               ;   in Loop: Header=BB183_4 Depth=1
	s_delay_alu instid0(VALU_DEP_1) | instskip(SKIP_2) | instid1(VALU_DEP_3)
	v_lshl_add_u64 v[0:1], v[102:103], 3, v[2:3]
	v_dual_mov_b32 v6, 0 :: v_dual_mov_b32 v4, 0
	v_mov_b32_e32 v5, 0
	v_lshl_add_u64 v[0:1], s[34:35], 3, v[0:1]
	s_delay_alu instid0(VALU_DEP_1) | instskip(NEXT) | instid1(VALU_DEP_1)
	v_add_nc_u64_e32 v[0:1], -8, v[0:1]
	v_dual_cndmask_b32 v1, v1, v3, s1 :: v_dual_cndmask_b32 v0, v0, v2, s1
	s_and_saveexec_b32 s64, s2
	s_cbranch_execz .LBB183_16
; %bb.15:                               ;   in Loop: Header=BB183_4 Depth=1
	flat_load_b64 v[4:5], v[0:1]
.LBB183_16:                             ;   in Loop: Header=BB183_4 Depth=1
	s_wait_xcnt 0x0
	s_or_b32 exec_lo, exec_lo, s64
	v_dual_mov_b32 v7, 0 :: v_dual_add_nc_u32 v10, v190, v191
	s_wait_loadcnt_dscnt 0x0
	ds_store_b64 v10, v[4:5]
	s_and_saveexec_b32 s64, s3
	s_cbranch_execz .LBB183_18
; %bb.17:                               ;   in Loop: Header=BB183_4 Depth=1
	v_lshl_add_u64 v[4:5], s[42:43], 3, v[0:1]
	flat_load_b64 v[6:7], v[4:5]
.LBB183_18:                             ;   in Loop: Header=BB183_4 Depth=1
	s_wait_xcnt 0x0
	s_or_b32 exec_lo, exec_lo, s64
	v_dual_mov_b32 v4, 0 :: v_dual_mov_b32 v8, 0
	v_mov_b32_e32 v9, 0
	s_wait_loadcnt_dscnt 0x0
	ds_store_b64 v10, v[6:7] offset:2112
	s_and_saveexec_b32 s64, s4
	s_cbranch_execz .LBB183_20
; %bb.19:                               ;   in Loop: Header=BB183_4 Depth=1
	v_lshl_add_u64 v[6:7], s[44:45], 3, v[0:1]
	flat_load_b64 v[8:9], v[6:7]
.LBB183_20:                             ;   in Loop: Header=BB183_4 Depth=1
	s_wait_xcnt 0x0
	s_or_b32 exec_lo, exec_lo, s64
	v_mov_b32_e32 v5, 0
	s_wait_loadcnt_dscnt 0x0
	ds_store_b64 v10, v[8:9] offset:4224
	s_and_saveexec_b32 s64, s5
	s_cbranch_execz .LBB183_22
; %bb.21:                               ;   in Loop: Header=BB183_4 Depth=1
	v_lshl_add_u64 v[4:5], s[46:47], 3, v[0:1]
	flat_load_b64 v[4:5], v[4:5]
.LBB183_22:                             ;   in Loop: Header=BB183_4 Depth=1
	s_wait_xcnt 0x0
	s_or_b32 exec_lo, exec_lo, s64
	v_lshlrev_b32_e32 v64, 3, v56
	s_mov_b32 s64, 0
	s_wait_loadcnt_dscnt 0x0
	ds_store_b64 v10, v[4:5] offset:6336
	v_add_nc_u64_e32 v[0:1], v[0:1], v[64:65]
	s_delay_alu instid0(VALU_DEP_1) | instskip(NEXT) | instid1(VALU_DEP_1)
	v_lshl_add_u64 v[0:1], s[52:53], 3, v[0:1]
	v_add_nc_u64_e32 v[0:1], 8, v[0:1]
	s_delay_alu instid0(VALU_DEP_1)
	v_dual_cndmask_b32 v1, v1, v3, s1 :: v_dual_cndmask_b32 v0, v0, v2, s1
.LBB183_23:                             ;   in Loop: Header=BB183_4 Depth=1
	v_add_nc_u32_e32 v16, v190, v191
	s_and_b32 vcc_lo, exec_lo, s64
	s_cbranch_vccz .LBB183_25
; %bb.24:                               ;   in Loop: Header=BB183_4 Depth=1
	v_lshl_add_u64 v[0:1], s[42:43], 3, v[2:3]
	s_delay_alu instid0(VALU_DEP_1) | instskip(NEXT) | instid1(VALU_DEP_1)
	v_add_nc_u64_e32 v[4:5], s[54:55], v[0:1]
	v_add_nc_u64_e32 v[6:7], s[54:55], v[4:5]
	s_clause 0x3
	flat_load_b64 v[8:9], v[2:3]
	flat_load_b64 v[10:11], v[0:1]
	;; [unrolled: 1-line block ×4, first 2 shown]
	s_wait_xcnt 0x2
	v_mov_b64_e32 v[0:1], v[2:3]
	s_wait_loadcnt_dscnt 0x303
	ds_store_b64 v16, v[8:9]
	s_wait_loadcnt_dscnt 0x203
	ds_store_b64 v16, v[10:11] offset:2112
	s_wait_loadcnt_dscnt 0x103
	ds_store_b64 v16, v[4:5] offset:4224
	;; [unrolled: 2-line block ×3, first 2 shown]
.LBB183_25:                             ;   in Loop: Header=BB183_4 Depth=1
	s_wait_dscnt 0x0
	s_barrier_signal -1
	s_barrier_wait -1
	s_wait_xcnt 0x0
	s_and_saveexec_b32 s64, s6
	s_cbranch_execnz .LBB183_127
; %bb.26:                               ;   in Loop: Header=BB183_4 Depth=1
	s_or_b32 exec_lo, exec_lo, s64
	s_and_saveexec_b32 s64, s7
	s_cbranch_execnz .LBB183_128
.LBB183_27:                             ;   in Loop: Header=BB183_4 Depth=1
	s_or_b32 exec_lo, exec_lo, s64
	s_and_saveexec_b32 s64, s8
	s_cbranch_execnz .LBB183_129
.LBB183_28:                             ;   in Loop: Header=BB183_4 Depth=1
	s_or_b32 exec_lo, exec_lo, s64
	s_and_saveexec_b32 s64, s9
	s_cbranch_execz .LBB183_30
.LBB183_29:                             ;   in Loop: Header=BB183_4 Depth=1
	ds_load_b64 v[2:3], v208 offset:528
	s_wait_dscnt 0x0
	ds_store_b64 v193, v[2:3] offset:24
.LBB183_30:                             ;   in Loop: Header=BB183_4 Depth=1
	s_or_b32 exec_lo, exec_lo, s64
	s_wait_dscnt 0x0
	s_barrier_signal -1
	s_barrier_wait -1
	ds_load_b64 v[10:11], v207
	ds_load_b128 v[2:5], v194
	ds_load_2addr_b64 v[6:9], v208 offset1:33
	ds_load_b128 v[18:21], v194 offset:16
	ds_load_b64 v[14:15], v208 offset:528
	v_mov_b64_e32 v[112:113], 0
	s_wait_dscnt 0x0
	s_barrier_signal -1
	s_barrier_wait -1
	v_pk_mul_f32 v[22:23], v[2:3], v[10:11] op_sel:[1,1] op_sel_hi:[0,1]
	v_dual_mov_b32 v24, v5 :: v_dual_mov_b32 v25, v4
	v_pk_mul_f32 v[26:27], v[18:19], v[8:9] op_sel:[1,1] op_sel_hi:[0,1]
	v_dual_mov_b32 v30, v21 :: v_dual_mov_b32 v31, v20
	s_delay_alu instid0(VALU_DEP_4) | instskip(NEXT) | instid1(VALU_DEP_4)
	v_pk_fma_f32 v[28:29], v[2:3], v[10:11], v[22:23] op_sel_hi:[1,0,1]
	v_pk_mul_f32 v[24:25], v[24:25], v[6:7] op_sel:[0,1]
	v_pk_fma_f32 v[2:3], v[2:3], v[10:11], v[22:23] neg_lo:[0,0,1] neg_hi:[0,0,1]
	v_pk_fma_f32 v[22:23], v[18:19], v[8:9], v[26:27] op_sel_hi:[1,0,1]
	s_delay_alu instid0(VALU_DEP_3)
	v_pk_fma_f32 v[10:11], v[4:5], v[6:7], v[24:25] op_sel_hi:[1,0,1]
	v_mov_b32_e32 v3, v29
	v_pk_fma_f32 v[4:5], v[4:5], v[6:7], v[24:25] neg_lo:[0,0,1] neg_hi:[0,0,1]
	v_pk_mul_f32 v[28:29], v[30:31], v[14:15] op_sel:[0,1]
	v_pk_fma_f32 v[6:7], v[18:19], v[8:9], v[26:27] neg_lo:[0,0,1] neg_hi:[0,0,1]
	v_mov_b32_e32 v5, v11
	v_pk_add_f32 v[2:3], v[2:3], 0 op_sel_hi:[1,0]
	s_delay_alu instid0(VALU_DEP_4) | instskip(SKIP_1) | instid1(VALU_DEP_3)
	v_pk_fma_f32 v[8:9], v[20:21], v[14:15], v[28:29] op_sel_hi:[1,0,1]
	v_mov_b32_e32 v7, v23
	v_pk_add_f32 v[2:3], v[2:3], v[4:5]
	v_pk_fma_f32 v[4:5], v[20:21], v[14:15], v[28:29] neg_lo:[0,0,1] neg_hi:[0,0,1]
	s_delay_alu instid0(VALU_DEP_4) | instskip(NEXT) | instid1(VALU_DEP_3)
	v_mov_b32_e32 v5, v9
	v_pk_add_f32 v[2:3], v[2:3], v[6:7]
	s_delay_alu instid0(VALU_DEP_1)
	v_pk_add_f32 v[2:3], v[2:3], v[4:5]
	ds_store_b64 v195, v[2:3]
	s_wait_dscnt 0x0
	s_barrier_signal -1
	s_barrier_wait -1
	s_and_saveexec_b32 s64, s10
	s_cbranch_execz .LBB183_32
; %bb.31:                               ;   in Loop: Header=BB183_4 Depth=1
	ds_load_2addr_b64 v[2:5], v192 offset1:7
	ds_load_2addr_b64 v[6:9], v192 offset0:1 offset1:2
	ds_load_2addr_b64 v[18:21], v192 offset0:3 offset1:4
	;; [unrolled: 1-line block ×3, first 2 shown]
	s_wait_dscnt 0x2
	v_dual_add_f32 v2, v6, v2 :: v_dual_add_f32 v3, v7, v3
	s_delay_alu instid0(VALU_DEP_1) | instskip(SKIP_1) | instid1(VALU_DEP_1)
	v_dual_add_f32 v2, v8, v2 :: v_dual_add_f32 v3, v9, v3
	s_wait_dscnt 0x1
	v_dual_add_f32 v2, v2, v18 :: v_dual_add_f32 v3, v3, v19
	s_delay_alu instid0(VALU_DEP_1) | instskip(SKIP_1) | instid1(VALU_DEP_1)
	v_dual_add_f32 v2, v2, v20 :: v_dual_add_f32 v3, v3, v21
	s_wait_dscnt 0x0
	v_dual_add_f32 v2, v2, v22 :: v_dual_add_f32 v3, v3, v23
	s_delay_alu instid0(VALU_DEP_1) | instskip(NEXT) | instid1(VALU_DEP_1)
	v_dual_add_f32 v2, v2, v24 :: v_dual_add_f32 v3, v3, v25
	v_pk_add_f32 v[112:113], v[2:3], v[4:5]
.LBB183_32:                             ;   in Loop: Header=BB183_4 Depth=1
	s_or_b32 exec_lo, exec_lo, s64
	v_lshl_add_u64 v[4:5], s[48:49], 3, v[0:1]
	s_and_b32 vcc_lo, exec_lo, s70
	s_mov_b32 s64, -1
	s_barrier_signal -1
	s_delay_alu instid0(VALU_DEP_1)
	v_add_nc_u64_e32 v[2:3], 0x100, v[4:5]
	s_barrier_wait -1
                                        ; implicit-def: $vgpr0_vgpr1
	s_cbranch_vccz .LBB183_42
; %bb.33:                               ;   in Loop: Header=BB183_4 Depth=1
	v_lshl_add_u64 v[0:1], v[102:103], 3, v[4:5]
	v_dual_mov_b32 v8, 0 :: v_dual_mov_b32 v6, 0
	v_mov_b32_e32 v7, 0
	s_delay_alu instid0(VALU_DEP_3) | instskip(NEXT) | instid1(VALU_DEP_1)
	v_lshl_add_u64 v[0:1], s[34:35], 3, v[0:1]
	v_add_nc_u64_e32 v[0:1], -8, v[0:1]
	s_delay_alu instid0(VALU_DEP_1)
	v_dual_cndmask_b32 v1, v1, v3, s11 :: v_dual_cndmask_b32 v0, v0, v2, s11
	s_and_saveexec_b32 s64, s12
	s_cbranch_execz .LBB183_35
; %bb.34:                               ;   in Loop: Header=BB183_4 Depth=1
	flat_load_b64 v[6:7], v[0:1]
.LBB183_35:                             ;   in Loop: Header=BB183_4 Depth=1
	s_wait_xcnt 0x0
	s_or_b32 exec_lo, exec_lo, s64
	v_mov_b32_e32 v9, 0
	s_wait_loadcnt_dscnt 0x0
	ds_store_b64 v16, v[6:7]
	s_and_saveexec_b32 s64, s13
	s_cbranch_execz .LBB183_37
; %bb.36:                               ;   in Loop: Header=BB183_4 Depth=1
	v_lshl_add_u64 v[6:7], s[42:43], 3, v[0:1]
	flat_load_b64 v[8:9], v[6:7]
.LBB183_37:                             ;   in Loop: Header=BB183_4 Depth=1
	s_wait_xcnt 0x0
	s_or_b32 exec_lo, exec_lo, s64
	v_dual_mov_b32 v6, 0 :: v_dual_mov_b32 v10, 0
	v_mov_b32_e32 v11, 0
	s_wait_loadcnt_dscnt 0x0
	ds_store_b64 v16, v[8:9] offset:2112
	s_and_saveexec_b32 s64, s14
	s_cbranch_execz .LBB183_39
; %bb.38:                               ;   in Loop: Header=BB183_4 Depth=1
	v_lshl_add_u64 v[8:9], s[44:45], 3, v[0:1]
	flat_load_b64 v[10:11], v[8:9]
.LBB183_39:                             ;   in Loop: Header=BB183_4 Depth=1
	s_wait_xcnt 0x0
	s_or_b32 exec_lo, exec_lo, s64
	v_mov_b32_e32 v7, 0
	s_wait_loadcnt_dscnt 0x0
	ds_store_b64 v16, v[10:11] offset:4224
	s_and_saveexec_b32 s64, s15
	s_cbranch_execz .LBB183_41
; %bb.40:                               ;   in Loop: Header=BB183_4 Depth=1
	v_lshl_add_u64 v[6:7], s[46:47], 3, v[0:1]
	flat_load_b64 v[6:7], v[6:7]
.LBB183_41:                             ;   in Loop: Header=BB183_4 Depth=1
	s_wait_xcnt 0x0
	s_or_b32 exec_lo, exec_lo, s64
	v_lshlrev_b32_e32 v64, 3, v56
	s_mov_b32 s64, 0
	s_wait_loadcnt_dscnt 0x0
	ds_store_b64 v16, v[6:7] offset:6336
	v_add_nc_u64_e32 v[0:1], v[0:1], v[64:65]
	s_delay_alu instid0(VALU_DEP_1) | instskip(NEXT) | instid1(VALU_DEP_1)
	v_lshl_add_u64 v[0:1], s[52:53], 3, v[0:1]
	v_add_nc_u64_e32 v[0:1], 0x108, v[0:1]
	s_delay_alu instid0(VALU_DEP_1)
	v_dual_cndmask_b32 v1, v1, v3, s11 :: v_dual_cndmask_b32 v0, v0, v2, s11
.LBB183_42:                             ;   in Loop: Header=BB183_4 Depth=1
	s_and_b32 vcc_lo, exec_lo, s64
	s_cbranch_vccz .LBB183_44
; %bb.43:                               ;   in Loop: Header=BB183_4 Depth=1
	v_lshl_add_u64 v[0:1], s[42:43], 3, v[4:5]
	s_delay_alu instid0(VALU_DEP_1) | instskip(NEXT) | instid1(VALU_DEP_1)
	v_add_nc_u64_e32 v[6:7], s[54:55], v[0:1]
	v_add_nc_u64_e32 v[8:9], s[54:55], v[6:7]
	s_clause 0x3
	flat_load_b64 v[4:5], v[4:5] offset:256
	flat_load_b64 v[10:11], v[0:1] offset:256
	;; [unrolled: 1-line block ×4, first 2 shown]
	s_wait_xcnt 0x2
	v_mov_b64_e32 v[0:1], v[2:3]
	s_wait_loadcnt_dscnt 0x303
	ds_store_b64 v16, v[4:5]
	s_wait_loadcnt_dscnt 0x203
	ds_store_b64 v16, v[10:11] offset:2112
	s_wait_loadcnt_dscnt 0x103
	ds_store_b64 v16, v[6:7] offset:4224
	;; [unrolled: 2-line block ×3, first 2 shown]
.LBB183_44:                             ;   in Loop: Header=BB183_4 Depth=1
	s_wait_dscnt 0x0
	s_barrier_signal -1
	s_barrier_wait -1
	s_wait_xcnt 0x0
	s_and_saveexec_b32 s64, s6
	s_cbranch_execnz .LBB183_130
; %bb.45:                               ;   in Loop: Header=BB183_4 Depth=1
	s_or_b32 exec_lo, exec_lo, s64
	s_and_saveexec_b32 s64, s7
	s_cbranch_execnz .LBB183_131
.LBB183_46:                             ;   in Loop: Header=BB183_4 Depth=1
	s_or_b32 exec_lo, exec_lo, s64
	s_and_saveexec_b32 s64, s8
	s_cbranch_execnz .LBB183_132
.LBB183_47:                             ;   in Loop: Header=BB183_4 Depth=1
	s_or_b32 exec_lo, exec_lo, s64
	s_and_saveexec_b32 s64, s9
	s_cbranch_execz .LBB183_49
.LBB183_48:                             ;   in Loop: Header=BB183_4 Depth=1
	ds_load_b64 v[2:3], v208 offset:528
	s_wait_dscnt 0x0
	ds_store_b64 v193, v[2:3] offset:24
.LBB183_49:                             ;   in Loop: Header=BB183_4 Depth=1
	s_or_b32 exec_lo, exec_lo, s64
	s_wait_dscnt 0x0
	s_barrier_signal -1
	s_barrier_wait -1
	ds_load_b64 v[10:11], v207
	ds_load_b128 v[2:5], v194 offset:256
	ds_load_2addr_b64 v[6:9], v208 offset1:33
	ds_load_b128 v[18:21], v194 offset:272
	ds_load_b64 v[14:15], v208 offset:528
	s_wait_dscnt 0x0
	s_barrier_signal -1
	s_barrier_wait -1
	v_pk_mul_f32 v[22:23], v[2:3], v[10:11] op_sel:[1,1] op_sel_hi:[0,1]
	v_dual_mov_b32 v24, v5 :: v_dual_mov_b32 v25, v4
	v_pk_mul_f32 v[26:27], v[18:19], v[8:9] op_sel:[1,1] op_sel_hi:[0,1]
	v_dual_mov_b32 v30, v21 :: v_dual_mov_b32 v31, v20
	s_delay_alu instid0(VALU_DEP_4) | instskip(NEXT) | instid1(VALU_DEP_4)
	v_pk_fma_f32 v[28:29], v[2:3], v[10:11], v[22:23] op_sel_hi:[1,0,1]
	v_pk_mul_f32 v[24:25], v[24:25], v[6:7] op_sel:[0,1]
	v_pk_fma_f32 v[2:3], v[2:3], v[10:11], v[22:23] neg_lo:[0,0,1] neg_hi:[0,0,1]
	v_pk_fma_f32 v[22:23], v[18:19], v[8:9], v[26:27] op_sel_hi:[1,0,1]
	s_delay_alu instid0(VALU_DEP_3)
	v_pk_fma_f32 v[10:11], v[4:5], v[6:7], v[24:25] op_sel_hi:[1,0,1]
	v_mov_b32_e32 v3, v29
	v_pk_fma_f32 v[4:5], v[4:5], v[6:7], v[24:25] neg_lo:[0,0,1] neg_hi:[0,0,1]
	v_pk_mul_f32 v[28:29], v[30:31], v[14:15] op_sel:[0,1]
	v_pk_fma_f32 v[6:7], v[18:19], v[8:9], v[26:27] neg_lo:[0,0,1] neg_hi:[0,0,1]
	v_mov_b32_e32 v5, v11
	v_pk_add_f32 v[2:3], v[2:3], 0 op_sel_hi:[1,0]
	s_delay_alu instid0(VALU_DEP_4) | instskip(SKIP_1) | instid1(VALU_DEP_3)
	v_pk_fma_f32 v[8:9], v[20:21], v[14:15], v[28:29] op_sel_hi:[1,0,1]
	v_mov_b32_e32 v7, v23
	v_pk_add_f32 v[2:3], v[2:3], v[4:5]
	v_pk_fma_f32 v[4:5], v[20:21], v[14:15], v[28:29] neg_lo:[0,0,1] neg_hi:[0,0,1]
	s_delay_alu instid0(VALU_DEP_4) | instskip(NEXT) | instid1(VALU_DEP_3)
	v_mov_b32_e32 v5, v9
	v_pk_add_f32 v[2:3], v[2:3], v[6:7]
	s_delay_alu instid0(VALU_DEP_1)
	v_pk_add_f32 v[2:3], v[2:3], v[4:5]
	ds_store_b64 v195, v[2:3]
	s_wait_dscnt 0x0
	s_barrier_signal -1
	s_barrier_wait -1
	s_and_saveexec_b32 s64, s16
	s_cbranch_execz .LBB183_51
; %bb.50:                               ;   in Loop: Header=BB183_4 Depth=1
	ds_load_2addr_b64 v[2:5], v192 offset1:7
	ds_load_2addr_b64 v[6:9], v192 offset0:1 offset1:2
	ds_load_2addr_b64 v[18:21], v192 offset0:3 offset1:4
	ds_load_2addr_b64 v[22:25], v192 offset0:5 offset1:6
	s_wait_dscnt 0x2
	v_dual_add_f32 v2, v6, v2 :: v_dual_add_f32 v3, v7, v3
	s_delay_alu instid0(VALU_DEP_1) | instskip(SKIP_1) | instid1(VALU_DEP_1)
	v_dual_add_f32 v2, v8, v2 :: v_dual_add_f32 v3, v9, v3
	s_wait_dscnt 0x1
	v_dual_add_f32 v2, v2, v18 :: v_dual_add_f32 v3, v3, v19
	s_delay_alu instid0(VALU_DEP_1) | instskip(SKIP_1) | instid1(VALU_DEP_1)
	v_dual_add_f32 v2, v2, v20 :: v_dual_add_f32 v3, v3, v21
	s_wait_dscnt 0x0
	v_dual_add_f32 v2, v2, v22 :: v_dual_add_f32 v3, v3, v23
	s_delay_alu instid0(VALU_DEP_1) | instskip(NEXT) | instid1(VALU_DEP_1)
	v_pk_add_f32 v[2:3], v[2:3], v[24:25]
	v_pk_add_f32 v[112:113], v[2:3], v[4:5]
.LBB183_51:                             ;   in Loop: Header=BB183_4 Depth=1
	s_or_b32 exec_lo, exec_lo, s64
	v_add_nc_u64_e32 v[2:3], s[58:59], v[0:1]
	s_and_b32 vcc_lo, exec_lo, s70
	s_mov_b32 s64, -1
	s_barrier_signal -1
	s_barrier_wait -1
                                        ; implicit-def: $vgpr14_vgpr15
	s_cbranch_vccz .LBB183_61
; %bb.52:                               ;   in Loop: Header=BB183_4 Depth=1
	v_lshl_add_u64 v[4:5], v[102:103], 3, v[0:1]
	v_dual_mov_b32 v8, 0 :: v_dual_mov_b32 v6, 0
	v_mov_b32_e32 v7, 0
	s_delay_alu instid0(VALU_DEP_3) | instskip(NEXT) | instid1(VALU_DEP_1)
	v_lshl_add_u64 v[4:5], s[34:35], 3, v[4:5]
	v_add_nc_u64_e32 v[4:5], s[60:61], v[4:5]
	s_delay_alu instid0(VALU_DEP_1)
	v_dual_cndmask_b32 v5, v5, v3, s1 :: v_dual_cndmask_b32 v4, v4, v2, s1
	s_and_saveexec_b32 s64, s12
	s_cbranch_execz .LBB183_54
; %bb.53:                               ;   in Loop: Header=BB183_4 Depth=1
	flat_load_b64 v[6:7], v[4:5]
.LBB183_54:                             ;   in Loop: Header=BB183_4 Depth=1
	s_wait_xcnt 0x0
	s_or_b32 exec_lo, exec_lo, s64
	v_mov_b32_e32 v9, 0
	s_wait_loadcnt_dscnt 0x0
	ds_store_b64 v16, v[6:7]
	s_and_saveexec_b32 s64, s13
	s_cbranch_execz .LBB183_56
; %bb.55:                               ;   in Loop: Header=BB183_4 Depth=1
	v_lshl_add_u64 v[6:7], s[42:43], 3, v[4:5]
	flat_load_b64 v[8:9], v[6:7]
.LBB183_56:                             ;   in Loop: Header=BB183_4 Depth=1
	s_wait_xcnt 0x0
	s_or_b32 exec_lo, exec_lo, s64
	v_dual_mov_b32 v6, 0 :: v_dual_mov_b32 v10, 0
	v_mov_b32_e32 v11, 0
	s_wait_loadcnt_dscnt 0x0
	ds_store_b64 v16, v[8:9] offset:2112
	s_and_saveexec_b32 s64, s14
	s_cbranch_execz .LBB183_58
; %bb.57:                               ;   in Loop: Header=BB183_4 Depth=1
	v_lshl_add_u64 v[8:9], s[44:45], 3, v[4:5]
	flat_load_b64 v[10:11], v[8:9]
.LBB183_58:                             ;   in Loop: Header=BB183_4 Depth=1
	s_wait_xcnt 0x0
	s_or_b32 exec_lo, exec_lo, s64
	v_mov_b32_e32 v7, 0
	s_wait_loadcnt_dscnt 0x0
	ds_store_b64 v16, v[10:11] offset:4224
	s_and_saveexec_b32 s64, s15
	s_cbranch_execz .LBB183_60
; %bb.59:                               ;   in Loop: Header=BB183_4 Depth=1
	v_lshl_add_u64 v[6:7], s[46:47], 3, v[4:5]
	flat_load_b64 v[6:7], v[6:7]
.LBB183_60:                             ;   in Loop: Header=BB183_4 Depth=1
	s_wait_xcnt 0x0
	s_or_b32 exec_lo, exec_lo, s64
	v_lshlrev_b32_e32 v64, 3, v56
	s_mov_b32 s64, 0
	s_wait_loadcnt_dscnt 0x0
	ds_store_b64 v16, v[6:7] offset:6336
	v_add_nc_u64_e32 v[4:5], v[4:5], v[64:65]
	s_delay_alu instid0(VALU_DEP_1) | instskip(NEXT) | instid1(VALU_DEP_1)
	v_lshl_add_u64 v[4:5], s[52:53], 3, v[4:5]
	v_add_nc_u64_e32 v[4:5], 8, v[4:5]
	s_delay_alu instid0(VALU_DEP_1)
	v_dual_cndmask_b32 v15, v5, v3, s1 :: v_dual_cndmask_b32 v14, v4, v2, s1
.LBB183_61:                             ;   in Loop: Header=BB183_4 Depth=1
	s_and_b32 vcc_lo, exec_lo, s64
	s_cbranch_vccz .LBB183_63
; %bb.62:                               ;   in Loop: Header=BB183_4 Depth=1
	v_lshl_add_u64 v[4:5], s[42:43], 3, v[0:1]
	v_mov_b64_e32 v[14:15], v[2:3]
	s_delay_alu instid0(VALU_DEP_2) | instskip(NEXT) | instid1(VALU_DEP_1)
	v_add_nc_u64_e32 v[6:7], s[54:55], v[4:5]
	v_add_nc_u64_e32 v[8:9], s[54:55], v[6:7]
	s_clause 0x3
	flat_load_b64 v[0:1], v[0:1] offset:-256
	flat_load_b64 v[4:5], v[4:5] offset:-256
	;; [unrolled: 1-line block ×4, first 2 shown]
	s_wait_loadcnt_dscnt 0x303
	ds_store_b64 v16, v[0:1]
	s_wait_loadcnt_dscnt 0x203
	ds_store_b64 v16, v[4:5] offset:2112
	s_wait_loadcnt_dscnt 0x103
	ds_store_b64 v16, v[6:7] offset:4224
	;; [unrolled: 2-line block ×3, first 2 shown]
.LBB183_63:                             ;   in Loop: Header=BB183_4 Depth=1
	s_wait_xcnt 0x3
	v_dual_add_nc_u32 v0, v193, v197 :: v_dual_add_nc_u32 v1, v194, v197
	s_wait_dscnt 0x0
	s_barrier_signal -1
	s_barrier_wait -1
	s_wait_xcnt 0x2
	ds_load_b64 v[4:5], v0
	s_wait_xcnt 0x1
	ds_load_b64 v[6:7], v1
	ds_load_2addr_b64 v[20:23], v204 offset0:8 offset1:16
	ds_load_2addr_b64 v[24:27], v205 offset0:8 offset1:16
	ds_load_b64 v[28:29], v204 offset:192
	ds_load_b64 v[30:31], v205 offset:192
	ds_load_2addr_b64 v[0:3], v208 offset1:33
	ds_load_b64 v[18:19], v207
	ds_load_b64 v[16:17], v208 offset:528
	s_wait_dscnt 0x7
	s_wait_xcnt 0x0
	v_pk_mul_f32 v[8:9], v[6:7], v[4:5] op_sel:[1,1] op_sel_hi:[0,1]
	s_wait_dscnt 0x5
	v_pk_mul_f32 v[10:11], v[24:25], v[20:21] op_sel:[1,1] op_sel_hi:[0,1]
	v_pk_mul_f32 v[34:35], v[26:27], v[22:23] op_sel:[1,1] op_sel_hi:[0,1]
	s_delay_alu instid0(VALU_DEP_3) | instskip(SKIP_1) | instid1(VALU_DEP_4)
	v_pk_fma_f32 v[32:33], v[6:7], v[4:5], v[8:9] op_sel_hi:[1,0,1]
	v_pk_fma_f32 v[4:5], v[6:7], v[4:5], v[8:9] neg_lo:[0,0,1] neg_hi:[0,0,1]
	v_pk_fma_f32 v[36:37], v[24:25], v[20:21], v[10:11] op_sel_hi:[1,0,1]
	v_pk_fma_f32 v[20:21], v[24:25], v[20:21], v[10:11] neg_lo:[0,0,1] neg_hi:[0,0,1]
	v_pk_fma_f32 v[24:25], v[26:27], v[22:23], v[34:35] op_sel_hi:[1,0,1]
	v_mov_b32_e32 v5, v33
	s_wait_dscnt 0x3
	v_pk_mul_f32 v[32:33], v[30:31], v[28:29] op_sel:[1,1] op_sel_hi:[0,1]
	v_mov_b32_e32 v21, v37
	v_pk_fma_f32 v[22:23], v[26:27], v[22:23], v[34:35] neg_lo:[0,0,1] neg_hi:[0,0,1]
	v_mov_b32_e32 v23, v25
	v_pk_add_f32 v[36:37], v[4:5], 0 op_sel_hi:[1,0]
	ds_load_b128 v[8:11], v194 offset:256
	ds_load_b128 v[4:7], v194 offset:272
	v_pk_fma_f32 v[24:25], v[30:31], v[28:29], v[32:33] op_sel_hi:[1,0,1]
	v_pk_fma_f32 v[26:27], v[30:31], v[28:29], v[32:33] neg_lo:[0,0,1] neg_hi:[0,0,1]
	s_wait_dscnt 0x0
	v_pk_add_f32 v[20:21], v[36:37], v[20:21]
	s_barrier_signal -1
	v_mov_b32_e32 v27, v25
	s_barrier_wait -1
	s_delay_alu instid0(VALU_DEP_2) | instskip(NEXT) | instid1(VALU_DEP_1)
	v_pk_add_f32 v[20:21], v[20:21], v[22:23]
	v_pk_add_f32 v[20:21], v[20:21], v[26:27]
	ds_store_b64 v195, v[20:21]
	s_wait_dscnt 0x0
	s_barrier_signal -1
	s_barrier_wait -1
	s_and_saveexec_b32 s64, s16
	s_cbranch_execz .LBB183_65
; %bb.64:                               ;   in Loop: Header=BB183_4 Depth=1
	ds_load_2addr_b64 v[20:23], v192 offset1:1
	ds_load_2addr_b64 v[24:27], v192 offset0:2 offset1:3
	ds_load_2addr_b64 v[28:31], v192 offset0:4 offset1:5
	s_wait_dscnt 0x2
	v_pk_add_f32 v[20:21], v[112:113], v[20:21]
	s_delay_alu instid0(VALU_DEP_1) | instskip(SKIP_1) | instid1(VALU_DEP_1)
	v_pk_add_f32 v[20:21], v[20:21], v[22:23]
	s_wait_dscnt 0x1
	v_pk_add_f32 v[24:25], v[20:21], v[24:25]
	ds_load_2addr_b64 v[20:23], v192 offset0:6 offset1:7
	v_pk_add_f32 v[24:25], v[24:25], v[26:27]
	s_wait_dscnt 0x1
	s_delay_alu instid0(VALU_DEP_1) | instskip(NEXT) | instid1(VALU_DEP_1)
	v_pk_add_f32 v[24:25], v[24:25], v[28:29]
	v_pk_add_f32 v[24:25], v[24:25], v[30:31]
	s_wait_dscnt 0x0
	s_delay_alu instid0(VALU_DEP_1) | instskip(NEXT) | instid1(VALU_DEP_1)
	v_pk_add_f32 v[20:21], v[24:25], v[20:21]
	v_pk_add_f32 v[112:113], v[20:21], v[22:23]
.LBB183_65:                             ;   in Loop: Header=BB183_4 Depth=1
	s_or_b32 exec_lo, exec_lo, s64
	v_pk_mul_f32 v[20:21], v[8:9], v[18:19] op_sel:[1,1] op_sel_hi:[0,1]
	v_dual_mov_b32 v22, v11 :: v_dual_mov_b32 v23, v10
	v_pk_mul_f32 v[24:25], v[4:5], v[2:3] op_sel:[1,1] op_sel_hi:[0,1]
	v_dual_mov_b32 v28, v7 :: v_dual_mov_b32 v29, v6
	s_delay_alu instid0(VALU_DEP_4) | instskip(NEXT) | instid1(VALU_DEP_4)
	v_pk_fma_f32 v[26:27], v[8:9], v[18:19], v[20:21] op_sel_hi:[1,0,1]
	v_pk_mul_f32 v[22:23], v[22:23], v[0:1] op_sel:[0,1]
	v_pk_fma_f32 v[8:9], v[8:9], v[18:19], v[20:21] neg_lo:[0,0,1] neg_hi:[0,0,1]
	v_pk_fma_f32 v[20:21], v[4:5], v[2:3], v[24:25] op_sel_hi:[1,0,1]
	v_pk_fma_f32 v[2:3], v[4:5], v[2:3], v[24:25] neg_lo:[0,0,1] neg_hi:[0,0,1]
	s_delay_alu instid0(VALU_DEP_4)
	v_pk_fma_f32 v[18:19], v[10:11], v[0:1], v[22:23] op_sel_hi:[1,0,1]
	v_mov_b32_e32 v9, v27
	v_pk_fma_f32 v[0:1], v[10:11], v[0:1], v[22:23] neg_lo:[0,0,1] neg_hi:[0,0,1]
	v_pk_mul_f32 v[26:27], v[28:29], v[16:17] op_sel:[0,1]
	s_barrier_signal -1
	v_mov_b32_e32 v1, v19
	v_pk_add_f32 v[8:9], v[8:9], 0 op_sel_hi:[1,0]
	s_barrier_wait -1
	v_pk_fma_f32 v[4:5], v[6:7], v[16:17], v[26:27] op_sel_hi:[1,0,1]
	v_mov_b32_e32 v3, v21
	v_pk_fma_f32 v[6:7], v[6:7], v[16:17], v[26:27] neg_lo:[0,0,1] neg_hi:[0,0,1]
	v_pk_add_f32 v[0:1], v[8:9], v[0:1]
	s_delay_alu instid0(VALU_DEP_4) | instskip(NEXT) | instid1(VALU_DEP_2)
	v_mov_b32_e32 v7, v5
	v_pk_add_f32 v[0:1], v[0:1], v[2:3]
	s_delay_alu instid0(VALU_DEP_1)
	v_pk_add_f32 v[0:1], v[0:1], v[6:7]
	ds_store_b64 v195, v[0:1]
	s_wait_dscnt 0x0
	s_barrier_signal -1
	s_barrier_wait -1
	s_and_saveexec_b32 s64, s10
	s_cbranch_execz .LBB183_67
; %bb.66:                               ;   in Loop: Header=BB183_4 Depth=1
	ds_load_2addr_b64 v[0:3], v192 offset1:1
	ds_load_2addr_b64 v[4:7], v192 offset0:2 offset1:3
	ds_load_2addr_b64 v[8:11], v192 offset0:4 offset1:5
	s_wait_dscnt 0x2
	v_pk_add_f32 v[0:1], v[112:113], v[0:1]
	s_delay_alu instid0(VALU_DEP_1) | instskip(SKIP_1) | instid1(VALU_DEP_1)
	v_pk_add_f32 v[0:1], v[0:1], v[2:3]
	s_wait_dscnt 0x1
	v_pk_add_f32 v[4:5], v[0:1], v[4:5]
	ds_load_2addr_b64 v[0:3], v192 offset0:6 offset1:7
	v_pk_add_f32 v[4:5], v[4:5], v[6:7]
	s_wait_dscnt 0x1
	s_delay_alu instid0(VALU_DEP_1) | instskip(NEXT) | instid1(VALU_DEP_1)
	v_pk_add_f32 v[4:5], v[4:5], v[8:9]
	v_pk_add_f32 v[4:5], v[4:5], v[10:11]
	s_wait_dscnt 0x0
	s_delay_alu instid0(VALU_DEP_1) | instskip(NEXT) | instid1(VALU_DEP_1)
	v_pk_add_f32 v[0:1], v[4:5], v[0:1]
	v_pk_add_f32 v[112:113], v[0:1], v[2:3]
.LBB183_67:                             ;   in Loop: Header=BB183_4 Depth=1
	s_or_b32 exec_lo, exec_lo, s64
	s_mul_u64 s[64:65], s[36:37], s[18:19]
	s_and_not1_b32 vcc_lo, exec_lo, s31
	s_lshl_b64 s[64:65], s[64:65], 3
	s_delay_alu instid0(SALU_CYCLE_1)
	s_add_nc_u64 s[64:65], s[38:39], s[64:65]
	s_barrier_signal -1
	s_barrier_wait -1
	s_cbranch_vccnz .LBB183_125
; %bb.68:                               ;   in Loop: Header=BB183_4 Depth=1
	v_add_nc_u64_e32 v[114:115], v[14:15], v[68:69]
	v_add_nc_u64_e32 v[116:117], v[14:15], v[70:71]
	;; [unrolled: 1-line block ×20, first 2 shown]
	v_lshl_add_u64 v[154:155], s[50:51], 3, v[12:13]
	v_mov_b32_e32 v57, v226
	s_mov_b32 s66, s74
	s_mov_b32 s76, s28
	s_branch .LBB183_70
.LBB183_69:                             ;   in Loop: Header=BB183_70 Depth=2
	s_wait_xcnt 0x0
	s_or_b32 exec_lo, exec_lo, s67
	v_dual_mul_f32 v22, v5, v159 :: v_dual_mul_f32 v5, v5, v158
	v_dual_mov_b32 v20, v177 :: v_dual_mov_b32 v21, v177
	v_mov_b32_e32 v177, v176
	s_delay_alu instid0(VALU_DEP_3) | instskip(NEXT) | instid1(VALU_DEP_4)
	v_dual_fma_f32 v22, v4, v158, -v22 :: v_dual_mul_f32 v23, v7, v157
	v_dual_fmac_f32 v5, v4, v159 :: v_dual_mul_f32 v4, v7, v156
	v_dual_mov_b32 v16, v175 :: v_dual_mov_b32 v17, v175
	s_delay_alu instid0(VALU_DEP_3) | instskip(SKIP_1) | instid1(VALU_DEP_4)
	v_dual_add_f32 v7, v112, v22 :: v_dual_fma_f32 v22, v6, v156, -v23
	v_mul_f32_e32 v23, v1, v161
	v_add_f32_e32 v5, v113, v5
	v_dual_fmac_f32 v4, v6, v157 :: v_dual_mul_f32 v1, v1, v160
	s_delay_alu instid0(VALU_DEP_3) | instskip(NEXT) | instid1(VALU_DEP_2)
	v_dual_add_f32 v6, v7, v22 :: v_dual_fma_f32 v7, v0, v160, -v23
	v_dual_mul_f32 v22, v3, v163 :: v_dual_add_f32 v4, v5, v4
	s_delay_alu instid0(VALU_DEP_3) | instskip(NEXT) | instid1(VALU_DEP_3)
	v_dual_fmac_f32 v1, v0, v161 :: v_dual_mul_f32 v0, v3, v162
	v_add_f32_e32 v3, v6, v7
	s_delay_alu instid0(VALU_DEP_3) | instskip(NEXT) | instid1(VALU_DEP_3)
	v_dual_fma_f32 v5, v2, v162, -v22 :: v_dual_mul_f32 v6, v13, v167
	v_dual_add_f32 v1, v4, v1 :: v_dual_fmac_f32 v0, v2, v163
	s_delay_alu instid0(VALU_DEP_2) | instskip(NEXT) | instid1(VALU_DEP_3)
	v_dual_mul_f32 v2, v13, v166 :: v_dual_add_f32 v3, v3, v5
	v_dual_fma_f32 v4, v12, v166, -v6 :: v_dual_mul_f32 v5, v15, v165
	s_delay_alu instid0(VALU_DEP_2) | instskip(SKIP_1) | instid1(VALU_DEP_3)
	v_dual_add_f32 v0, v1, v0 :: v_dual_fmac_f32 v2, v12, v167
	v_mul_f32_e32 v6, v15, v164
	v_add_f32_e32 v3, v3, v4
	s_delay_alu instid0(VALU_DEP_4) | instskip(NEXT) | instid1(VALU_DEP_3)
	v_dual_fma_f32 v4, v14, v164, -v5 :: v_dual_mul_f32 v5, v9, v169
	v_dual_add_f32 v7, v0, v2 :: v_dual_fmac_f32 v6, v14, v165
	v_dual_mul_f32 v1, v9, v168 :: v_dual_mov_b32 v175, v174
	s_delay_alu instid0(VALU_DEP_3) | instskip(NEXT) | instid1(VALU_DEP_2)
	v_dual_mov_b32 v18, v173 :: v_dual_fma_f32 v0, v8, v168, -v5
	v_dual_add_f32 v2, v3, v4 :: v_dual_fmac_f32 v1, v8, v169
	v_dual_mul_f32 v4, v11, v171 :: v_dual_mul_f32 v5, v11, v170
	v_dual_add_f32 v3, v7, v6 :: v_dual_mov_b32 v19, v173
	v_dual_mov_b32 v173, v172 :: v_dual_mov_b32 v6, v179
	s_delay_alu instid0(VALU_DEP_3) | instskip(SKIP_4) | instid1(VALU_DEP_4)
	v_fma_f32 v4, v10, v170, -v4
	v_pk_mul_f32 v[8:9], v[28:29], v[16:17]
	v_fmac_f32_e32 v5, v10, v171
	v_pk_add_f32 v[0:1], v[2:3], v[0:1]
	v_dual_mov_b32 v7, v179 :: v_dual_mov_b32 v179, v178
	v_pk_fma_f32 v[2:3], v[28:29], v[174:175], v[8:9] op_sel:[0,0,1] op_sel_hi:[1,1,0]
	v_pk_fma_f32 v[8:9], v[28:29], v[174:175], v[8:9] op_sel:[0,0,1] op_sel_hi:[1,1,0] neg_lo:[0,0,1] neg_hi:[0,0,1]
	s_delay_alu instid0(VALU_DEP_4) | instskip(SKIP_1) | instid1(VALU_DEP_4)
	v_pk_add_f32 v[0:1], v[0:1], v[4:5]
	v_pk_mul_f32 v[4:5], v[30:31], v[18:19]
	v_dual_mov_b32 v2, v183 :: v_dual_mov_b32 v9, v3
	v_dual_mov_b32 v3, v183 :: v_dual_mov_b32 v183, v182
	s_delay_alu instid0(VALU_DEP_3)
	v_pk_fma_f32 v[10:11], v[30:31], v[172:173], v[4:5] op_sel:[0,0,1] op_sel_hi:[1,1,0]
	v_pk_fma_f32 v[4:5], v[30:31], v[172:173], v[4:5] op_sel:[0,0,1] op_sel_hi:[1,1,0] neg_lo:[0,0,1] neg_hi:[0,0,1]
	v_mov_b32_e32 v10, v181
	v_pk_add_f32 v[0:1], v[0:1], v[8:9]
	v_pk_mul_f32 v[8:9], v[24:25], v[20:21]
	v_dual_mov_b32 v5, v11 :: v_dual_mov_b32 v11, v181
	v_mov_b32_e32 v181, v180
	v_pk_mul_f32 v[2:3], v[40:41], v[2:3]
	s_delay_alu instid0(VALU_DEP_4) | instskip(NEXT) | instid1(VALU_DEP_4)
	v_pk_fma_f32 v[12:13], v[24:25], v[176:177], v[8:9] op_sel:[0,0,1] op_sel_hi:[1,1,0]
	v_pk_add_f32 v[0:1], v[0:1], v[4:5]
	v_pk_mul_f32 v[4:5], v[26:27], v[6:7]
	v_pk_fma_f32 v[6:7], v[24:25], v[176:177], v[8:9] op_sel:[0,0,1] op_sel_hi:[1,1,0] neg_lo:[0,0,1] neg_hi:[0,0,1]
	s_delay_alu instid0(VALU_DEP_4) | instskip(SKIP_1) | instid1(VALU_DEP_4)
	v_dual_mov_b32 v12, v185 :: v_dual_mov_b32 v7, v13
	v_dual_mov_b32 v13, v185 :: v_dual_mov_b32 v185, v184
	v_pk_fma_f32 v[8:9], v[26:27], v[178:179], v[4:5] op_sel:[0,0,1] op_sel_hi:[1,1,0]
	v_pk_fma_f32 v[4:5], v[26:27], v[178:179], v[4:5] op_sel:[0,0,1] op_sel_hi:[1,1,0] neg_lo:[0,0,1] neg_hi:[0,0,1]
	v_mov_b32_e32 v8, v187
	v_pk_add_f32 v[0:1], v[0:1], v[6:7]
	v_pk_mul_f32 v[6:7], v[42:43], v[10:11]
	v_mov_b32_e32 v5, v9
	v_pk_fma_f32 v[10:11], v[40:41], v[182:183], v[2:3] op_sel:[0,0,1] op_sel_hi:[1,1,0]
	v_pk_fma_f32 v[2:3], v[40:41], v[182:183], v[2:3] op_sel:[0,0,1] op_sel_hi:[1,1,0] neg_lo:[0,0,1] neg_hi:[0,0,1]
	v_dual_mov_b32 v9, v187 :: v_dual_mov_b32 v187, v186
	s_delay_alu instid0(VALU_DEP_4)
	v_pk_add_f32 v[0:1], v[0:1], v[4:5]
	v_pk_fma_f32 v[4:5], v[42:43], v[180:181], v[6:7] op_sel:[0,0,1] op_sel_hi:[1,1,0]
	v_pk_mul_f32 v[12:13], v[44:45], v[12:13]
	v_mov_b32_e32 v3, v11
	v_pk_fma_f32 v[6:7], v[42:43], v[180:181], v[6:7] op_sel:[0,0,1] op_sel_hi:[1,1,0] neg_lo:[0,0,1] neg_hi:[0,0,1]
	v_pk_mul_f32 v[8:9], v[46:47], v[8:9]
	v_mov_b32_e32 v7, v5
	v_pk_fma_f32 v[4:5], v[44:45], v[184:185], v[12:13] op_sel:[0,0,1] op_sel_hi:[1,1,0]
	v_pk_add_f32 v[0:1], v[0:1], v[2:3]
	v_pk_fma_f32 v[2:3], v[44:45], v[184:185], v[12:13] op_sel:[0,0,1] op_sel_hi:[1,1,0] neg_lo:[0,0,1] neg_hi:[0,0,1]
	v_add_nc_u64_e32 v[114:115], s[56:57], v[114:115]
	v_add_nc_u64_e32 v[116:117], s[56:57], v[116:117]
	v_mov_b32_e32 v3, v5
	v_pk_fma_f32 v[4:5], v[46:47], v[186:187], v[8:9] op_sel:[0,0,1] op_sel_hi:[1,1,0]
	v_pk_add_f32 v[0:1], v[0:1], v[6:7]
	v_pk_fma_f32 v[6:7], v[46:47], v[186:187], v[8:9] op_sel:[0,0,1] op_sel_hi:[1,1,0] neg_lo:[0,0,1] neg_hi:[0,0,1]
	v_add_nc_u64_e32 v[118:119], s[56:57], v[118:119]
	v_add_nc_u64_e32 v[120:121], s[56:57], v[120:121]
	v_mov_b32_e32 v7, v5
	v_pk_add_f32 v[0:1], v[0:1], v[2:3]
	v_add_nc_u64_e32 v[122:123], s[56:57], v[122:123]
	v_add_nc_u64_e32 v[124:125], s[56:57], v[124:125]
	;; [unrolled: 1-line block ×16, first 2 shown]
	v_pk_add_f32 v[112:113], v[0:1], v[6:7]
	v_add_nc_u32_e32 v57, 64, v57
	s_add_co_i32 s67, s76, 1
	s_add_co_i32 s76, s76, 2
	;; [unrolled: 1-line block ×3, first 2 shown]
	s_cmp_ge_u32 s76, s30
	s_mov_b32 s76, s67
	s_wait_storecnt 0x0
	s_barrier_signal -1
	s_barrier_wait -1
	s_cbranch_scc1 .LBB183_125
.LBB183_70:                             ;   Parent Loop BB183_4 Depth=1
                                        ; =>  This Inner Loop Header: Depth=2
	s_cmp_eq_u32 s71, s76
	s_cselect_b32 s77, s69, 0
	s_and_saveexec_b32 s78, s0
	s_cbranch_execz .LBB183_75
; %bb.71:                               ;   in Loop: Header=BB183_70 Depth=2
	v_cmp_le_i32_e32 vcc_lo, s77, v188
	s_cmp_lg_u32 s77, 0
	s_cselect_b32 s67, -1, 0
	s_delay_alu instid0(SALU_CYCLE_1) | instskip(NEXT) | instid1(SALU_CYCLE_1)
	s_and_b32 s67, s67, vcc_lo
	s_and_saveexec_b32 s79, s67
	s_delay_alu instid0(SALU_CYCLE_1)
	s_xor_b32 s67, exec_lo, s79
; %bb.72:                               ;   in Loop: Header=BB183_70 Depth=2
	ds_store_b64 v210, v[110:111]
; %bb.73:                               ;   in Loop: Header=BB183_70 Depth=2
	s_and_not1_saveexec_b32 s67, s67
	s_cbranch_execz .LBB183_75
; %bb.74:                               ;   in Loop: Header=BB183_70 Depth=2
	s_ashr_i32 s67, s66, 31
	s_delay_alu instid0(SALU_CYCLE_1)
	v_lshl_add_u64 v[0:1], s[66:67], 3, v[154:155]
	flat_load_b64 v[0:1], v[0:1]
	s_wait_loadcnt_dscnt 0x0
	ds_store_b64 v210, v[0:1]
.LBB183_75:                             ;   in Loop: Header=BB183_70 Depth=2
	s_wait_xcnt 0x0
	s_or_b32 exec_lo, exec_lo, s78
	s_cmp_eq_u32 s77, 0
	v_add_nc_u64_e32 v[0:1], v[118:119], v[66:67]
	s_cselect_b32 s67, -1, 0
	s_cmp_lg_u32 s77, 0
	s_wait_dscnt 0x0
	s_cselect_b32 s78, -1, 0
	s_barrier_signal -1
	s_and_b32 vcc_lo, exec_lo, s78
	s_barrier_wait -1
	s_cbranch_vccz .LBB183_83
; %bb.76:                               ;   in Loop: Header=BB183_70 Depth=2
	v_mov_b64_e32 v[156:157], 0
	v_mov_b64_e32 v[158:159], 0
	s_mov_b32 s79, exec_lo
	v_cmpx_gt_i32_e64 s77, v196
	s_cbranch_execz .LBB183_78
; %bb.77:                               ;   in Loop: Header=BB183_70 Depth=2
	flat_load_b64 v[158:159], v[0:1]
.LBB183_78:                             ;   in Loop: Header=BB183_70 Depth=2
	s_wait_xcnt 0x0
	s_or_b32 exec_lo, exec_lo, s79
	s_delay_alu instid0(SALU_CYCLE_1)
	s_mov_b32 s79, exec_lo
	v_cmpx_gt_i32_e64 s77, v211
	s_cbranch_execz .LBB183_80
; %bb.79:                               ;   in Loop: Header=BB183_70 Depth=2
	v_add_nc_u64_e32 v[2:3], v[116:117], v[66:67]
	flat_load_b64 v[156:157], v[2:3]
.LBB183_80:                             ;   in Loop: Header=BB183_70 Depth=2
	s_wait_xcnt 0x0
	s_or_b32 exec_lo, exec_lo, s79
	v_mov_b64_e32 v[160:161], 0
	s_mov_b32 s79, exec_lo
	v_cmpx_gt_i32_e64 s77, v212
	s_cbranch_execz .LBB183_82
; %bb.81:                               ;   in Loop: Header=BB183_70 Depth=2
	v_add_nc_u64_e32 v[2:3], v[120:121], v[66:67]
	flat_load_b64 v[160:161], v[2:3]
.LBB183_82:                             ;   in Loop: Header=BB183_70 Depth=2
	s_wait_xcnt 0x0
	s_or_b32 exec_lo, exec_lo, s79
	v_cmp_gt_i32_e64 s79, s77, v213
	s_branch .LBB183_85
.LBB183_83:                             ;   in Loop: Header=BB183_70 Depth=2
	s_mov_b32 s79, 0
                                        ; implicit-def: $vgpr160_vgpr161
                                        ; implicit-def: $vgpr156_vgpr157
                                        ; implicit-def: $vgpr158_vgpr159
	s_cbranch_execz .LBB183_85
; %bb.84:                               ;   in Loop: Header=BB183_70 Depth=2
	v_add_nc_u64_e32 v[2:3], v[116:117], v[66:67]
	v_add_nc_u64_e32 v[4:5], v[114:115], v[66:67]
	s_or_b32 s79, s79, exec_lo
	s_wait_loadcnt_dscnt 0x0
	flat_load_b64 v[158:159], v[0:1]
	flat_load_b64 v[156:157], v[2:3]
	;; [unrolled: 1-line block ×3, first 2 shown]
.LBB183_85:                             ;   in Loop: Header=BB183_70 Depth=2
	v_mov_b64_e32 v[162:163], 0
	s_wait_xcnt 0x0
	s_delay_alu instid0(VALU_DEP_2)
	s_and_saveexec_b32 s80, s79
	s_cbranch_execz .LBB183_87
; %bb.86:                               ;   in Loop: Header=BB183_70 Depth=2
	v_add_nc_u64_e32 v[0:1], v[122:123], v[66:67]
	flat_load_b64 v[162:163], v[0:1]
.LBB183_87:                             ;   in Loop: Header=BB183_70 Depth=2
	s_wait_xcnt 0x0
	s_or_b32 exec_lo, exec_lo, s80
	ds_load_b64 v[0:1], v209
	v_cndmask_b32_e64 v40, 0, 1, s78
	s_and_not1_b32 vcc_lo, exec_lo, s78
	s_wait_loadcnt_dscnt 0x0
	v_pk_mul_f32 v[2:3], v[0:1], v[158:159] op_sel:[1,1] op_sel_hi:[0,1]
	v_pk_mul_f32 v[4:5], v[0:1], v[156:157] op_sel:[1,1] op_sel_hi:[0,1]
	;; [unrolled: 1-line block ×4, first 2 shown]
	s_delay_alu instid0(VALU_DEP_4)
	v_pk_fma_f32 v[10:11], v[0:1], v[158:159], v[2:3] neg_lo:[0,0,1] neg_hi:[0,0,1]
	v_pk_fma_f32 v[2:3], v[0:1], v[158:159], v[2:3] op_sel_hi:[1,0,1]
	v_pk_fma_f32 v[12:13], v[0:1], v[156:157], v[4:5] neg_lo:[0,0,1] neg_hi:[0,0,1]
	v_pk_fma_f32 v[4:5], v[0:1], v[156:157], v[4:5] op_sel_hi:[1,0,1]
	;; [unrolled: 2-line block ×3, first 2 shown]
	v_pk_fma_f32 v[16:17], v[0:1], v[162:163], v[8:9] op_sel_hi:[1,0,1]
	v_pk_fma_f32 v[8:9], v[0:1], v[162:163], v[8:9] neg_lo:[0,0,1] neg_hi:[0,0,1]
	v_dual_mov_b32 v11, v3 :: v_dual_mov_b32 v13, v5
	s_delay_alu instid0(VALU_DEP_3)
	v_dual_mov_b32 v15, v7 :: v_dual_mov_b32 v9, v17
	ds_load_b128 v[4:7], v198
	ds_load_b128 v[0:3], v198 offset:16
	ds_store_2addr_b64 v199, v[10:11], v[12:13] offset1:67
	ds_store_2addr_b64 v199, v[14:15], v[8:9] offset0:134 offset1:201
	s_wait_dscnt 0x0
	s_barrier_signal -1
	s_barrier_wait -1
	ds_load_2addr_b64 v[20:23], v200 offset1:1
	ds_load_2addr_b64 v[16:19], v200 offset0:2 offset1:3
	v_add_nc_u64_e32 v[8:9], v[128:129], v[66:67]
	s_wait_dscnt 0x0
	s_barrier_signal -1
	s_barrier_wait -1
	s_cbranch_vccnz .LBB183_95
; %bb.88:                               ;   in Loop: Header=BB183_70 Depth=2
	v_mov_b64_e32 v[164:165], 0
	v_mov_b64_e32 v[166:167], 0
	s_mov_b32 s78, exec_lo
	v_cmpx_gt_i32_e64 s77, v214
	s_cbranch_execz .LBB183_90
; %bb.89:                               ;   in Loop: Header=BB183_70 Depth=2
	flat_load_b64 v[166:167], v[8:9]
.LBB183_90:                             ;   in Loop: Header=BB183_70 Depth=2
	s_wait_xcnt 0x0
	s_or_b32 exec_lo, exec_lo, s78
	s_delay_alu instid0(SALU_CYCLE_1)
	s_mov_b32 s78, exec_lo
	v_cmpx_gt_i32_e64 s77, v215
	s_cbranch_execz .LBB183_92
; %bb.91:                               ;   in Loop: Header=BB183_70 Depth=2
	v_add_nc_u64_e32 v[10:11], v[126:127], v[66:67]
	flat_load_b64 v[164:165], v[10:11]
.LBB183_92:                             ;   in Loop: Header=BB183_70 Depth=2
	s_wait_xcnt 0x0
	s_or_b32 exec_lo, exec_lo, s78
	v_mov_b64_e32 v[168:169], 0
	s_mov_b32 s78, exec_lo
	v_cmpx_gt_i32_e64 s77, v216
	s_cbranch_execz .LBB183_94
; %bb.93:                               ;   in Loop: Header=BB183_70 Depth=2
	v_add_nc_u64_e32 v[10:11], v[130:131], v[66:67]
	flat_load_b64 v[168:169], v[10:11]
.LBB183_94:                             ;   in Loop: Header=BB183_70 Depth=2
	s_wait_xcnt 0x0
	s_or_b32 exec_lo, exec_lo, s78
	v_cmp_gt_i32_e64 s78, s77, v217
	s_branch .LBB183_97
.LBB183_95:                             ;   in Loop: Header=BB183_70 Depth=2
	s_mov_b32 s78, 0
                                        ; implicit-def: $vgpr168_vgpr169
                                        ; implicit-def: $vgpr164_vgpr165
                                        ; implicit-def: $vgpr166_vgpr167
	s_cbranch_execz .LBB183_97
; %bb.96:                               ;   in Loop: Header=BB183_70 Depth=2
	v_add_nc_u64_e32 v[10:11], v[126:127], v[66:67]
	v_add_nc_u64_e32 v[12:13], v[124:125], v[66:67]
	s_or_b32 s78, s78, exec_lo
	s_wait_loadcnt_dscnt 0x0
	flat_load_b64 v[166:167], v[8:9]
	flat_load_b64 v[164:165], v[10:11]
	;; [unrolled: 1-line block ×3, first 2 shown]
.LBB183_97:                             ;   in Loop: Header=BB183_70 Depth=2
	v_mov_b64_e32 v[170:171], 0
	s_wait_xcnt 0x0
	s_delay_alu instid0(VALU_DEP_2)
	s_and_saveexec_b32 s79, s78
	s_cbranch_execz .LBB183_99
; %bb.98:                               ;   in Loop: Header=BB183_70 Depth=2
	v_add_nc_u64_e32 v[8:9], v[132:133], v[66:67]
	flat_load_b64 v[170:171], v[8:9]
.LBB183_99:                             ;   in Loop: Header=BB183_70 Depth=2
	s_wait_xcnt 0x0
	s_or_b32 exec_lo, exec_lo, s79
	ds_load_b64 v[8:9], v209
	v_cmp_ne_u32_e32 vcc_lo, 1, v40
	s_and_b32 vcc_lo, exec_lo, vcc_lo
	s_wait_loadcnt_dscnt 0x0
	v_pk_mul_f32 v[10:11], v[8:9], v[166:167] op_sel:[1,1] op_sel_hi:[0,1]
	v_pk_mul_f32 v[12:13], v[8:9], v[164:165] op_sel:[1,1] op_sel_hi:[0,1]
	;; [unrolled: 1-line block ×4, first 2 shown]
	s_delay_alu instid0(VALU_DEP_4)
	v_pk_fma_f32 v[26:27], v[8:9], v[166:167], v[10:11] neg_lo:[0,0,1] neg_hi:[0,0,1]
	v_pk_fma_f32 v[10:11], v[8:9], v[166:167], v[10:11] op_sel_hi:[1,0,1]
	v_pk_fma_f32 v[28:29], v[8:9], v[164:165], v[12:13] neg_lo:[0,0,1] neg_hi:[0,0,1]
	v_pk_fma_f32 v[12:13], v[8:9], v[164:165], v[12:13] op_sel_hi:[1,0,1]
	;; [unrolled: 2-line block ×3, first 2 shown]
	v_pk_fma_f32 v[32:33], v[8:9], v[170:171], v[24:25] op_sel_hi:[1,0,1]
	v_pk_fma_f32 v[24:25], v[8:9], v[170:171], v[24:25] neg_lo:[0,0,1] neg_hi:[0,0,1]
	v_dual_mov_b32 v27, v11 :: v_dual_mov_b32 v29, v13
	s_delay_alu instid0(VALU_DEP_3)
	v_dual_mov_b32 v31, v15 :: v_dual_mov_b32 v25, v33
	ds_load_b128 v[12:15], v198 offset:128
	ds_load_b128 v[8:11], v198 offset:144
	ds_store_2addr_b64 v199, v[26:27], v[28:29] offset1:67
	ds_store_2addr_b64 v199, v[30:31], v[24:25] offset0:134 offset1:201
	s_wait_dscnt 0x0
	s_barrier_signal -1
	s_barrier_wait -1
	ds_load_2addr_b64 v[36:39], v200 offset1:1
	ds_load_2addr_b64 v[32:35], v200 offset0:2 offset1:3
	v_add_nc_u64_e32 v[24:25], v[138:139], v[66:67]
	s_wait_dscnt 0x0
	s_barrier_signal -1
	s_barrier_wait -1
	s_cbranch_vccnz .LBB183_107
; %bb.100:                              ;   in Loop: Header=BB183_70 Depth=2
	v_mov_b64_e32 v[172:173], 0
	v_mov_b64_e32 v[174:175], 0
	s_mov_b32 s78, exec_lo
	v_cmpx_gt_i32_e64 s77, v218
	s_cbranch_execz .LBB183_102
; %bb.101:                              ;   in Loop: Header=BB183_70 Depth=2
	flat_load_b64 v[174:175], v[24:25]
.LBB183_102:                            ;   in Loop: Header=BB183_70 Depth=2
	s_wait_xcnt 0x0
	s_or_b32 exec_lo, exec_lo, s78
	s_delay_alu instid0(SALU_CYCLE_1)
	s_mov_b32 s78, exec_lo
	v_cmpx_gt_i32_e64 s77, v219
	s_cbranch_execz .LBB183_104
; %bb.103:                              ;   in Loop: Header=BB183_70 Depth=2
	v_add_nc_u64_e32 v[26:27], v[136:137], v[66:67]
	flat_load_b64 v[172:173], v[26:27]
.LBB183_104:                            ;   in Loop: Header=BB183_70 Depth=2
	s_wait_xcnt 0x0
	s_or_b32 exec_lo, exec_lo, s78
	v_mov_b64_e32 v[176:177], 0
	s_mov_b32 s78, exec_lo
	v_cmpx_gt_i32_e64 s77, v220
	s_cbranch_execz .LBB183_106
; %bb.105:                              ;   in Loop: Header=BB183_70 Depth=2
	v_add_nc_u64_e32 v[26:27], v[140:141], v[66:67]
	flat_load_b64 v[176:177], v[26:27]
.LBB183_106:                            ;   in Loop: Header=BB183_70 Depth=2
	s_wait_xcnt 0x0
	s_or_b32 exec_lo, exec_lo, s78
	v_cmp_gt_i32_e64 s78, s77, v221
	s_branch .LBB183_109
.LBB183_107:                            ;   in Loop: Header=BB183_70 Depth=2
	s_mov_b32 s78, 0
                                        ; implicit-def: $vgpr176_vgpr177
                                        ; implicit-def: $vgpr172_vgpr173
                                        ; implicit-def: $vgpr174_vgpr175
	s_cbranch_execz .LBB183_109
; %bb.108:                              ;   in Loop: Header=BB183_70 Depth=2
	v_add_nc_u64_e32 v[26:27], v[136:137], v[66:67]
	v_add_nc_u64_e32 v[28:29], v[134:135], v[66:67]
	s_or_b32 s78, s78, exec_lo
	s_wait_loadcnt_dscnt 0x0
	flat_load_b64 v[174:175], v[24:25]
	flat_load_b64 v[172:173], v[26:27]
	;; [unrolled: 1-line block ×3, first 2 shown]
.LBB183_109:                            ;   in Loop: Header=BB183_70 Depth=2
	v_mov_b64_e32 v[178:179], 0
	s_wait_xcnt 0x0
	s_delay_alu instid0(VALU_DEP_2)
	s_and_saveexec_b32 s79, s78
	s_cbranch_execz .LBB183_111
; %bb.110:                              ;   in Loop: Header=BB183_70 Depth=2
	v_add_nc_u64_e32 v[24:25], v[142:143], v[66:67]
	flat_load_b64 v[178:179], v[24:25]
.LBB183_111:                            ;   in Loop: Header=BB183_70 Depth=2
	s_wait_xcnt 0x0
	s_or_b32 exec_lo, exec_lo, s79
	ds_load_b64 v[24:25], v209
	ds_load_b128 v[28:31], v198 offset:256
	v_cmp_ne_u32_e32 vcc_lo, 1, v40
	v_add_nc_u64_e32 v[40:41], v[148:149], v[66:67]
	s_and_b32 vcc_lo, exec_lo, vcc_lo
	s_wait_loadcnt_dscnt 0x1
	v_pk_mul_f32 v[26:27], v[24:25], v[174:175] op_sel:[0,1]
	v_pk_mul_f32 v[42:43], v[24:25], v[172:173] op_sel:[0,1]
	;; [unrolled: 1-line block ×4, first 2 shown]
	s_delay_alu instid0(VALU_DEP_4)
	v_pk_fma_f32 v[48:49], v[24:25], v[174:175], v[26:27] op_sel:[0,0,1] op_sel_hi:[1,1,0] neg_lo:[0,0,1] neg_hi:[0,0,1]
	v_pk_fma_f32 v[26:27], v[24:25], v[174:175], v[26:27] op_sel:[0,0,1] op_sel_hi:[1,0,0]
	v_pk_fma_f32 v[50:51], v[24:25], v[172:173], v[42:43] op_sel:[0,0,1] op_sel_hi:[1,1,0] neg_lo:[0,0,1] neg_hi:[0,0,1]
	v_pk_fma_f32 v[42:43], v[24:25], v[172:173], v[42:43] op_sel:[0,0,1] op_sel_hi:[1,0,0]
	;; [unrolled: 2-line block ×3, first 2 shown]
	v_pk_fma_f32 v[54:55], v[24:25], v[178:179], v[46:47] op_sel:[0,0,1] op_sel_hi:[1,0,0]
	v_pk_fma_f32 v[46:47], v[24:25], v[178:179], v[46:47] op_sel:[0,0,1] op_sel_hi:[1,1,0] neg_lo:[0,0,1] neg_hi:[0,0,1]
	v_dual_mov_b32 v49, v27 :: v_dual_mov_b32 v51, v43
	s_delay_alu instid0(VALU_DEP_3)
	v_dual_mov_b32 v53, v45 :: v_dual_mov_b32 v47, v55
	ds_load_b128 v[24:27], v198 offset:272
	ds_store_2addr_b64 v199, v[48:49], v[50:51] offset1:67
	ds_store_2addr_b64 v199, v[52:53], v[46:47] offset0:134 offset1:201
	s_wait_dscnt 0x0
	s_barrier_signal -1
	s_barrier_wait -1
	ds_load_2addr_b64 v[52:55], v200 offset1:1
	ds_load_2addr_b64 v[48:51], v200 offset0:2 offset1:3
	s_wait_dscnt 0x0
	s_barrier_signal -1
	s_barrier_wait -1
	s_cbranch_vccnz .LBB183_119
; %bb.112:                              ;   in Loop: Header=BB183_70 Depth=2
	v_mov_b64_e32 v[180:181], 0
	v_mov_b64_e32 v[182:183], 0
	s_mov_b32 s78, exec_lo
	v_cmpx_gt_i32_e64 s77, v222
	s_cbranch_execz .LBB183_114
; %bb.113:                              ;   in Loop: Header=BB183_70 Depth=2
	flat_load_b64 v[182:183], v[40:41]
.LBB183_114:                            ;   in Loop: Header=BB183_70 Depth=2
	s_wait_xcnt 0x0
	s_or_b32 exec_lo, exec_lo, s78
	s_delay_alu instid0(SALU_CYCLE_1)
	s_mov_b32 s78, exec_lo
	v_cmpx_gt_i32_e64 s77, v223
	s_cbranch_execz .LBB183_116
; %bb.115:                              ;   in Loop: Header=BB183_70 Depth=2
	v_add_nc_u64_e32 v[42:43], v[146:147], v[66:67]
	flat_load_b64 v[180:181], v[42:43]
.LBB183_116:                            ;   in Loop: Header=BB183_70 Depth=2
	s_wait_xcnt 0x0
	s_or_b32 exec_lo, exec_lo, s78
	v_mov_b64_e32 v[184:185], 0
	s_mov_b32 s78, exec_lo
	v_cmpx_gt_i32_e64 s77, v224
	s_cbranch_execz .LBB183_118
; %bb.117:                              ;   in Loop: Header=BB183_70 Depth=2
	v_add_nc_u64_e32 v[42:43], v[150:151], v[66:67]
	flat_load_b64 v[184:185], v[42:43]
.LBB183_118:                            ;   in Loop: Header=BB183_70 Depth=2
	s_wait_xcnt 0x0
	s_or_b32 exec_lo, exec_lo, s78
	v_cmp_gt_i32_e64 s78, s77, v225
	s_branch .LBB183_121
.LBB183_119:                            ;   in Loop: Header=BB183_70 Depth=2
	s_mov_b32 s78, 0
                                        ; implicit-def: $vgpr184_vgpr185
                                        ; implicit-def: $vgpr180_vgpr181
                                        ; implicit-def: $vgpr182_vgpr183
	s_cbranch_execz .LBB183_121
; %bb.120:                              ;   in Loop: Header=BB183_70 Depth=2
	v_add_nc_u64_e32 v[42:43], v[146:147], v[66:67]
	v_add_nc_u64_e32 v[44:45], v[144:145], v[66:67]
	s_or_b32 s78, s78, exec_lo
	s_wait_loadcnt_dscnt 0x0
	flat_load_b64 v[182:183], v[40:41]
	flat_load_b64 v[180:181], v[42:43]
	;; [unrolled: 1-line block ×3, first 2 shown]
.LBB183_121:                            ;   in Loop: Header=BB183_70 Depth=2
	v_mov_b64_e32 v[186:187], 0
	s_wait_xcnt 0x0
	s_delay_alu instid0(VALU_DEP_2)
	s_and_saveexec_b32 s79, s78
	s_cbranch_execz .LBB183_123
; %bb.122:                              ;   in Loop: Header=BB183_70 Depth=2
	v_add_nc_u64_e32 v[40:41], v[152:153], v[66:67]
	flat_load_b64 v[186:187], v[40:41]
.LBB183_123:                            ;   in Loop: Header=BB183_70 Depth=2
	s_wait_xcnt 0x0
	s_or_b32 exec_lo, exec_lo, s79
	ds_load_b64 v[44:45], v209
	ds_load_b128 v[40:43], v198 offset:384
	v_pk_add_f32 v[36:37], v[36:37], 0 op_sel_hi:[1,0]
	v_pk_add_f32 v[20:21], v[20:21], 0 op_sel_hi:[1,0]
	;; [unrolled: 1-line block ×3, first 2 shown]
	v_cmp_gt_i32_e32 vcc_lo, s77, v188
	s_delay_alu instid0(VALU_DEP_4) | instskip(NEXT) | instid1(VALU_DEP_4)
	v_pk_add_f32 v[36:37], v[36:37], v[38:39]
	v_pk_add_f32 v[20:21], v[20:21], v[22:23]
	s_delay_alu instid0(VALU_DEP_4) | instskip(SKIP_1) | instid1(VALU_DEP_3)
	v_pk_add_f32 v[52:53], v[52:53], v[54:55]
	s_or_b32 s67, s67, vcc_lo
	v_pk_add_f32 v[32:33], v[36:37], v[32:33]
	s_delay_alu instid0(VALU_DEP_3) | instskip(NEXT) | instid1(VALU_DEP_3)
	v_pk_add_f32 v[16:17], v[20:21], v[16:17]
	v_pk_add_f32 v[38:39], v[52:53], v[48:49]
	s_and_b32 s77, s17, s67
	s_delay_alu instid0(VALU_DEP_3) | instskip(NEXT) | instid1(VALU_DEP_3)
	v_pk_add_f32 v[32:33], v[32:33], v[34:35]
	v_pk_add_f32 v[16:17], v[16:17], v[18:19]
	s_wait_loadcnt_dscnt 0x1
	v_pk_mul_f32 v[46:47], v[44:45], v[182:183] op_sel:[0,1]
	v_pk_mul_f32 v[228:229], v[44:45], v[180:181] op_sel:[0,1]
	;; [unrolled: 1-line block ×4, first 2 shown]
	s_delay_alu instid0(VALU_DEP_4)
	v_pk_fma_f32 v[234:235], v[44:45], v[182:183], v[46:47] op_sel:[0,0,1] op_sel_hi:[1,1,0] neg_lo:[0,0,1] neg_hi:[0,0,1]
	v_pk_fma_f32 v[46:47], v[44:45], v[182:183], v[46:47] op_sel:[0,0,1] op_sel_hi:[1,0,0]
	v_pk_fma_f32 v[236:237], v[44:45], v[180:181], v[228:229] op_sel:[0,0,1] op_sel_hi:[1,1,0] neg_lo:[0,0,1] neg_hi:[0,0,1]
	v_pk_fma_f32 v[228:229], v[44:45], v[180:181], v[228:229] op_sel:[0,0,1] op_sel_hi:[1,0,0]
	v_pk_fma_f32 v[238:239], v[44:45], v[184:185], v[230:231] op_sel:[0,0,1] op_sel_hi:[1,1,0] neg_lo:[0,0,1] neg_hi:[0,0,1]
	v_pk_fma_f32 v[230:231], v[44:45], v[184:185], v[230:231] op_sel:[0,0,1] op_sel_hi:[1,0,0]
	v_pk_fma_f32 v[240:241], v[44:45], v[186:187], v[232:233] op_sel:[0,0,1] op_sel_hi:[1,0,0]
	v_pk_fma_f32 v[232:233], v[44:45], v[186:187], v[232:233] op_sel:[0,0,1] op_sel_hi:[1,1,0] neg_lo:[0,0,1] neg_hi:[0,0,1]
	v_dual_mov_b32 v235, v47 :: v_dual_mov_b32 v237, v229
	s_delay_alu instid0(VALU_DEP_3)
	v_dual_mov_b32 v239, v231 :: v_dual_mov_b32 v233, v241
	ds_load_b128 v[44:47], v198 offset:400
	ds_store_2addr_b64 v199, v[234:235], v[236:237] offset1:67
	ds_store_2addr_b64 v199, v[238:239], v[232:233] offset0:134 offset1:201
	s_wait_dscnt 0x0
	s_barrier_signal -1
	s_barrier_wait -1
	ds_load_2addr_b64 v[228:231], v200 offset1:1
	ds_load_2addr_b64 v[232:235], v200 offset0:2 offset1:3
	s_wait_dscnt 0x0
	s_barrier_signal -1
	s_barrier_wait -1
	v_pk_add_f32 v[228:229], v[228:229], 0 op_sel_hi:[1,0]
	s_delay_alu instid0(VALU_DEP_1) | instskip(NEXT) | instid1(VALU_DEP_1)
	v_pk_add_f32 v[22:23], v[228:229], v[230:231]
	v_pk_add_f32 v[20:21], v[22:23], v[232:233]
	;; [unrolled: 1-line block ×3, first 2 shown]
	s_delay_alu instid0(VALU_DEP_2)
	v_pk_add_f32 v[18:19], v[20:21], v[234:235]
	ds_store_2addr_b64 v206, v[16:17], v[32:33] offset1:16
	ds_store_2addr_b64 v206, v[22:23], v[18:19] offset0:32 offset1:48
	s_wait_dscnt 0x0
	s_barrier_signal -1
	s_barrier_wait -1
	s_and_saveexec_b32 s67, s77
	s_cbranch_execz .LBB183_69
; %bb.124:                              ;   in Loop: Header=BB183_70 Depth=2
	ds_load_b64 v[36:37], v201
	ds_load_2addr_b64 v[16:19], v201 offset0:1 offset1:2
	ds_load_2addr_b64 v[20:23], v201 offset0:3 offset1:4
	;; [unrolled: 1-line block ×3, first 2 shown]
	s_wait_dscnt 0x2
	v_dual_add_f32 v16, v16, v36 :: v_dual_add_f32 v17, v17, v37
	s_delay_alu instid0(VALU_DEP_1) | instskip(SKIP_3) | instid1(VALU_DEP_1)
	v_dual_add_f32 v36, v18, v16 :: v_dual_add_f32 v37, v19, v17
	ds_load_2addr_b64 v[16:19], v201 offset0:7 offset1:8
	s_wait_dscnt 0x2
	v_dual_add_f32 v20, v36, v20 :: v_dual_add_f32 v21, v37, v21
	v_dual_add_f32 v36, v20, v22 :: v_dual_add_f32 v37, v21, v23
	ds_load_2addr_b64 v[20:23], v201 offset0:9 offset1:10
	s_wait_dscnt 0x2
	v_pk_add_f32 v[32:33], v[36:37], v[32:33]
	s_delay_alu instid0(VALU_DEP_1) | instskip(SKIP_3) | instid1(VALU_DEP_1)
	v_pk_add_f32 v[36:37], v[32:33], v[34:35]
	ds_load_2addr_b64 v[32:35], v201 offset0:11 offset1:12
	s_wait_dscnt 0x2
	v_pk_add_f32 v[16:17], v[36:37], v[16:17]
	v_pk_add_f32 v[16:17], v[16:17], v[18:19]
	s_wait_dscnt 0x1
	s_delay_alu instid0(VALU_DEP_1)
	v_pk_add_f32 v[20:21], v[16:17], v[20:21]
	ds_load_2addr_b64 v[16:19], v201 offset0:13 offset1:14
	v_pk_add_f32 v[20:21], v[20:21], v[22:23]
	ds_load_b64 v[22:23], v202
	s_wait_dscnt 0x2
	v_pk_add_f32 v[20:21], v[20:21], v[32:33]
	s_delay_alu instid0(VALU_DEP_1) | instskip(SKIP_1) | instid1(VALU_DEP_1)
	v_pk_add_f32 v[20:21], v[20:21], v[34:35]
	s_wait_dscnt 0x1
	v_pk_add_f32 v[16:17], v[20:21], v[16:17]
	s_delay_alu instid0(VALU_DEP_1) | instskip(SKIP_1) | instid1(VALU_DEP_1)
	v_pk_add_f32 v[16:17], v[16:17], v[18:19]
	s_wait_dscnt 0x0
	v_pk_add_f32 v[16:17], v[16:17], v[22:23]
	global_store_b64 v57, v[16:17], s[64:65] scale_offset
	s_branch .LBB183_69
.LBB183_125:                            ;   in Loop: Header=BB183_4 Depth=1
	ds_store_b64 v203, v[112:113]
	s_wait_dscnt 0x0
	s_barrier_signal -1
	s_barrier_wait -1
	s_and_saveexec_b32 s66, s73
	s_cbranch_execz .LBB183_2
; %bb.126:                              ;   in Loop: Header=BB183_4 Depth=1
	ds_load_2addr_b64 v[0:3], v189 offset1:67
	ds_load_2addr_b64 v[4:7], v189 offset0:134 offset1:201
	s_wait_dscnt 0x1
	v_pk_add_f32 v[0:1], v[2:3], v[0:1]
	v_lshl_add_u64 v[2:3], v[58:59], 3, s[64:65]
	s_wait_dscnt 0x0
	s_delay_alu instid0(VALU_DEP_2) | instskip(NEXT) | instid1(VALU_DEP_1)
	v_pk_add_f32 v[0:1], v[4:5], v[0:1]
	v_pk_add_f32 v[0:1], v[0:1], v[6:7]
	global_store_b64 v[2:3], v[0:1], off
	s_branch .LBB183_2
.LBB183_127:                            ;   in Loop: Header=BB183_4 Depth=1
	ds_load_b64 v[2:3], v207
	s_wait_dscnt 0x0
	ds_store_b64 v193, v[2:3]
	s_or_b32 exec_lo, exec_lo, s64
	s_and_saveexec_b32 s64, s7
	s_cbranch_execz .LBB183_27
.LBB183_128:                            ;   in Loop: Header=BB183_4 Depth=1
	ds_load_b64 v[2:3], v208
	s_wait_dscnt 0x0
	ds_store_b64 v193, v[2:3] offset:8
	s_or_b32 exec_lo, exec_lo, s64
	s_and_saveexec_b32 s64, s8
	s_cbranch_execz .LBB183_28
.LBB183_129:                            ;   in Loop: Header=BB183_4 Depth=1
	ds_load_b64 v[2:3], v208 offset:264
	s_wait_dscnt 0x0
	ds_store_b64 v193, v[2:3] offset:16
	s_or_b32 exec_lo, exec_lo, s64
	s_and_saveexec_b32 s64, s9
	s_cbranch_execnz .LBB183_29
	s_branch .LBB183_30
.LBB183_130:                            ;   in Loop: Header=BB183_4 Depth=1
	ds_load_b64 v[2:3], v207
	s_wait_dscnt 0x0
	ds_store_b64 v193, v[2:3]
	s_or_b32 exec_lo, exec_lo, s64
	s_and_saveexec_b32 s64, s7
	s_cbranch_execz .LBB183_46
.LBB183_131:                            ;   in Loop: Header=BB183_4 Depth=1
	ds_load_b64 v[2:3], v208
	s_wait_dscnt 0x0
	ds_store_b64 v193, v[2:3] offset:8
	s_or_b32 exec_lo, exec_lo, s64
	s_and_saveexec_b32 s64, s8
	s_cbranch_execz .LBB183_47
.LBB183_132:                            ;   in Loop: Header=BB183_4 Depth=1
	ds_load_b64 v[2:3], v208 offset:264
	s_wait_dscnt 0x0
	ds_store_b64 v193, v[2:3] offset:16
	s_or_b32 exec_lo, exec_lo, s64
	s_and_saveexec_b32 s64, s9
	s_cbranch_execnz .LBB183_48
	s_branch .LBB183_49
.LBB183_133:
	s_sendmsg sendmsg(MSG_DEALLOC_VGPRS)
	s_endpgm
	.section	.rodata,"a",@progbits
	.p2align	6, 0x0
	.amdhsa_kernel _ZL26rocblas_hemvn_kernel_upperILb0ELi64ELi4ELi33ELi32ELi16Ei19rocblas_complex_numIfEPKPKS1_PS1_EviT6_lT7_lT5_lS8_lS9_lS7_lT8_i
		.amdhsa_group_segment_fixed_size 9600
		.amdhsa_private_segment_fixed_size 0
		.amdhsa_kernarg_size 376
		.amdhsa_user_sgpr_count 2
		.amdhsa_user_sgpr_dispatch_ptr 0
		.amdhsa_user_sgpr_queue_ptr 0
		.amdhsa_user_sgpr_kernarg_segment_ptr 1
		.amdhsa_user_sgpr_dispatch_id 0
		.amdhsa_user_sgpr_kernarg_preload_length 0
		.amdhsa_user_sgpr_kernarg_preload_offset 0
		.amdhsa_user_sgpr_private_segment_size 0
		.amdhsa_wavefront_size32 1
		.amdhsa_uses_dynamic_stack 0
		.amdhsa_enable_private_segment 0
		.amdhsa_system_sgpr_workgroup_id_x 1
		.amdhsa_system_sgpr_workgroup_id_y 0
		.amdhsa_system_sgpr_workgroup_id_z 1
		.amdhsa_system_sgpr_workgroup_info 0
		.amdhsa_system_vgpr_workitem_id 1
		.amdhsa_next_free_vgpr 242
		.amdhsa_next_free_sgpr 90
		.amdhsa_named_barrier_count 0
		.amdhsa_reserve_vcc 1
		.amdhsa_float_round_mode_32 0
		.amdhsa_float_round_mode_16_64 0
		.amdhsa_float_denorm_mode_32 3
		.amdhsa_float_denorm_mode_16_64 3
		.amdhsa_fp16_overflow 0
		.amdhsa_memory_ordered 1
		.amdhsa_forward_progress 1
		.amdhsa_inst_pref_size 67
		.amdhsa_round_robin_scheduling 0
		.amdhsa_exception_fp_ieee_invalid_op 0
		.amdhsa_exception_fp_denorm_src 0
		.amdhsa_exception_fp_ieee_div_zero 0
		.amdhsa_exception_fp_ieee_overflow 0
		.amdhsa_exception_fp_ieee_underflow 0
		.amdhsa_exception_fp_ieee_inexact 0
		.amdhsa_exception_int_div_zero 0
	.end_amdhsa_kernel
	.section	.text._ZL26rocblas_hemvn_kernel_upperILb0ELi64ELi4ELi33ELi32ELi16Ei19rocblas_complex_numIfEPKPKS1_PS1_EviT6_lT7_lT5_lS8_lS9_lS7_lT8_i,"axG",@progbits,_ZL26rocblas_hemvn_kernel_upperILb0ELi64ELi4ELi33ELi32ELi16Ei19rocblas_complex_numIfEPKPKS1_PS1_EviT6_lT7_lT5_lS8_lS9_lS7_lT8_i,comdat
.Lfunc_end183:
	.size	_ZL26rocblas_hemvn_kernel_upperILb0ELi64ELi4ELi33ELi32ELi16Ei19rocblas_complex_numIfEPKPKS1_PS1_EviT6_lT7_lT5_lS8_lS9_lS7_lT8_i, .Lfunc_end183-_ZL26rocblas_hemvn_kernel_upperILb0ELi64ELi4ELi33ELi32ELi16Ei19rocblas_complex_numIfEPKPKS1_PS1_EviT6_lT7_lT5_lS8_lS9_lS7_lT8_i
                                        ; -- End function
	.set _ZL26rocblas_hemvn_kernel_upperILb0ELi64ELi4ELi33ELi32ELi16Ei19rocblas_complex_numIfEPKPKS1_PS1_EviT6_lT7_lT5_lS8_lS9_lS7_lT8_i.num_vgpr, 242
	.set _ZL26rocblas_hemvn_kernel_upperILb0ELi64ELi4ELi33ELi32ELi16Ei19rocblas_complex_numIfEPKPKS1_PS1_EviT6_lT7_lT5_lS8_lS9_lS7_lT8_i.num_agpr, 0
	.set _ZL26rocblas_hemvn_kernel_upperILb0ELi64ELi4ELi33ELi32ELi16Ei19rocblas_complex_numIfEPKPKS1_PS1_EviT6_lT7_lT5_lS8_lS9_lS7_lT8_i.numbered_sgpr, 90
	.set _ZL26rocblas_hemvn_kernel_upperILb0ELi64ELi4ELi33ELi32ELi16Ei19rocblas_complex_numIfEPKPKS1_PS1_EviT6_lT7_lT5_lS8_lS9_lS7_lT8_i.num_named_barrier, 0
	.set _ZL26rocblas_hemvn_kernel_upperILb0ELi64ELi4ELi33ELi32ELi16Ei19rocblas_complex_numIfEPKPKS1_PS1_EviT6_lT7_lT5_lS8_lS9_lS7_lT8_i.private_seg_size, 0
	.set _ZL26rocblas_hemvn_kernel_upperILb0ELi64ELi4ELi33ELi32ELi16Ei19rocblas_complex_numIfEPKPKS1_PS1_EviT6_lT7_lT5_lS8_lS9_lS7_lT8_i.uses_vcc, 1
	.set _ZL26rocblas_hemvn_kernel_upperILb0ELi64ELi4ELi33ELi32ELi16Ei19rocblas_complex_numIfEPKPKS1_PS1_EviT6_lT7_lT5_lS8_lS9_lS7_lT8_i.uses_flat_scratch, 1
	.set _ZL26rocblas_hemvn_kernel_upperILb0ELi64ELi4ELi33ELi32ELi16Ei19rocblas_complex_numIfEPKPKS1_PS1_EviT6_lT7_lT5_lS8_lS9_lS7_lT8_i.has_dyn_sized_stack, 0
	.set _ZL26rocblas_hemvn_kernel_upperILb0ELi64ELi4ELi33ELi32ELi16Ei19rocblas_complex_numIfEPKPKS1_PS1_EviT6_lT7_lT5_lS8_lS9_lS7_lT8_i.has_recursion, 0
	.set _ZL26rocblas_hemvn_kernel_upperILb0ELi64ELi4ELi33ELi32ELi16Ei19rocblas_complex_numIfEPKPKS1_PS1_EviT6_lT7_lT5_lS8_lS9_lS7_lT8_i.has_indirect_call, 0
	.section	.AMDGPU.csdata,"",@progbits
; Kernel info:
; codeLenInByte = 8576
; TotalNumSgprs: 92
; NumVgprs: 242
; ScratchSize: 0
; MemoryBound: 1
; FloatMode: 240
; IeeeMode: 1
; LDSByteSize: 9600 bytes/workgroup (compile time only)
; SGPRBlocks: 0
; VGPRBlocks: 15
; NumSGPRsForWavesPerEU: 92
; NumVGPRsForWavesPerEU: 242
; NamedBarCnt: 0
; Occupancy: 4
; WaveLimiterHint : 1
; COMPUTE_PGM_RSRC2:SCRATCH_EN: 0
; COMPUTE_PGM_RSRC2:USER_SGPR: 2
; COMPUTE_PGM_RSRC2:TRAP_HANDLER: 0
; COMPUTE_PGM_RSRC2:TGID_X_EN: 1
; COMPUTE_PGM_RSRC2:TGID_Y_EN: 0
; COMPUTE_PGM_RSRC2:TGID_Z_EN: 1
; COMPUTE_PGM_RSRC2:TIDIG_COMP_CNT: 1
	.section	.text._ZL26rocblas_hemvn_kernel_lowerILb0ELi64ELi4ELi33ELi32ELi16ElPK19rocblas_complex_numIfEPKS3_PS1_EviT6_lT7_lT5_lS8_lS9_lS7_lT8_i,"axG",@progbits,_ZL26rocblas_hemvn_kernel_lowerILb0ELi64ELi4ELi33ELi32ELi16ElPK19rocblas_complex_numIfEPKS3_PS1_EviT6_lT7_lT5_lS8_lS9_lS7_lT8_i,comdat
	.globl	_ZL26rocblas_hemvn_kernel_lowerILb0ELi64ELi4ELi33ELi32ELi16ElPK19rocblas_complex_numIfEPKS3_PS1_EviT6_lT7_lT5_lS8_lS9_lS7_lT8_i ; -- Begin function _ZL26rocblas_hemvn_kernel_lowerILb0ELi64ELi4ELi33ELi32ELi16ElPK19rocblas_complex_numIfEPKS3_PS1_EviT6_lT7_lT5_lS8_lS9_lS7_lT8_i
	.p2align	8
	.type	_ZL26rocblas_hemvn_kernel_lowerILb0ELi64ELi4ELi33ELi32ELi16ElPK19rocblas_complex_numIfEPKS3_PS1_EviT6_lT7_lT5_lS8_lS9_lS7_lT8_i,@function
_ZL26rocblas_hemvn_kernel_lowerILb0ELi64ELi4ELi33ELi32ELi16ElPK19rocblas_complex_numIfEPKS3_PS1_EviT6_lT7_lT5_lS8_lS9_lS7_lT8_i: ; @_ZL26rocblas_hemvn_kernel_lowerILb0ELi64ELi4ELi33ELi32ELi16ElPK19rocblas_complex_numIfEPKS3_PS1_EviT6_lT7_lT5_lS8_lS9_lS7_lT8_i
; %bb.0:
	s_clause 0x1
	s_load_b64 s[4:5], s[0:1], 0x84
	s_load_b32 s21, s[0:1], 0x70
	s_bfe_u32 s2, ttmp6, 0x40014
	s_lshr_b32 s3, ttmp7, 16
	s_add_co_i32 s2, s2, 1
	s_bfe_u32 s6, ttmp6, 0x40008
	s_mul_i32 s7, s3, s2
	s_getreg_b32 s2, hwreg(HW_REG_IB_STS2, 6, 4)
	s_add_co_i32 s6, s6, s7
	s_mov_b32 s35, 0
	s_wait_kmcnt 0x0
	s_lshr_b32 s7, s4, 16
	s_and_b32 s4, s4, 0xffff
	s_and_b32 s5, s5, 0xffff
	s_mul_i32 s4, s7, s4
	s_cmp_eq_u32 s2, 0
	s_mul_i32 s4, s4, s5
	s_cselect_b32 s22, s3, s6
	s_cmp_lg_u32 s4, 0x100
	s_cselect_b32 s3, -1, 0
	s_cmp_ge_u32 s22, s21
	s_cselect_b32 s4, -1, 0
	s_delay_alu instid0(SALU_CYCLE_1) | instskip(NEXT) | instid1(SALU_CYCLE_1)
	s_or_b32 s3, s3, s4
	s_and_b32 vcc_lo, exec_lo, s3
	s_cbranch_vccnz .LBB184_81
; %bb.1:
	s_load_b32 s4, s[0:1], 0x0
	s_add_nc_u64 s[6:7], s[0:1], 0x78
	s_load_b32 s34, s[6:7], 0x0
	s_clause 0x4
	s_load_b64 s[98:99], s[0:1], 0x28
	s_load_b128 s[36:39], s[0:1], 0x38
	s_load_b64 s[8:9], s[0:1], 0x68
	s_load_b64 s[44:45], s[0:1], 0x48
	s_load_b128 s[40:43], s[0:1], 0x58
	s_bfe_u32 s5, ttmp6, 0x4000c
	s_and_b32 s3, ttmp6, 15
	s_add_co_i32 s5, s5, 1
	v_and_b32_e32 v32, 0x3ff, v0
	s_mul_i32 s5, ttmp9, s5
	v_bfe_u32 v1, v0, 10, 10
	s_add_co_i32 s3, s3, s5
	v_dual_mov_b32 v35, 0 :: v_dual_bitop2_b32 v34, 31, v0 bitop3:0x40
                                        ; implicit-def: $vgpr126 : SGPR spill to VGPR lane
	v_mov_b64_e32 v[48:49], 0
	s_delay_alu instid0(VALU_DEP_3) | instskip(SKIP_1) | instid1(VALU_DEP_4)
	v_lshl_add_u32 v4, v1, 6, v32
	v_lshl_add_u32 v95, v1, 5, 0x2180
	v_lshlrev_b32_e32 v5, 3, v34
	v_mul_u32_u24_e32 v14, 33, v34
	v_sub_nc_u64_e32 v[42:43], 0, v[34:35]
	v_lshrrev_b32_e32 v2, 5, v4
	s_wait_kmcnt 0x0
	s_ashr_i32 s5, s4, 31
	s_cmp_eq_u32 s2, 0
	v_lshl_or_b32 v89, v34, 8, v5
	s_cselect_b32 s33, ttmp9, s3
	s_lshr_b32 s3, s5, 26
	s_add_co_i32 s6, s34, -1
	s_add_co_i32 s3, s4, s3
	s_lshl_b32 s102, s33, 6
	s_and_not1_b32 s3, s3, 63
	v_dual_add_nc_u32 v36, s102, v32 :: v_dual_lshlrev_b32 v33, 3, v32
	s_sub_co_i32 s3, s4, s3
	s_cmp_eq_u32 s33, s6
	s_mul_i32 s6, s4, s33
	s_cselect_b32 s46, s3, 0
	v_dual_add_nc_u32 v7, 16, v2 :: v_dual_lshlrev_b32 v8, 2, v2
	s_cmp_eq_u32 s46, 0
	v_and_b32_e32 v10, 0x7fe0, v4
	s_cselect_b32 s104, -1, 0
	s_cmp_lg_u32 s46, 0
	v_mad_nc_u64_u32 v[40:41], s98, v2, v[34:35]
	s_cselect_b32 s3, -1, 0
	s_ashr_i32 s7, s6, 31
	s_sub_co_i32 s15, s46, 32
	s_lshl_b64 s[6:7], s[6:7], 3
	v_dual_ashrrev_i32 v37, 31, v36 :: v_dual_add_nc_u32 v3, 8, v2
	s_add_nc_u64 s[50:51], s[8:9], s[6:7]
	v_dual_add_nc_u32 v9, 24, v2 :: v_dual_bitop2_b32 v11, 1, v8 bitop3:0x54
	v_cmp_lt_u32_e64 s9, v8, v34
	v_dual_add_nc_u32 v90, v89, v10 :: v_dual_bitop2_b32 v13, 2, v8 bitop3:0x54
	v_dual_lshlrev_b32 v15, 3, v2 :: v_dual_bitop2_b32 v8, 3, v8 bitop3:0x54
	v_cmp_gt_i32_e64 s16, s15, v2
	v_add_nc_u32_e32 v88, 0x2380, v33
	s_mul_u64 s[48:49], s[34:35], s[4:5]
	v_mad_u32 v41, s99, v2, v41
	v_lshl_add_u32 v92, v14, 3, v15
	v_writelane_b32 v126, s16, 0
	v_cmp_gt_i32_e64 s16, s15, v3
	v_mul_u32_u24_e32 v6, 0x108, v2
	v_cmp_gt_i32_e64 s5, s46, v2
	v_cmp_gt_i32_e64 s6, s46, v3
	;; [unrolled: 1-line block ×3, first 2 shown]
	v_mul_u32_u24_e32 v12, 0x420, v2
	v_cmp_lt_u32_e64 s12, v8, v34
	v_or_b32_e32 v8, 32, v34
	v_writelane_b32 v126, s16, 1
	v_cmp_gt_i32_e64 s16, s15, v7
	v_cmp_eq_u32_e64 s19, 1, v2
	v_mul_i32_i24_e32 v7, 0xffffffe8, v2
	v_mad_u32_u24 v93, v2, 24, v92
	v_dual_mov_b32 v3, v35 :: v_dual_lshlrev_b32 v2, 2, v1
	v_mul_u64_e32 v[38:39], s[44:45], v[36:37]
	s_ashr_i32 s103, s102, 31
	v_cmp_gt_i32_e64 s14, s46, v8
	s_mul_u64 s[24:25], s[44:45], s[102:103]
	v_mul_u64_e32 v[46:47], s[98:99], v[2:3]
	s_sub_nc_u64 s[64:65], 0, s[24:25]
	s_load_b256 s[24:31], s[0:1], 0x8
	v_dual_lshrrev_b32 v8, 4, v4 :: v_dual_add_nc_u32 v102, v5, v6
	v_cmp_gt_i32_e64 s8, s46, v9
	v_cmp_lt_u32_e64 s10, v11, v34
	v_mul_u32_u24_e32 v11, 0x108, v11
	v_add_nc_u32_e32 v91, 0x2380, v10
	v_cmp_gt_i32_e64 s18, s15, v9
	v_and_b32_e32 v9, 15, v0
	s_delay_alu instid0(VALU_DEP_4) | instskip(NEXT) | instid1(VALU_DEP_4)
	v_dual_add_nc_u32 v104, v5, v11 :: v_dual_bitop2_b32 v0, 48, v0 bitop3:0x40
	v_dual_lshlrev_b32 v2, 5, v8 :: v_dual_add_nc_u32 v105, v91, v7
	v_cmp_le_i32_e32 vcc_lo, s46, v32
	s_delay_alu instid0(VALU_DEP_3) | instskip(SKIP_1) | instid1(VALU_DEP_4)
	v_lshlrev_b32_e32 v0, 3, v0
	v_or_b32_e32 v3, 0x78, v33
	v_mad_u32_u24 v97, 0x218, v9, v2
	v_mul_i32_i24_e32 v2, 0xffffffe8, v8
	v_cmp_eq_u32_e64 s2, 0, v1
	s_and_b32 s3, s3, vcc_lo
	v_sub_nc_u64_e32 v[44:45], 0, v[40:41]
	s_lshl_b64 s[54:55], s[98:99], 6
	s_lshl_b64 s[56:57], s[98:99], 7
	v_cmp_gt_i32_e64 s4, s46, v34
	s_ashr_i32 s47, s46, 31
	v_cmp_lt_u32_e64 s11, v13, v34
	v_cmp_gt_u32_e64 s13, 32, v4
	s_lshl_b64 s[60:61], s[98:99], 5
	s_xor_b32 s15, s3, -1
	v_add_nc_u32_e32 v94, 0x2180, v33
	v_mad_u32_u24 v96, 0x860, v1, v33
	v_cmp_gt_u32_e64 s20, 64, v4
	v_mad_u32_u24 v98, 0x218, v9, v0
	v_mad_u32_u24 v99, 0x218, v9, v3
	;; [unrolled: 1-line block ×3, first 2 shown]
	v_add_nc_u32_e32 v101, 0x2380, v15
	v_dual_add_nc_u32 v103, v5, v12 :: v_dual_lshlrev_b32 v34, 3, v34
	v_add_nc_u32_e32 v106, v97, v2
	s_mul_u64 s[52:53], s[98:99], s[102:103]
	s_cmp_gt_i32 s33, 0
	s_mul_u64 s[58:59], s[98:99], 0xc0
	s_sub_nc_u64 s[62:63], 0, s[60:61]
	s_cselect_b32 vcc_hi, -1, 0
	s_sub_nc_u64 s[66:67], 0, s[52:53]
	s_and_b32 s15, s2, s15
	s_sub_nc_u64 s[68:69], 0, s[46:47]
	s_lshl_b64 s[70:71], s[98:99], 3
	s_lshl_b64 s[72:73], s[98:99], 4
	;; [unrolled: 1-line block ×3, first 2 shown]
	s_mul_u64 s[76:77], s[98:99], 24
	s_mul_u64 s[78:79], s[98:99], 0x90
	;; [unrolled: 1-line block ×3, first 2 shown]
	s_lshl_b64 s[82:83], s[98:99], 8
	s_mul_u64 s[84:85], s[98:99], 0x110
	s_mul_u64 s[86:87], s[98:99], 0x118
	s_mul_u64 s[88:89], s[98:99], 0x180
	s_mul_u64 s[90:91], s[98:99], 0x190
	s_mul_u64 s[92:93], s[98:99], 0x198
	s_mul_u64 s[94:95], s[98:99], 0x188
	s_mul_u64 s[96:97], s[98:99], 0x108
	s_mul_u64 s[98:99], s[98:99], 0x88
	s_mov_b64 s[100:101], 0xfffffffffffffef8
	s_lshl_b64 s[102:103], s[102:103], 3
	s_lshl_b64 s[38:39], s[38:39], 3
	s_wait_kmcnt 0x0
	s_lshl_b64 s[30:31], s[30:31], 3
	v_writelane_b32 v126, s16, 2
	s_branch .LBB184_4
.LBB184_2:                              ;   in Loop: Header=BB184_4 Depth=1
	s_wait_xcnt 0x0
	s_or_b32 exec_lo, exec_lo, s23
.LBB184_3:                              ;   in Loop: Header=BB184_4 Depth=1
	s_add_co_i32 s22, s22, 0x10000
	s_delay_alu instid0(SALU_CYCLE_1)
	s_cmp_lt_u32 s22, s21
	s_cbranch_scc0 .LBB184_81
.LBB184_4:                              ; =>This Loop Header: Depth=1
                                        ;     Child Loop BB184_69 Depth 2
	s_mov_b32 s23, s35
	s_delay_alu instid0(SALU_CYCLE_1) | instskip(NEXT) | instid1(SALU_CYCLE_1)
	s_mul_u64 s[0:1], s[26:27], s[22:23]
	s_lshl_b64 s[0:1], s[0:1], 3
	s_delay_alu instid0(SALU_CYCLE_1)
	s_add_nc_u64 s[0:1], s[24:25], s[0:1]
	global_load_b64 v[0:1], v35, s[0:1]
	s_wait_xcnt 0x0
	s_mov_b32 s0, -1
	s_wait_loadcnt 0x0
	v_or_b32_e32 v0, v0, v1
	s_delay_alu instid0(VALU_DEP_1) | instskip(NEXT) | instid1(VALU_DEP_1)
	v_and_b32_e32 v0, 0x7fffffff, v0
	v_cmp_ne_u32_e32 vcc_lo, 0, v0
	s_cbranch_vccz .LBB184_6
; %bb.5:                                ;   in Loop: Header=BB184_4 Depth=1
	s_and_not1_b32 vcc_lo, exec_lo, s0
	s_cbranch_vccnz .LBB184_3
	s_branch .LBB184_7
.LBB184_6:                              ;   in Loop: Header=BB184_4 Depth=1
	s_mul_u64 s[0:1], s[42:43], s[22:23]
	s_delay_alu instid0(SALU_CYCLE_1) | instskip(NEXT) | instid1(SALU_CYCLE_1)
	s_lshl_b64 s[0:1], s[0:1], 3
	s_add_nc_u64 s[0:1], s[40:41], s[0:1]
	global_load_b64 v[0:1], v35, s[0:1]
	s_wait_loadcnt 0x0
	v_cmp_eq_f32_e32 vcc_lo, 1.0, v0
	s_wait_xcnt 0x0
	v_cmp_eq_f32_e64 s0, 0, v1
	s_and_b32 s0, vcc_lo, s0
	s_delay_alu instid0(SALU_CYCLE_1)
	s_and_not1_b32 vcc_lo, exec_lo, s0
	s_cbranch_execnz .LBB184_3
.LBB184_7:                              ;   in Loop: Header=BB184_4 Depth=1
	s_lshl_b64 s[0:1], s[22:23], 3
	s_delay_alu instid0(SALU_CYCLE_1)
	s_add_nc_u64 s[16:17], s[36:37], s[0:1]
	s_add_nc_u64 s[0:1], s[28:29], s[0:1]
	s_clause 0x1
	global_load_b64 v[2:3], v35, s[16:17]
	global_load_b64 v[0:1], v35, s[0:1]
	s_wait_loadcnt 0x1
	v_add_nc_u64_e32 v[2:3], s[38:39], v[2:3]
	s_delay_alu instid0(VALU_DEP_1)
	v_lshl_add_u64 v[16:17], v[38:39], 3, v[2:3]
	s_wait_xcnt 0x0
	s_and_saveexec_b32 s0, s2
	s_cbranch_execz .LBB184_12
; %bb.8:                                ;   in Loop: Header=BB184_4 Depth=1
	s_and_saveexec_b32 s1, s3
	s_delay_alu instid0(SALU_CYCLE_1)
	s_xor_b32 s1, exec_lo, s1
; %bb.9:                                ;   in Loop: Header=BB184_4 Depth=1
	ds_store_b64 v88, v[48:49]
; %bb.10:                               ;   in Loop: Header=BB184_4 Depth=1
	s_and_not1_saveexec_b32 s1, s1
	s_cbranch_execz .LBB184_12
; %bb.11:                               ;   in Loop: Header=BB184_4 Depth=1
	flat_load_b64 v[2:3], v[16:17]
	s_wait_loadcnt_dscnt 0x0
	ds_store_b64 v88, v[2:3]
.LBB184_12:                             ;   in Loop: Header=BB184_4 Depth=1
	s_wait_xcnt 0x0
	s_or_b32 exec_lo, exec_lo, s0
	s_wait_loadcnt 0x0
	v_add_nc_u64_e32 v[0:1], s[30:31], v[0:1]
	s_and_not1_b32 vcc_lo, exec_lo, s104
	s_mov_b32 s0, -1
	s_delay_alu instid0(VALU_DEP_1) | instskip(NEXT) | instid1(VALU_DEP_1)
	v_add_nc_u64_e32 v[0:1], s[102:103], v[0:1]
	v_lshl_add_u64 v[0:1], v[40:41], 3, v[0:1]
	s_delay_alu instid0(VALU_DEP_1)
	v_lshl_add_u64 v[0:1], s[52:53], 3, v[0:1]
	s_cbranch_vccnz .LBB184_14
; %bb.13:                               ;   in Loop: Header=BB184_4 Depth=1
	s_delay_alu instid0(VALU_DEP_1) | instskip(SKIP_1) | instid1(VALU_DEP_1)
	v_add_nc_u64_e32 v[2:3], s[54:55], v[0:1]
	s_mov_b32 s0, 0
	v_add_nc_u64_e32 v[4:5], s[54:55], v[2:3]
	s_delay_alu instid0(VALU_DEP_1)
	v_add_nc_u64_e32 v[6:7], s[54:55], v[4:5]
	s_clause 0x3
	flat_load_b64 v[8:9], v[0:1]
	flat_load_b64 v[2:3], v[2:3]
	;; [unrolled: 1-line block ×4, first 2 shown]
	s_wait_loadcnt_dscnt 0x303
	ds_store_b64 v102, v[8:9]
	s_wait_loadcnt_dscnt 0x203
	ds_store_b64 v102, v[2:3] offset:2112
	s_wait_loadcnt_dscnt 0x103
	ds_store_b64 v102, v[4:5] offset:4224
	;; [unrolled: 2-line block ×3, first 2 shown]
.LBB184_14:                             ;   in Loop: Header=BB184_4 Depth=1
	s_and_not1_b32 vcc_lo, exec_lo, s0
	s_cbranch_vccnz .LBB184_24
; %bb.15:                               ;   in Loop: Header=BB184_4 Depth=1
	s_wait_xcnt 0x2
	v_lshl_add_u64 v[2:3], v[42:43], 3, v[0:1]
	s_wait_xcnt 0x0
	v_dual_mov_b32 v6, 0 :: v_dual_mov_b32 v4, 0
	v_mov_b32_e32 v5, 0
	s_delay_alu instid0(VALU_DEP_3) | instskip(NEXT) | instid1(VALU_DEP_1)
	v_lshl_add_u64 v[2:3], s[46:47], 3, v[2:3]
	v_add_nc_u64_e32 v[2:3], -8, v[2:3]
	s_delay_alu instid0(VALU_DEP_1)
	v_dual_cndmask_b32 v3, v3, v1, s4 :: v_dual_cndmask_b32 v2, v2, v0, s4
	s_and_saveexec_b32 s0, s5
	s_cbranch_execz .LBB184_17
; %bb.16:                               ;   in Loop: Header=BB184_4 Depth=1
	flat_load_b64 v[4:5], v[2:3]
.LBB184_17:                             ;   in Loop: Header=BB184_4 Depth=1
	s_wait_xcnt 0x0
	s_or_b32 exec_lo, exec_lo, s0
	v_mov_b32_e32 v7, 0
	s_wait_loadcnt_dscnt 0x0
	ds_store_b64 v102, v[4:5]
	s_and_saveexec_b32 s0, s6
	s_cbranch_execz .LBB184_19
; %bb.18:                               ;   in Loop: Header=BB184_4 Depth=1
	v_add_nc_u64_e32 v[4:5], s[54:55], v[2:3]
	flat_load_b64 v[6:7], v[4:5]
.LBB184_19:                             ;   in Loop: Header=BB184_4 Depth=1
	s_wait_xcnt 0x0
	s_or_b32 exec_lo, exec_lo, s0
	v_dual_mov_b32 v4, 0 :: v_dual_mov_b32 v8, 0
	v_mov_b32_e32 v9, 0
	s_wait_loadcnt_dscnt 0x0
	ds_store_b64 v102, v[6:7] offset:2112
	s_and_saveexec_b32 s0, s7
	s_cbranch_execz .LBB184_21
; %bb.20:                               ;   in Loop: Header=BB184_4 Depth=1
	v_add_nc_u64_e32 v[6:7], s[56:57], v[2:3]
	flat_load_b64 v[8:9], v[6:7]
.LBB184_21:                             ;   in Loop: Header=BB184_4 Depth=1
	s_wait_xcnt 0x0
	s_or_b32 exec_lo, exec_lo, s0
	v_mov_b32_e32 v5, 0
	s_wait_loadcnt_dscnt 0x0
	ds_store_b64 v102, v[8:9] offset:4224
	s_and_saveexec_b32 s0, s8
	s_cbranch_execz .LBB184_23
; %bb.22:                               ;   in Loop: Header=BB184_4 Depth=1
	v_add_nc_u64_e32 v[4:5], s[58:59], v[2:3]
	flat_load_b64 v[4:5], v[4:5]
.LBB184_23:                             ;   in Loop: Header=BB184_4 Depth=1
	s_wait_xcnt 0x0
	s_or_b32 exec_lo, exec_lo, s0
	v_add_nc_u64_e32 v[2:3], v[2:3], v[34:35]
	s_wait_loadcnt_dscnt 0x0
	ds_store_b64 v102, v[4:5] offset:6336
	v_lshl_add_u64 v[2:3], s[68:69], 3, v[2:3]
	s_delay_alu instid0(VALU_DEP_1) | instskip(NEXT) | instid1(VALU_DEP_1)
	v_add_nc_u64_e32 v[2:3], 8, v[2:3]
	v_dual_cndmask_b32 v1, v3, v1, s4 :: v_dual_cndmask_b32 v0, v2, v0, s4
.LBB184_24:                             ;   in Loop: Header=BB184_4 Depth=1
	s_wait_dscnt 0x0
	s_barrier_signal -1
	s_barrier_wait -1
	s_wait_xcnt 0x0
	s_and_saveexec_b32 s0, s9
	s_cbranch_execnz .LBB184_75
; %bb.25:                               ;   in Loop: Header=BB184_4 Depth=1
	s_or_b32 exec_lo, exec_lo, s0
	s_and_saveexec_b32 s0, s10
	s_cbranch_execnz .LBB184_76
.LBB184_26:                             ;   in Loop: Header=BB184_4 Depth=1
	s_or_b32 exec_lo, exec_lo, s0
	s_and_saveexec_b32 s0, s11
	s_cbranch_execnz .LBB184_77
.LBB184_27:                             ;   in Loop: Header=BB184_4 Depth=1
	s_or_b32 exec_lo, exec_lo, s0
	s_and_saveexec_b32 s0, s12
	s_cbranch_execz .LBB184_29
.LBB184_28:                             ;   in Loop: Header=BB184_4 Depth=1
	ds_load_b64 v[2:3], v104 offset:528
	s_wait_dscnt 0x0
	ds_store_b64 v90, v[2:3] offset:24
.LBB184_29:                             ;   in Loop: Header=BB184_4 Depth=1
	s_or_b32 exec_lo, exec_lo, s0
	s_wait_dscnt 0x0
	s_barrier_signal -1
	s_barrier_wait -1
	ds_load_b64 v[14:15], v103
	ds_load_b128 v[2:5], v91
	ds_load_2addr_b64 v[6:9], v104 offset1:33
	ds_load_b128 v[10:13], v91 offset:16
	ds_load_b64 v[18:19], v104 offset:528
	v_mov_b64_e32 v[50:51], 0
	s_wait_dscnt 0x0
	s_barrier_signal -1
	s_barrier_wait -1
	v_pk_mul_f32 v[20:21], v[2:3], v[14:15] op_sel:[1,1] op_sel_hi:[0,1]
	v_dual_mov_b32 v22, v5 :: v_dual_mov_b32 v23, v4
	v_pk_mul_f32 v[24:25], v[10:11], v[8:9] op_sel:[1,1] op_sel_hi:[0,1]
	v_dual_mov_b32 v28, v13 :: v_dual_mov_b32 v29, v12
	s_delay_alu instid0(VALU_DEP_4) | instskip(NEXT) | instid1(VALU_DEP_4)
	v_pk_fma_f32 v[26:27], v[2:3], v[14:15], v[20:21] op_sel_hi:[1,0,1]
	v_pk_mul_f32 v[22:23], v[22:23], v[6:7] op_sel:[0,1]
	v_pk_fma_f32 v[2:3], v[2:3], v[14:15], v[20:21] neg_lo:[0,0,1] neg_hi:[0,0,1]
	v_pk_fma_f32 v[20:21], v[10:11], v[8:9], v[24:25] op_sel_hi:[1,0,1]
	s_delay_alu instid0(VALU_DEP_3)
	v_pk_fma_f32 v[14:15], v[4:5], v[6:7], v[22:23] op_sel_hi:[1,0,1]
	v_mov_b32_e32 v3, v27
	v_pk_fma_f32 v[4:5], v[4:5], v[6:7], v[22:23] neg_lo:[0,0,1] neg_hi:[0,0,1]
	v_pk_mul_f32 v[26:27], v[28:29], v[18:19] op_sel:[0,1]
	v_pk_fma_f32 v[6:7], v[10:11], v[8:9], v[24:25] neg_lo:[0,0,1] neg_hi:[0,0,1]
	v_mov_b32_e32 v5, v15
	v_pk_add_f32 v[2:3], v[2:3], 0 op_sel_hi:[1,0]
	s_delay_alu instid0(VALU_DEP_4) | instskip(SKIP_1) | instid1(VALU_DEP_3)
	v_pk_fma_f32 v[8:9], v[12:13], v[18:19], v[26:27] op_sel_hi:[1,0,1]
	v_mov_b32_e32 v7, v21
	v_pk_add_f32 v[2:3], v[2:3], v[4:5]
	v_pk_fma_f32 v[4:5], v[12:13], v[18:19], v[26:27] neg_lo:[0,0,1] neg_hi:[0,0,1]
	s_delay_alu instid0(VALU_DEP_4) | instskip(NEXT) | instid1(VALU_DEP_3)
	v_mov_b32_e32 v5, v9
	v_pk_add_f32 v[2:3], v[2:3], v[6:7]
	s_delay_alu instid0(VALU_DEP_1)
	v_pk_add_f32 v[2:3], v[2:3], v[4:5]
	ds_store_b64 v92, v[2:3]
	s_wait_dscnt 0x0
	s_barrier_signal -1
	s_barrier_wait -1
	s_and_saveexec_b32 s0, s13
	s_cbranch_execz .LBB184_31
; %bb.30:                               ;   in Loop: Header=BB184_4 Depth=1
	ds_load_2addr_b64 v[2:5], v89 offset1:7
	ds_load_2addr_b64 v[6:9], v89 offset0:1 offset1:2
	ds_load_2addr_b64 v[10:13], v89 offset0:3 offset1:4
	ds_load_2addr_b64 v[18:21], v89 offset0:5 offset1:6
	s_wait_dscnt 0x2
	v_dual_add_f32 v2, v6, v2 :: v_dual_add_f32 v3, v7, v3
	s_delay_alu instid0(VALU_DEP_1) | instskip(SKIP_1) | instid1(VALU_DEP_1)
	v_dual_add_f32 v2, v8, v2 :: v_dual_add_f32 v3, v9, v3
	s_wait_dscnt 0x1
	v_dual_add_f32 v2, v2, v10 :: v_dual_add_f32 v3, v3, v11
	s_delay_alu instid0(VALU_DEP_1) | instskip(SKIP_1) | instid1(VALU_DEP_1)
	v_dual_add_f32 v2, v2, v12 :: v_dual_add_f32 v3, v3, v13
	s_wait_dscnt 0x0
	v_dual_add_f32 v2, v2, v18 :: v_dual_add_f32 v3, v3, v19
	s_delay_alu instid0(VALU_DEP_1) | instskip(NEXT) | instid1(VALU_DEP_1)
	v_dual_add_f32 v2, v2, v20 :: v_dual_add_f32 v3, v3, v21
	v_pk_add_f32 v[50:51], v[2:3], v[4:5]
.LBB184_31:                             ;   in Loop: Header=BB184_4 Depth=1
	s_or_b32 exec_lo, exec_lo, s0
	v_lshl_add_u64 v[2:3], s[60:61], 3, v[0:1]
	s_and_not1_b32 vcc_lo, exec_lo, s104
	s_mov_b32 s0, -1
	s_barrier_signal -1
	s_barrier_wait -1
	s_cbranch_vccnz .LBB184_33
; %bb.32:                               ;   in Loop: Header=BB184_4 Depth=1
	v_add_nc_u64_e32 v[0:1], s[54:55], v[2:3]
	s_mov_b32 s0, 0
	s_delay_alu instid0(VALU_DEP_1) | instskip(NEXT) | instid1(VALU_DEP_1)
	v_add_nc_u64_e32 v[4:5], s[54:55], v[0:1]
	v_add_nc_u64_e32 v[6:7], s[54:55], v[4:5]
	s_clause 0x3
	flat_load_b64 v[8:9], v[2:3] offset:256
	flat_load_b64 v[0:1], v[0:1] offset:256
	;; [unrolled: 1-line block ×4, first 2 shown]
	s_wait_loadcnt_dscnt 0x303
	ds_store_b64 v102, v[8:9]
	s_wait_loadcnt_dscnt 0x203
	ds_store_b64 v102, v[0:1] offset:2112
	s_wait_loadcnt_dscnt 0x103
	ds_store_b64 v102, v[4:5] offset:4224
	;; [unrolled: 2-line block ×3, first 2 shown]
.LBB184_33:                             ;   in Loop: Header=BB184_4 Depth=1
	s_wait_xcnt 0x2
	v_add_nc_u64_e32 v[0:1], 0x100, v[2:3]
	s_and_not1_b32 vcc_lo, exec_lo, s0
	s_cbranch_vccnz .LBB184_43
; %bb.34:                               ;   in Loop: Header=BB184_4 Depth=1
	v_lshl_add_u64 v[2:3], v[42:43], 3, v[2:3]
	s_wait_xcnt 0x0
	v_dual_mov_b32 v6, 0 :: v_dual_mov_b32 v4, 0
	v_mov_b32_e32 v5, 0
	s_delay_alu instid0(VALU_DEP_3) | instskip(NEXT) | instid1(VALU_DEP_1)
	v_lshl_add_u64 v[2:3], s[46:47], 3, v[2:3]
	v_add_nc_u64_e32 v[2:3], -8, v[2:3]
	s_delay_alu instid0(VALU_DEP_1) | instskip(SKIP_3) | instid1(SALU_CYCLE_1)
	v_dual_cndmask_b32 v3, v3, v1, s14 :: v_dual_cndmask_b32 v2, v2, v0, s14
	s_mov_b32 s0, exec_lo
	v_readlane_b32 s1, v126, 0
	s_and_b32 s1, s0, s1
	s_mov_b32 exec_lo, s1
	s_cbranch_execz .LBB184_36
; %bb.35:                               ;   in Loop: Header=BB184_4 Depth=1
	flat_load_b64 v[4:5], v[2:3]
.LBB184_36:                             ;   in Loop: Header=BB184_4 Depth=1
	s_wait_xcnt 0x0
	s_or_b32 exec_lo, exec_lo, s0
	v_mov_b32_e32 v7, 0
	s_wait_loadcnt_dscnt 0x0
	ds_store_b64 v102, v[4:5]
	s_mov_b32 s0, exec_lo
	v_readlane_b32 s1, v126, 1
	s_and_b32 s1, s0, s1
	s_delay_alu instid0(SALU_CYCLE_1)
	s_mov_b32 exec_lo, s1
	s_cbranch_execz .LBB184_38
; %bb.37:                               ;   in Loop: Header=BB184_4 Depth=1
	v_add_nc_u64_e32 v[4:5], s[54:55], v[2:3]
	flat_load_b64 v[6:7], v[4:5]
.LBB184_38:                             ;   in Loop: Header=BB184_4 Depth=1
	s_wait_xcnt 0x0
	s_or_b32 exec_lo, exec_lo, s0
	v_dual_mov_b32 v4, 0 :: v_dual_mov_b32 v8, 0
	v_mov_b32_e32 v9, 0
	s_wait_loadcnt_dscnt 0x0
	ds_store_b64 v102, v[6:7] offset:2112
	s_mov_b32 s0, exec_lo
	v_readlane_b32 s1, v126, 2
	s_and_b32 s1, s0, s1
	s_delay_alu instid0(SALU_CYCLE_1)
	s_mov_b32 exec_lo, s1
	s_cbranch_execz .LBB184_40
; %bb.39:                               ;   in Loop: Header=BB184_4 Depth=1
	v_add_nc_u64_e32 v[6:7], s[56:57], v[2:3]
	flat_load_b64 v[8:9], v[6:7]
.LBB184_40:                             ;   in Loop: Header=BB184_4 Depth=1
	s_wait_xcnt 0x0
	s_or_b32 exec_lo, exec_lo, s0
	v_mov_b32_e32 v5, 0
	s_wait_loadcnt_dscnt 0x0
	ds_store_b64 v102, v[8:9] offset:4224
	s_and_saveexec_b32 s0, s18
	s_cbranch_execz .LBB184_42
; %bb.41:                               ;   in Loop: Header=BB184_4 Depth=1
	v_add_nc_u64_e32 v[4:5], s[58:59], v[2:3]
	flat_load_b64 v[4:5], v[4:5]
.LBB184_42:                             ;   in Loop: Header=BB184_4 Depth=1
	s_wait_xcnt 0x0
	s_or_b32 exec_lo, exec_lo, s0
	v_add_nc_u64_e32 v[2:3], v[2:3], v[34:35]
	s_wait_loadcnt_dscnt 0x0
	ds_store_b64 v102, v[4:5] offset:6336
	v_lshl_add_u64 v[2:3], s[68:69], 3, v[2:3]
	s_delay_alu instid0(VALU_DEP_1) | instskip(NEXT) | instid1(VALU_DEP_1)
	v_add_nc_u64_e32 v[2:3], 0x108, v[2:3]
	v_dual_cndmask_b32 v1, v3, v1, s14 :: v_dual_cndmask_b32 v0, v2, v0, s14
.LBB184_43:                             ;   in Loop: Header=BB184_4 Depth=1
	s_wait_dscnt 0x0
	s_barrier_signal -1
	s_barrier_wait -1
	s_wait_xcnt 0x0
	s_and_saveexec_b32 s0, s9
	s_cbranch_execnz .LBB184_78
; %bb.44:                               ;   in Loop: Header=BB184_4 Depth=1
	s_or_b32 exec_lo, exec_lo, s0
	s_and_saveexec_b32 s0, s10
	s_cbranch_execnz .LBB184_79
.LBB184_45:                             ;   in Loop: Header=BB184_4 Depth=1
	s_or_b32 exec_lo, exec_lo, s0
	s_and_saveexec_b32 s0, s11
	s_cbranch_execnz .LBB184_80
.LBB184_46:                             ;   in Loop: Header=BB184_4 Depth=1
	s_or_b32 exec_lo, exec_lo, s0
	s_and_saveexec_b32 s0, s12
	s_cbranch_execz .LBB184_48
.LBB184_47:                             ;   in Loop: Header=BB184_4 Depth=1
	ds_load_b64 v[2:3], v104 offset:528
	s_wait_dscnt 0x0
	ds_store_b64 v90, v[2:3] offset:24
.LBB184_48:                             ;   in Loop: Header=BB184_4 Depth=1
	s_or_b32 exec_lo, exec_lo, s0
	s_wait_dscnt 0x0
	s_barrier_signal -1
	s_barrier_wait -1
	ds_load_b64 v[14:15], v103
	ds_load_b128 v[2:5], v91 offset:256
	ds_load_2addr_b64 v[6:9], v104 offset1:33
	ds_load_b128 v[10:13], v91 offset:272
	ds_load_b64 v[18:19], v104 offset:528
	s_wait_dscnt 0x0
	s_barrier_signal -1
	s_barrier_wait -1
	v_pk_mul_f32 v[20:21], v[2:3], v[14:15] op_sel:[1,1] op_sel_hi:[0,1]
	v_dual_mov_b32 v22, v5 :: v_dual_mov_b32 v23, v4
	v_pk_mul_f32 v[24:25], v[10:11], v[8:9] op_sel:[1,1] op_sel_hi:[0,1]
	v_dual_mov_b32 v28, v13 :: v_dual_mov_b32 v29, v12
	s_delay_alu instid0(VALU_DEP_4) | instskip(NEXT) | instid1(VALU_DEP_4)
	v_pk_fma_f32 v[26:27], v[2:3], v[14:15], v[20:21] op_sel_hi:[1,0,1]
	v_pk_mul_f32 v[22:23], v[22:23], v[6:7] op_sel:[0,1]
	v_pk_fma_f32 v[2:3], v[2:3], v[14:15], v[20:21] neg_lo:[0,0,1] neg_hi:[0,0,1]
	v_pk_fma_f32 v[20:21], v[10:11], v[8:9], v[24:25] op_sel_hi:[1,0,1]
	s_delay_alu instid0(VALU_DEP_3)
	v_pk_fma_f32 v[14:15], v[4:5], v[6:7], v[22:23] op_sel_hi:[1,0,1]
	v_mov_b32_e32 v3, v27
	v_pk_fma_f32 v[4:5], v[4:5], v[6:7], v[22:23] neg_lo:[0,0,1] neg_hi:[0,0,1]
	v_pk_mul_f32 v[26:27], v[28:29], v[18:19] op_sel:[0,1]
	v_pk_fma_f32 v[6:7], v[10:11], v[8:9], v[24:25] neg_lo:[0,0,1] neg_hi:[0,0,1]
	v_mov_b32_e32 v5, v15
	v_pk_add_f32 v[2:3], v[2:3], 0 op_sel_hi:[1,0]
	s_delay_alu instid0(VALU_DEP_4) | instskip(SKIP_1) | instid1(VALU_DEP_3)
	v_pk_fma_f32 v[8:9], v[12:13], v[18:19], v[26:27] op_sel_hi:[1,0,1]
	v_mov_b32_e32 v7, v21
	v_pk_add_f32 v[2:3], v[2:3], v[4:5]
	v_pk_fma_f32 v[4:5], v[12:13], v[18:19], v[26:27] neg_lo:[0,0,1] neg_hi:[0,0,1]
	s_delay_alu instid0(VALU_DEP_4) | instskip(NEXT) | instid1(VALU_DEP_3)
	v_mov_b32_e32 v5, v9
	v_pk_add_f32 v[2:3], v[2:3], v[6:7]
	s_delay_alu instid0(VALU_DEP_1)
	v_pk_add_f32 v[2:3], v[2:3], v[4:5]
	ds_store_b64 v92, v[2:3]
	s_wait_dscnt 0x0
	s_barrier_signal -1
	s_barrier_wait -1
	s_and_saveexec_b32 s0, s19
	s_cbranch_execz .LBB184_50
; %bb.49:                               ;   in Loop: Header=BB184_4 Depth=1
	ds_load_2addr_b64 v[2:5], v89 offset1:7
	ds_load_2addr_b64 v[6:9], v89 offset0:1 offset1:2
	ds_load_2addr_b64 v[10:13], v89 offset0:3 offset1:4
	;; [unrolled: 1-line block ×3, first 2 shown]
	s_wait_dscnt 0x2
	v_dual_add_f32 v2, v6, v2 :: v_dual_add_f32 v3, v7, v3
	s_delay_alu instid0(VALU_DEP_1) | instskip(SKIP_1) | instid1(VALU_DEP_1)
	v_dual_add_f32 v2, v8, v2 :: v_dual_add_f32 v3, v9, v3
	s_wait_dscnt 0x1
	v_dual_add_f32 v2, v2, v10 :: v_dual_add_f32 v3, v3, v11
	s_delay_alu instid0(VALU_DEP_1) | instskip(SKIP_1) | instid1(VALU_DEP_1)
	v_dual_add_f32 v2, v2, v12 :: v_dual_add_f32 v3, v3, v13
	s_wait_dscnt 0x0
	v_dual_add_f32 v2, v2, v18 :: v_dual_add_f32 v3, v3, v19
	s_delay_alu instid0(VALU_DEP_1) | instskip(NEXT) | instid1(VALU_DEP_1)
	v_pk_add_f32 v[2:3], v[2:3], v[20:21]
	v_pk_add_f32 v[50:51], v[2:3], v[4:5]
.LBB184_50:                             ;   in Loop: Header=BB184_4 Depth=1
	s_or_b32 exec_lo, exec_lo, s0
	v_lshl_add_u64 v[18:19], s[62:63], 3, v[0:1]
	s_and_not1_b32 vcc_lo, exec_lo, s104
	s_mov_b32 s0, -1
	s_barrier_signal -1
	s_barrier_wait -1
	s_cbranch_vccnz .LBB184_52
; %bb.51:                               ;   in Loop: Header=BB184_4 Depth=1
	v_add_nc_u64_e32 v[0:1], s[54:55], v[18:19]
	s_mov_b32 s0, 0
	s_delay_alu instid0(VALU_DEP_1) | instskip(NEXT) | instid1(VALU_DEP_1)
	v_add_nc_u64_e32 v[2:3], s[54:55], v[0:1]
	v_add_nc_u64_e32 v[4:5], s[54:55], v[2:3]
	s_clause 0x3
	flat_load_b64 v[6:7], v[18:19]
	flat_load_b64 v[0:1], v[0:1]
	;; [unrolled: 1-line block ×4, first 2 shown]
	s_wait_loadcnt_dscnt 0x303
	ds_store_b64 v102, v[6:7]
	s_wait_loadcnt_dscnt 0x203
	ds_store_b64 v102, v[0:1] offset:2112
	s_wait_loadcnt_dscnt 0x103
	ds_store_b64 v102, v[2:3] offset:4224
	s_wait_loadcnt_dscnt 0x3
	ds_store_b64 v102, v[4:5] offset:6336
.LBB184_52:                             ;   in Loop: Header=BB184_4 Depth=1
	s_and_not1_b32 vcc_lo, exec_lo, s0
	s_cbranch_vccnz .LBB184_62
; %bb.53:                               ;   in Loop: Header=BB184_4 Depth=1
	s_wait_xcnt 0x2
	v_lshl_add_u64 v[0:1], v[42:43], 3, v[18:19]
	s_wait_xcnt 0x0
	v_dual_mov_b32 v4, 0 :: v_dual_mov_b32 v2, 0
	v_mov_b32_e32 v3, 0
	s_delay_alu instid0(VALU_DEP_3) | instskip(NEXT) | instid1(VALU_DEP_1)
	v_lshl_add_u64 v[0:1], s[46:47], 3, v[0:1]
	v_add_nc_u64_e32 v[0:1], s[100:101], v[0:1]
	s_delay_alu instid0(VALU_DEP_1)
	v_dual_cndmask_b32 v1, v1, v19, s14 :: v_dual_cndmask_b32 v0, v0, v18, s14
	s_and_saveexec_b32 s0, s5
	s_cbranch_execz .LBB184_55
; %bb.54:                               ;   in Loop: Header=BB184_4 Depth=1
	flat_load_b64 v[2:3], v[0:1]
.LBB184_55:                             ;   in Loop: Header=BB184_4 Depth=1
	s_wait_xcnt 0x0
	s_or_b32 exec_lo, exec_lo, s0
	v_mov_b32_e32 v5, 0
	s_wait_loadcnt_dscnt 0x0
	ds_store_b64 v102, v[2:3]
	s_and_saveexec_b32 s0, s6
	s_cbranch_execz .LBB184_57
; %bb.56:                               ;   in Loop: Header=BB184_4 Depth=1
	v_add_nc_u64_e32 v[2:3], s[54:55], v[0:1]
	flat_load_b64 v[4:5], v[2:3]
.LBB184_57:                             ;   in Loop: Header=BB184_4 Depth=1
	s_wait_xcnt 0x0
	s_or_b32 exec_lo, exec_lo, s0
	v_dual_mov_b32 v2, 0 :: v_dual_mov_b32 v6, 0
	v_mov_b32_e32 v7, 0
	s_wait_loadcnt_dscnt 0x0
	ds_store_b64 v102, v[4:5] offset:2112
	s_and_saveexec_b32 s0, s7
	s_cbranch_execz .LBB184_59
; %bb.58:                               ;   in Loop: Header=BB184_4 Depth=1
	v_add_nc_u64_e32 v[4:5], s[56:57], v[0:1]
	flat_load_b64 v[6:7], v[4:5]
.LBB184_59:                             ;   in Loop: Header=BB184_4 Depth=1
	s_wait_xcnt 0x0
	s_or_b32 exec_lo, exec_lo, s0
	v_mov_b32_e32 v3, 0
	s_wait_loadcnt_dscnt 0x0
	ds_store_b64 v102, v[6:7] offset:4224
	s_and_saveexec_b32 s0, s8
	s_cbranch_execz .LBB184_61
; %bb.60:                               ;   in Loop: Header=BB184_4 Depth=1
	v_add_nc_u64_e32 v[2:3], s[58:59], v[0:1]
	flat_load_b64 v[2:3], v[2:3]
.LBB184_61:                             ;   in Loop: Header=BB184_4 Depth=1
	s_wait_xcnt 0x0
	s_or_b32 exec_lo, exec_lo, s0
	v_add_nc_u64_e32 v[0:1], v[0:1], v[34:35]
	s_wait_loadcnt_dscnt 0x0
	ds_store_b64 v102, v[2:3] offset:6336
	v_lshl_add_u64 v[0:1], s[68:69], 3, v[0:1]
	s_delay_alu instid0(VALU_DEP_1) | instskip(NEXT) | instid1(VALU_DEP_1)
	v_add_nc_u64_e32 v[0:1], 0x108, v[0:1]
	v_dual_cndmask_b32 v19, v1, v19, s14 :: v_dual_cndmask_b32 v18, v0, v18, s14
.LBB184_62:                             ;   in Loop: Header=BB184_4 Depth=1
	s_wait_dscnt 0x0
	s_barrier_signal -1
	s_barrier_wait -1
	ds_load_b64 v[8:9], v102
	ds_load_b64 v[10:11], v105
	ds_load_2addr_b64 v[20:23], v101 offset0:8 offset1:16
	ds_load_b64 v[12:13], v102 offset:2112
	ds_load_b64 v[24:25], v102 offset:4224
	;; [unrolled: 1-line block ×4, first 2 shown]
	s_wait_xcnt 0x0
	ds_load_2addr_b64 v[4:7], v93 offset1:1
	ds_load_2addr_b64 v[0:3], v93 offset0:2 offset1:3
	s_wait_dscnt 0x7
	v_pk_mul_f32 v[14:15], v[10:11], v[8:9] op_sel:[1,1] op_sel_hi:[0,1]
	s_wait_dscnt 0x5
	v_pk_mul_f32 v[30:31], v[20:21], v[12:13] op_sel:[1,1] op_sel_hi:[0,1]
	;; [unrolled: 2-line block ×3, first 2 shown]
	v_pk_fma_f32 v[52:53], v[10:11], v[8:9], v[14:15] op_sel_hi:[1,0,1]
	v_pk_fma_f32 v[8:9], v[10:11], v[8:9], v[14:15] neg_lo:[0,0,1] neg_hi:[0,0,1]
	v_pk_fma_f32 v[10:11], v[20:21], v[12:13], v[30:31] op_sel_hi:[1,0,1]
	v_pk_fma_f32 v[20:21], v[20:21], v[12:13], v[30:31] neg_lo:[0,0,1] neg_hi:[0,0,1]
	v_pk_fma_f32 v[30:31], v[22:23], v[24:25], v[54:55] op_sel_hi:[1,0,1]
	v_mov_b32_e32 v9, v53
	s_wait_dscnt 0x2
	v_pk_mul_f32 v[52:53], v[28:29], v[26:27] op_sel:[1,1] op_sel_hi:[0,1]
	v_mov_b32_e32 v21, v11
	v_pk_fma_f32 v[22:23], v[22:23], v[24:25], v[54:55] neg_lo:[0,0,1] neg_hi:[0,0,1]
	v_pk_add_f32 v[56:57], v[8:9], 0 op_sel_hi:[1,0]
	ds_load_b128 v[12:15], v91 offset:256
	ds_load_b128 v[8:11], v91 offset:272
	v_pk_fma_f32 v[24:25], v[28:29], v[26:27], v[52:53] op_sel_hi:[1,0,1]
	v_mov_b32_e32 v23, v31
	v_pk_fma_f32 v[26:27], v[28:29], v[26:27], v[52:53] neg_lo:[0,0,1] neg_hi:[0,0,1]
	v_pk_add_f32 v[20:21], v[56:57], v[20:21]
	s_wait_dscnt 0x0
	v_mov_b32_e32 v27, v25
	s_barrier_signal -1
	s_barrier_wait -1
	v_pk_add_f32 v[20:21], v[20:21], v[22:23]
	s_delay_alu instid0(VALU_DEP_1)
	v_pk_add_f32 v[20:21], v[20:21], v[26:27]
	ds_store_b64 v92, v[20:21]
	s_wait_dscnt 0x0
	s_barrier_signal -1
	s_barrier_wait -1
	s_and_saveexec_b32 s0, s19
	s_cbranch_execz .LBB184_64
; %bb.63:                               ;   in Loop: Header=BB184_4 Depth=1
	ds_load_2addr_b64 v[20:23], v89 offset1:1
	ds_load_2addr_b64 v[24:27], v89 offset0:2 offset1:3
	ds_load_2addr_b64 v[28:31], v89 offset0:4 offset1:5
	s_wait_dscnt 0x2
	v_pk_add_f32 v[20:21], v[50:51], v[20:21]
	s_delay_alu instid0(VALU_DEP_1) | instskip(SKIP_1) | instid1(VALU_DEP_1)
	v_pk_add_f32 v[20:21], v[20:21], v[22:23]
	s_wait_dscnt 0x1
	v_pk_add_f32 v[24:25], v[20:21], v[24:25]
	ds_load_2addr_b64 v[20:23], v89 offset0:6 offset1:7
	v_pk_add_f32 v[24:25], v[24:25], v[26:27]
	s_wait_dscnt 0x1
	s_delay_alu instid0(VALU_DEP_1) | instskip(NEXT) | instid1(VALU_DEP_1)
	v_pk_add_f32 v[24:25], v[24:25], v[28:29]
	v_pk_add_f32 v[24:25], v[24:25], v[30:31]
	s_wait_dscnt 0x0
	s_delay_alu instid0(VALU_DEP_1) | instskip(NEXT) | instid1(VALU_DEP_1)
	v_pk_add_f32 v[20:21], v[24:25], v[20:21]
	v_pk_add_f32 v[50:51], v[20:21], v[22:23]
.LBB184_64:                             ;   in Loop: Header=BB184_4 Depth=1
	s_or_b32 exec_lo, exec_lo, s0
	v_pk_mul_f32 v[20:21], v[12:13], v[4:5] op_sel:[1,1] op_sel_hi:[0,1]
	v_dual_mov_b32 v22, v15 :: v_dual_mov_b32 v23, v14
	v_dual_mov_b32 v24, v7 :: v_dual_mov_b32 v30, v11
	s_delay_alu instid0(VALU_DEP_3) | instskip(SKIP_2) | instid1(VALU_DEP_4)
	v_pk_fma_f32 v[28:29], v[12:13], v[4:5], v[20:21] op_sel_hi:[1,0,1]
	v_pk_fma_f32 v[4:5], v[12:13], v[4:5], v[20:21] neg_lo:[0,0,1] neg_hi:[0,0,1]
	v_pk_mul_f32 v[26:27], v[8:9], v[0:1] op_sel:[1,1] op_sel_hi:[0,1]
	v_pk_mul_f32 v[22:23], v[22:23], v[24:25] op_sel_hi:[1,0]
	s_delay_alu instid0(VALU_DEP_4) | instskip(NEXT) | instid1(VALU_DEP_3)
	v_dual_mov_b32 v31, v10 :: v_dual_mov_b32 v5, v29
	v_pk_fma_f32 v[24:25], v[8:9], v[0:1], v[26:27] op_sel_hi:[1,0,1]
	s_delay_alu instid0(VALU_DEP_3)
	v_pk_fma_f32 v[20:21], v[14:15], v[6:7], v[22:23] op_sel_hi:[1,0,1]
	v_mov_b32_e32 v12, v3
	v_pk_fma_f32 v[6:7], v[14:15], v[6:7], v[22:23] neg_lo:[0,0,1] neg_hi:[0,0,1]
	v_pk_add_f32 v[4:5], v[4:5], 0 op_sel_hi:[1,0]
	v_pk_fma_f32 v[0:1], v[8:9], v[0:1], v[26:27] neg_lo:[0,0,1] neg_hi:[0,0,1]
	v_mov_b32_e32 v7, v21
	v_pk_mul_f32 v[12:13], v[30:31], v[12:13] op_sel_hi:[1,0]
	s_barrier_signal -1
	s_barrier_wait -1
	s_delay_alu instid0(VALU_DEP_2) | instskip(NEXT) | instid1(VALU_DEP_2)
	v_pk_add_f32 v[4:5], v[4:5], v[6:7]
	v_pk_fma_f32 v[8:9], v[10:11], v[2:3], v[12:13] op_sel_hi:[1,0,1]
	v_mov_b32_e32 v1, v25
	v_pk_fma_f32 v[2:3], v[10:11], v[2:3], v[12:13] neg_lo:[0,0,1] neg_hi:[0,0,1]
	s_delay_alu instid0(VALU_DEP_3) | instskip(NEXT) | instid1(VALU_DEP_3)
	v_mov_b32_e32 v3, v9
	v_pk_add_f32 v[0:1], v[4:5], v[0:1]
	s_delay_alu instid0(VALU_DEP_1)
	v_pk_add_f32 v[0:1], v[0:1], v[2:3]
	ds_store_b64 v92, v[0:1]
	s_wait_dscnt 0x0
	s_barrier_signal -1
	s_barrier_wait -1
	s_and_saveexec_b32 s0, s13
	s_cbranch_execz .LBB184_66
; %bb.65:                               ;   in Loop: Header=BB184_4 Depth=1
	ds_load_2addr_b64 v[0:3], v89 offset1:1
	ds_load_2addr_b64 v[4:7], v89 offset0:2 offset1:3
	ds_load_2addr_b64 v[8:11], v89 offset0:4 offset1:5
	s_wait_dscnt 0x2
	v_pk_add_f32 v[0:1], v[50:51], v[0:1]
	s_delay_alu instid0(VALU_DEP_1) | instskip(SKIP_1) | instid1(VALU_DEP_1)
	v_pk_add_f32 v[0:1], v[0:1], v[2:3]
	s_wait_dscnt 0x1
	v_pk_add_f32 v[4:5], v[0:1], v[4:5]
	ds_load_2addr_b64 v[0:3], v89 offset0:6 offset1:7
	v_pk_add_f32 v[4:5], v[4:5], v[6:7]
	s_wait_dscnt 0x1
	s_delay_alu instid0(VALU_DEP_1) | instskip(NEXT) | instid1(VALU_DEP_1)
	v_pk_add_f32 v[4:5], v[4:5], v[8:9]
	v_pk_add_f32 v[4:5], v[4:5], v[10:11]
	s_wait_dscnt 0x0
	s_delay_alu instid0(VALU_DEP_1) | instskip(NEXT) | instid1(VALU_DEP_1)
	v_pk_add_f32 v[0:1], v[4:5], v[0:1]
	v_pk_add_f32 v[50:51], v[0:1], v[2:3]
.LBB184_66:                             ;   in Loop: Header=BB184_4 Depth=1
	s_or_b32 exec_lo, exec_lo, s0
	s_mul_u64 s[0:1], s[48:49], s[22:23]
	s_and_not1_b32 vcc_lo, exec_lo, vcc_hi
	s_lshl_b64 s[0:1], s[0:1], 3
	s_delay_alu instid0(SALU_CYCLE_1)
	s_add_nc_u64 s[0:1], s[50:51], s[0:1]
	s_barrier_signal -1
	s_barrier_wait -1
	s_cbranch_vccnz .LBB184_73
; %bb.67:                               ;   in Loop: Header=BB184_4 Depth=1
	v_lshl_add_u64 v[0:1], s[66:67], 3, v[18:19]
	v_dual_mov_b32 v3, v35 :: v_dual_lshlrev_b32 v2, 3, v32
	s_mov_b64 s[16:17], 0xffffffffffffff00
	v_lshl_add_u64 v[52:53], s[64:65], 3, v[16:17]
	s_delay_alu instid0(VALU_DEP_3) | instskip(SKIP_2) | instid1(VALU_DEP_1)
	v_lshl_add_u64 v[0:1], v[44:45], 3, v[0:1]
	s_mov_b32 s34, 0
	s_mov_b32 s23, s33
	v_lshl_add_u64 v[0:1], v[46:47], 3, v[0:1]
	s_delay_alu instid0(VALU_DEP_1) | instskip(SKIP_1) | instid1(VALU_DEP_1)
	v_add_nc_u64_e32 v[2:3], v[0:1], v[2:3]
	v_lshl_add_u64 v[0:1], s[46:47], 3, v[0:1]
	v_add_nc_u64_e32 v[0:1], s[100:101], v[0:1]
	s_delay_alu instid0(VALU_DEP_3) | instskip(NEXT) | instid1(VALU_DEP_1)
	v_add_nc_u64_e32 v[2:3], s[16:17], v[2:3]
	v_dual_cndmask_b32 v55, v3, v1, s3 :: v_dual_cndmask_b32 v54, v2, v0, s3
	s_branch .LBB184_69
.LBB184_68:                             ;   in Loop: Header=BB184_69 Depth=2
	s_wait_xcnt 0x0
	s_or_b32 exec_lo, exec_lo, vcc_lo
	v_dual_mul_f32 v107, v5, v61 :: v_dual_mul_f32 v5, v5, v60
	v_dual_mul_f32 v108, v7, v63 :: v_dual_mul_f32 v7, v7, v62
	s_delay_alu instid0(VALU_DEP_2) | instskip(NEXT) | instid1(VALU_DEP_3)
	v_dual_mul_f32 v109, v1, v59 :: v_dual_fma_f32 v60, v4, v60, -v107
	v_dual_mul_f32 v1, v1, v58 :: v_dual_fmac_f32 v5, v4, v61
	s_delay_alu instid0(VALU_DEP_3) | instskip(NEXT) | instid1(VALU_DEP_3)
	v_dual_mul_f32 v4, v3, v57 :: v_dual_fma_f32 v61, v6, v62, -v108
	v_add_f32_e32 v50, v50, v60
	v_dual_fmac_f32 v7, v6, v63 :: v_dual_mul_f32 v3, v3, v56
	s_delay_alu instid0(VALU_DEP_4) | instskip(NEXT) | instid1(VALU_DEP_3)
	v_dual_add_f32 v5, v51, v5 :: v_dual_fma_f32 v6, v0, v58, -v109
	v_dual_add_f32 v50, v50, v61 :: v_dual_fmac_f32 v1, v0, v59
	s_delay_alu instid0(VALU_DEP_2) | instskip(NEXT) | instid1(VALU_DEP_2)
	v_dual_fma_f32 v4, v2, v56, -v4 :: v_dual_add_f32 v0, v5, v7
	v_dual_mul_f32 v5, v13, v73 :: v_dual_add_f32 v6, v50, v6
	v_dual_fmac_f32 v3, v2, v57 :: v_dual_mul_f32 v2, v13, v72
	s_delay_alu instid0(VALU_DEP_3) | instskip(NEXT) | instid1(VALU_DEP_3)
	v_add_f32_e32 v0, v0, v1
	v_dual_mul_f32 v1, v15, v69 :: v_dual_add_f32 v4, v6, v4
	s_delay_alu instid0(VALU_DEP_3) | instskip(NEXT) | instid1(VALU_DEP_2)
	v_dual_fma_f32 v5, v12, v72, -v5 :: v_dual_fmac_f32 v2, v12, v73
	v_dual_add_f32 v0, v0, v3 :: v_dual_fma_f32 v1, v14, v68, -v1
	s_delay_alu instid0(VALU_DEP_2) | instskip(NEXT) | instid1(VALU_DEP_2)
	v_dual_mul_f32 v6, v15, v68 :: v_dual_add_f32 v3, v4, v5
	v_dual_mul_f32 v4, v9, v67 :: v_dual_add_f32 v7, v0, v2
	v_mov_b32_e32 v13, v26
	s_delay_alu instid0(VALU_DEP_3) | instskip(NEXT) | instid1(VALU_DEP_4)
	v_fmac_f32_e32 v6, v14, v69
	v_dual_add_f32 v0, v3, v1 :: v_dual_mul_f32 v3, v9, v66
	s_delay_alu instid0(VALU_DEP_4) | instskip(SKIP_1) | instid1(VALU_DEP_3)
	v_dual_fma_f32 v2, v8, v66, -v4 :: v_dual_mul_f32 v4, v11, v65
	v_mul_f32_e32 v5, v11, v64
	v_dual_add_f32 v1, v7, v6 :: v_dual_fmac_f32 v3, v8, v67
	s_delay_alu instid0(VALU_DEP_3) | instskip(NEXT) | instid1(VALU_DEP_3)
	v_dual_mov_b32 v6, v79 :: v_dual_fma_f32 v4, v10, v64, -v4
	v_dual_fmac_f32 v5, v10, v65 :: v_dual_mov_b32 v8, v77
	s_delay_alu instid0(VALU_DEP_3) | instskip(NEXT) | instid1(VALU_DEP_3)
	v_pk_add_f32 v[0:1], v[0:1], v[2:3]
	v_pk_mul_f32 v[2:3], v[28:29], v[6:7] op_sel:[1,0] op_sel_hi:[0,0]
	v_dual_mov_b32 v6, v31 :: v_dual_mov_b32 v7, v30
	v_add_nc_u64_e32 v[54:55], s[74:75], v[54:55]
	s_delay_alu instid0(VALU_DEP_4) | instskip(NEXT) | instid1(VALU_DEP_4)
	v_pk_add_f32 v[0:1], v[0:1], v[4:5]
	v_pk_fma_f32 v[10:11], v[28:29], v[78:79], v[2:3] op_sel_hi:[1,0,1]
	v_pk_fma_f32 v[2:3], v[28:29], v[78:79], v[2:3] neg_lo:[0,0,1] neg_hi:[0,0,1]
	v_pk_mul_f32 v[4:5], v[6:7], v[8:9] op_sel_hi:[1,0]
	v_mov_b32_e32 v6, v75
	s_add_co_i32 s23, s23, -1
	v_mov_b32_e32 v3, v11
	s_add_co_i32 s34, s34, 64
	v_pk_fma_f32 v[8:9], v[30:31], v[76:77], v[4:5] op_sel_hi:[1,0,1]
	v_pk_mul_f32 v[6:7], v[16:17], v[6:7] op_sel:[1,0] op_sel_hi:[0,0]
	v_mov_b32_e32 v8, v19
	v_pk_add_f32 v[0:1], v[0:1], v[2:3]
	v_pk_fma_f32 v[2:3], v[30:31], v[76:77], v[4:5] neg_lo:[0,0,1] neg_hi:[0,0,1]
	v_mov_b32_e32 v3, v9
	v_pk_fma_f32 v[4:5], v[16:17], v[74:75], v[6:7] op_sel_hi:[1,0,1]
	v_dual_mov_b32 v9, v18 :: v_dual_mov_b32 v4, v71
	s_cmp_eq_u32 s23, 0
	s_delay_alu instid0(VALU_DEP_3)
	v_pk_add_f32 v[0:1], v[0:1], v[2:3]
	v_pk_fma_f32 v[2:3], v[16:17], v[74:75], v[6:7] neg_lo:[0,0,1] neg_hi:[0,0,1]
	v_mov_b32_e32 v3, v5
	v_pk_mul_f32 v[4:5], v[8:9], v[4:5] op_sel_hi:[1,0]
	v_dual_mov_b32 v6, v23 :: v_dual_mov_b32 v7, v22
	s_wait_storecnt 0x0
	s_delay_alu instid0(VALU_DEP_3) | instskip(NEXT) | instid1(VALU_DEP_3)
	v_pk_add_f32 v[0:1], v[0:1], v[2:3]
	v_pk_fma_f32 v[2:3], v[18:19], v[70:71], v[4:5] op_sel_hi:[1,0,1]
	v_mov_b32_e32 v2, v87
	v_pk_fma_f32 v[4:5], v[18:19], v[70:71], v[4:5] neg_lo:[0,0,1] neg_hi:[0,0,1]
	v_dual_mov_b32 v8, v85 :: v_dual_mov_b32 v12, v27
	s_delay_alu instid0(VALU_DEP_4) | instskip(NEXT) | instid1(VALU_DEP_4)
	v_mov_b32_e32 v5, v3
	v_pk_mul_f32 v[2:3], v[20:21], v[2:3] op_sel:[1,0] op_sel_hi:[0,0]
	s_barrier_signal -1
	s_delay_alu instid0(VALU_DEP_3)
	v_pk_mul_f32 v[6:7], v[6:7], v[8:9] op_sel_hi:[1,0]
	v_mov_b32_e32 v8, v83
	v_pk_add_f32 v[0:1], v[0:1], v[4:5]
	v_pk_fma_f32 v[4:5], v[20:21], v[86:87], v[2:3] neg_lo:[0,0,1] neg_hi:[0,0,1]
	v_pk_fma_f32 v[2:3], v[20:21], v[86:87], v[2:3] op_sel_hi:[1,0,1]
	v_pk_fma_f32 v[10:11], v[22:23], v[84:85], v[6:7] op_sel_hi:[1,0,1]
	v_pk_mul_f32 v[8:9], v[24:25], v[8:9] op_sel:[1,0] op_sel_hi:[0,0]
	v_mov_b32_e32 v2, v81
	v_pk_fma_f32 v[6:7], v[22:23], v[84:85], v[6:7] neg_lo:[0,0,1] neg_hi:[0,0,1]
	s_delay_alu instid0(VALU_DEP_4) | instskip(NEXT) | instid1(VALU_DEP_4)
	v_dual_mov_b32 v5, v3 :: v_dual_mov_b32 v7, v11
	v_pk_fma_f32 v[10:11], v[24:25], v[82:83], v[8:9] op_sel_hi:[1,0,1]
	s_delay_alu instid0(VALU_DEP_4) | instskip(SKIP_1) | instid1(VALU_DEP_3)
	v_pk_mul_f32 v[2:3], v[12:13], v[2:3] op_sel_hi:[1,0]
	s_barrier_wait -1
	v_pk_add_f32 v[0:1], v[0:1], v[4:5]
	v_pk_fma_f32 v[4:5], v[24:25], v[82:83], v[8:9] neg_lo:[0,0,1] neg_hi:[0,0,1]
	s_delay_alu instid0(VALU_DEP_3) | instskip(SKIP_1) | instid1(VALU_DEP_4)
	v_pk_fma_f32 v[8:9], v[26:27], v[80:81], v[2:3] op_sel_hi:[1,0,1]
	v_mov_b32_e32 v5, v11
	v_pk_add_f32 v[0:1], v[0:1], v[6:7]
	v_pk_fma_f32 v[2:3], v[26:27], v[80:81], v[2:3] neg_lo:[0,0,1] neg_hi:[0,0,1]
	s_delay_alu instid0(VALU_DEP_4) | instskip(NEXT) | instid1(VALU_DEP_3)
	v_mov_b32_e32 v3, v9
	v_pk_add_f32 v[0:1], v[0:1], v[4:5]
	s_delay_alu instid0(VALU_DEP_1)
	v_pk_add_f32 v[50:51], v[0:1], v[2:3]
	s_cbranch_scc1 .LBB184_73
.LBB184_69:                             ;   Parent Loop BB184_4 Depth=1
                                        ; =>  This Inner Loop Header: Depth=2
	s_and_saveexec_b32 vcc_lo, s2
	s_cbranch_execz .LBB184_71
; %bb.70:                               ;   in Loop: Header=BB184_69 Depth=2
	s_mul_u64 s[16:17], s[44:45], s[34:35]
	s_delay_alu instid0(SALU_CYCLE_1)
	v_lshl_add_u64 v[0:1], s[16:17], 3, v[52:53]
	flat_load_b64 v[0:1], v[0:1]
	s_wait_loadcnt_dscnt 0x0
	ds_store_b64 v94, v[0:1]
.LBB184_71:                             ;   in Loop: Header=BB184_69 Depth=2
	s_wait_xcnt 0x0
	s_or_b32 exec_lo, exec_lo, vcc_lo
	v_add_nc_u64_e32 v[0:1], s[70:71], v[54:55]
	v_add_nc_u64_e32 v[2:3], s[72:73], v[54:55]
	;; [unrolled: 1-line block ×3, first 2 shown]
	s_wait_dscnt 0x0
	s_barrier_signal -1
	s_barrier_wait -1
	s_clause 0x3
	flat_load_b64 v[60:61], v[54:55]
	flat_load_b64 v[62:63], v[0:1]
	;; [unrolled: 1-line block ×4, first 2 shown]
	ds_load_b64 v[8:9], v88
	s_wait_xcnt 0x0
	ds_load_b128 v[4:7], v95
	v_add_nc_u64_e32 v[12:13], s[56:57], v[54:55]
	v_add_nc_u64_e32 v[24:25], s[78:79], v[54:55]
	;; [unrolled: 1-line block ×3, first 2 shown]
	ds_load_b128 v[0:3], v95 offset:16
	v_add_nc_u64_e32 v[28:29], s[82:83], v[54:55]
	v_add_nc_u64_e32 v[30:31], s[96:97], v[54:55]
	;; [unrolled: 1-line block ×4, first 2 shown]
	s_wait_loadcnt_dscnt 0x202
	v_dual_mul_f32 v14, v9, v63 :: v_dual_mul_f32 v15, v9, v62
	v_dual_mul_f32 v10, v9, v61 :: v_dual_mul_f32 v11, v9, v60
	s_wait_loadcnt 0x1
	v_dual_mul_f32 v16, v9, v59 :: v_dual_mul_f32 v17, v9, v58
	s_wait_loadcnt 0x0
	v_dual_mul_f32 v18, v9, v57 :: v_dual_mul_f32 v19, v8, v57
	v_dual_fma_f32 v10, v8, v60, -v10 :: v_dual_fmac_f32 v11, v8, v61
	v_dual_fma_f32 v14, v8, v62, -v14 :: v_dual_fmac_f32 v15, v8, v63
	;; [unrolled: 1-line block ×3, first 2 shown]
	s_delay_alu instid0(VALU_DEP_4)
	v_dual_fma_f32 v18, v8, v56, -v18 :: v_dual_fmac_f32 v19, v9, v56
	v_add_nc_u64_e32 v[8:9], s[98:99], v[54:55]
	ds_store_2addr_b64 v96, v[10:11], v[14:15] offset1:67
	ds_store_2addr_b64 v96, v[16:17], v[18:19] offset0:134 offset1:201
	s_wait_dscnt 0x0
	s_barrier_signal -1
	s_barrier_wait -1
	ds_load_2addr_b64 v[16:19], v97 offset1:1
	ds_load_2addr_b64 v[20:23], v97 offset0:2 offset1:3
	s_wait_dscnt 0x0
	s_barrier_signal -1
	s_barrier_wait -1
	s_clause 0x3
	flat_load_b64 v[72:73], v[12:13]
	flat_load_b64 v[68:69], v[8:9]
	;; [unrolled: 1-line block ×4, first 2 shown]
	s_wait_xcnt 0x2
	ds_load_b64 v[8:9], v88
	ds_load_b128 v[12:15], v95 offset:128
	v_pk_add_f32 v[16:17], v[16:17], 0 op_sel_hi:[1,0]
	s_delay_alu instid0(VALU_DEP_1) | instskip(NEXT) | instid1(VALU_DEP_1)
	v_pk_add_f32 v[16:17], v[16:17], v[18:19]
	v_pk_add_f32 v[16:17], v[16:17], v[20:21]
	s_delay_alu instid0(VALU_DEP_1)
	v_pk_add_f32 v[120:121], v[16:17], v[22:23]
	s_wait_loadcnt_dscnt 0x301
	s_wait_xcnt 0x1
	v_dual_mul_f32 v10, v9, v73 :: v_dual_mul_f32 v25, v9, v72
	s_wait_loadcnt 0x2
	s_wait_xcnt 0x0
	v_dual_mul_f32 v11, v9, v69 :: v_dual_mul_f32 v27, v9, v68
	s_wait_loadcnt 0x1
	v_dual_mul_f32 v70, v9, v67 :: v_dual_mul_f32 v71, v9, v66
	s_wait_loadcnt 0x0
	v_dual_mul_f32 v74, v9, v65 :: v_dual_mul_f32 v75, v8, v65
	v_dual_fma_f32 v24, v8, v72, -v10 :: v_dual_fmac_f32 v25, v8, v73
	s_delay_alu instid0(VALU_DEP_3) | instskip(NEXT) | instid1(VALU_DEP_3)
	v_dual_fma_f32 v26, v8, v68, -v11 :: v_dual_fma_f32 v70, v8, v66, -v70
	v_dual_fmac_f32 v27, v8, v69 :: v_dual_fma_f32 v74, v8, v64, -v74
	v_fmac_f32_e32 v71, v8, v67
	v_fmac_f32_e32 v75, v9, v64
	ds_load_b128 v[8:11], v95 offset:144
	ds_store_2addr_b64 v96, v[24:25], v[26:27] offset1:67
	ds_store_2addr_b64 v96, v[70:71], v[74:75] offset0:134 offset1:201
	s_wait_dscnt 0x0
	s_barrier_signal -1
	s_barrier_wait -1
	ds_load_2addr_b64 v[24:27], v97 offset1:1
	ds_load_2addr_b64 v[80:83], v97 offset0:2 offset1:3
	s_wait_dscnt 0x0
	s_barrier_signal -1
	s_barrier_wait -1
	s_clause 0x3
	flat_load_b64 v[78:79], v[28:29]
	flat_load_b64 v[76:77], v[30:31]
	flat_load_b64 v[74:75], v[84:85]
	flat_load_b64 v[70:71], v[86:87]
	s_wait_xcnt 0x1
	ds_load_b64 v[84:85], v88
	ds_load_b128 v[28:31], v95 offset:256
	s_wait_xcnt 0x0
	v_add_nc_u64_e32 v[86:87], s[88:89], v[54:55]
	v_pk_add_f32 v[16:17], v[24:25], 0 op_sel_hi:[1,0]
	s_delay_alu instid0(VALU_DEP_1)
	v_pk_add_f32 v[26:27], v[16:17], v[26:27]
	s_wait_loadcnt_dscnt 0x201
	v_dual_mul_f32 v18, v85, v79 :: v_dual_mul_f32 v19, v85, v77
	v_dual_mul_f32 v21, v85, v78 :: v_dual_mul_f32 v23, v85, v76
	s_wait_loadcnt 0x1
	v_dual_mul_f32 v24, v85, v75 :: v_dual_mul_f32 v25, v85, v74
	s_wait_loadcnt 0x0
	v_dual_fma_f32 v20, v84, v78, -v18 :: v_dual_mul_f32 v18, v85, v71
	v_dual_mul_f32 v109, v84, v71 :: v_dual_fmac_f32 v23, v84, v77
	s_delay_alu instid0(VALU_DEP_3) | instskip(NEXT) | instid1(VALU_DEP_3)
	v_dual_fma_f32 v22, v84, v76, -v19 :: v_dual_fma_f32 v24, v84, v74, -v24
	v_dual_fmac_f32 v21, v84, v79 :: v_dual_fma_f32 v108, v84, v70, -v18
	v_fmac_f32_e32 v25, v84, v75
	s_delay_alu instid0(VALU_DEP_4)
	v_fmac_f32_e32 v109, v85, v70
	ds_load_b128 v[16:19], v95 offset:272
	ds_store_2addr_b64 v96, v[20:21], v[22:23] offset1:67
	ds_store_2addr_b64 v96, v[24:25], v[108:109] offset0:134 offset1:201
	s_wait_dscnt 0x0
	s_barrier_signal -1
	s_barrier_wait -1
	ds_load_2addr_b64 v[20:23], v97 offset1:1
	ds_load_2addr_b64 v[108:111], v97 offset0:2 offset1:3
	v_add_nc_u64_e32 v[84:85], s[94:95], v[54:55]
	s_wait_dscnt 0x0
	s_barrier_signal -1
	s_barrier_wait -1
	s_clause 0x1
	flat_load_b64 v[86:87], v[86:87]
	flat_load_b64 v[84:85], v[84:85]
	v_pk_add_f32 v[24:25], v[26:27], v[80:81]
	s_delay_alu instid0(VALU_DEP_1) | instskip(SKIP_2) | instid1(VALU_DEP_1)
	v_pk_add_f32 v[122:123], v[24:25], v[82:83]
	v_add_nc_u64_e32 v[24:25], s[90:91], v[54:55]
	v_pk_add_f32 v[20:21], v[20:21], 0 op_sel_hi:[1,0]
	v_pk_add_f32 v[124:125], v[20:21], v[22:23]
	v_add_nc_u64_e32 v[20:21], s[92:93], v[54:55]
	s_clause 0x1
	flat_load_b64 v[82:83], v[24:25]
	flat_load_b64 v[80:81], v[20:21]
	s_wait_xcnt 0x1
	ds_load_b64 v[24:25], v88
	s_wait_xcnt 0x0
	ds_load_b128 v[20:23], v95 offset:384
	v_pk_add_f32 v[108:109], v[124:125], v[108:109]
	s_delay_alu instid0(VALU_DEP_1) | instskip(SKIP_4) | instid1(VALU_DEP_2)
	v_pk_add_f32 v[108:109], v[108:109], v[110:111]
	s_wait_loadcnt_dscnt 0x301
	v_dual_mul_f32 v26, v25, v87 :: v_dual_mul_f32 v27, v25, v86
	s_wait_loadcnt 0x2
	v_dual_mul_f32 v107, v25, v85 :: v_dual_mul_f32 v113, v25, v84
	v_dual_fma_f32 v26, v24, v86, -v26 :: v_dual_fmac_f32 v27, v24, v87
	s_delay_alu instid0(VALU_DEP_2)
	v_dual_fma_f32 v112, v24, v84, -v107 :: v_dual_fmac_f32 v113, v24, v85
	ds_store_2addr_b64 v96, v[26:27], v[112:113] offset1:67
	s_wait_loadcnt 0x1
	v_dual_mul_f32 v26, v25, v83 :: v_dual_mul_f32 v27, v25, v82
	s_wait_loadcnt 0x0
	v_dual_mul_f32 v107, v25, v81 :: v_dual_mul_f32 v113, v24, v81
	s_delay_alu instid0(VALU_DEP_2) | instskip(NEXT) | instid1(VALU_DEP_2)
	v_dual_fma_f32 v26, v24, v82, -v26 :: v_dual_fmac_f32 v27, v24, v83
	v_dual_fma_f32 v112, v24, v80, -v107 :: v_dual_fmac_f32 v113, v25, v80
	ds_store_2addr_b64 v96, v[26:27], v[112:113] offset0:134 offset1:201
	ds_load_b128 v[24:27], v95 offset:400
	s_wait_dscnt 0x0
	s_barrier_signal -1
	s_barrier_wait -1
	ds_load_2addr_b64 v[112:115], v97 offset1:1
	ds_load_2addr_b64 v[116:119], v97 offset0:2 offset1:3
	s_wait_dscnt 0x0
	s_barrier_signal -1
	s_barrier_wait -1
	v_pk_add_f32 v[112:113], v[112:113], 0 op_sel_hi:[1,0]
	s_delay_alu instid0(VALU_DEP_1) | instskip(NEXT) | instid1(VALU_DEP_1)
	v_pk_add_f32 v[112:113], v[112:113], v[114:115]
	v_pk_add_f32 v[110:111], v[112:113], v[116:117]
	s_delay_alu instid0(VALU_DEP_1)
	v_pk_add_f32 v[110:111], v[110:111], v[118:119]
	ds_store_2addr_b64 v106, v[120:121], v[122:123] offset1:16
	ds_store_2addr_b64 v106, v[108:109], v[110:111] offset0:32 offset1:48
	s_wait_dscnt 0x0
	s_barrier_signal -1
	s_barrier_wait -1
	s_and_saveexec_b32 vcc_lo, s20
	s_cbranch_execz .LBB184_68
; %bb.72:                               ;   in Loop: Header=BB184_69 Depth=2
	ds_load_b64 v[120:121], v98
	ds_load_2addr_b64 v[108:111], v98 offset0:1 offset1:2
	ds_load_2addr_b64 v[112:115], v98 offset0:3 offset1:4
	;; [unrolled: 1-line block ×3, first 2 shown]
	s_wait_dscnt 0x2
	v_dual_add_f32 v107, v108, v120 :: v_dual_add_f32 v108, v109, v121
	s_delay_alu instid0(VALU_DEP_1) | instskip(SKIP_3) | instid1(VALU_DEP_1)
	v_dual_add_f32 v107, v110, v107 :: v_dual_add_f32 v120, v111, v108
	ds_load_2addr_b64 v[108:111], v98 offset0:7 offset1:8
	s_wait_dscnt 0x2
	v_dual_add_f32 v107, v107, v112 :: v_dual_add_f32 v112, v120, v113
	v_dual_add_f32 v120, v107, v114 :: v_dual_add_f32 v121, v112, v115
	ds_load_2addr_b64 v[112:115], v98 offset0:9 offset1:10
	v_add_nc_u32_e32 v107, s34, v32
	s_wait_dscnt 0x2
	v_pk_add_f32 v[116:117], v[120:121], v[116:117]
	s_delay_alu instid0(VALU_DEP_1) | instskip(SKIP_3) | instid1(VALU_DEP_1)
	v_pk_add_f32 v[120:121], v[116:117], v[118:119]
	ds_load_2addr_b64 v[116:119], v98 offset0:11 offset1:12
	s_wait_dscnt 0x2
	v_pk_add_f32 v[108:109], v[120:121], v[108:109]
	v_pk_add_f32 v[108:109], v[108:109], v[110:111]
	s_wait_dscnt 0x1
	s_delay_alu instid0(VALU_DEP_1)
	v_pk_add_f32 v[112:113], v[108:109], v[112:113]
	ds_load_2addr_b64 v[108:111], v98 offset0:13 offset1:14
	v_pk_add_f32 v[112:113], v[112:113], v[114:115]
	ds_load_b64 v[114:115], v99
	s_wait_dscnt 0x2
	v_pk_add_f32 v[112:113], v[112:113], v[116:117]
	s_delay_alu instid0(VALU_DEP_1) | instskip(SKIP_1) | instid1(VALU_DEP_1)
	v_pk_add_f32 v[112:113], v[112:113], v[118:119]
	s_wait_dscnt 0x1
	v_pk_add_f32 v[108:109], v[112:113], v[108:109]
	s_delay_alu instid0(VALU_DEP_1) | instskip(SKIP_1) | instid1(VALU_DEP_1)
	v_pk_add_f32 v[108:109], v[108:109], v[110:111]
	s_wait_dscnt 0x0
	v_pk_add_f32 v[108:109], v[108:109], v[114:115]
	global_store_b64 v107, v[108:109], s[0:1] scale_offset
	s_branch .LBB184_68
.LBB184_73:                             ;   in Loop: Header=BB184_4 Depth=1
	ds_store_b64 v100, v[50:51]
	s_wait_dscnt 0x0
	s_barrier_signal -1
	s_barrier_wait -1
	s_and_saveexec_b32 s23, s15
	s_cbranch_execz .LBB184_2
; %bb.74:                               ;   in Loop: Header=BB184_4 Depth=1
	ds_load_2addr_b64 v[0:3], v33 offset1:67
	ds_load_2addr_b64 v[4:7], v33 offset0:134 offset1:201
	s_wait_dscnt 0x1
	v_pk_add_f32 v[0:1], v[2:3], v[0:1]
	v_lshl_add_u64 v[2:3], v[36:37], 3, s[0:1]
	s_wait_dscnt 0x0
	s_delay_alu instid0(VALU_DEP_2) | instskip(NEXT) | instid1(VALU_DEP_1)
	v_pk_add_f32 v[0:1], v[4:5], v[0:1]
	v_pk_add_f32 v[0:1], v[0:1], v[6:7]
	global_store_b64 v[2:3], v[0:1], off
	s_branch .LBB184_2
.LBB184_75:                             ;   in Loop: Header=BB184_4 Depth=1
	ds_load_b64 v[2:3], v103
	s_wait_dscnt 0x0
	ds_store_b64 v90, v[2:3]
	s_or_b32 exec_lo, exec_lo, s0
	s_and_saveexec_b32 s0, s10
	s_cbranch_execz .LBB184_26
.LBB184_76:                             ;   in Loop: Header=BB184_4 Depth=1
	ds_load_b64 v[2:3], v104
	s_wait_dscnt 0x0
	ds_store_b64 v90, v[2:3] offset:8
	s_or_b32 exec_lo, exec_lo, s0
	s_and_saveexec_b32 s0, s11
	s_cbranch_execz .LBB184_27
.LBB184_77:                             ;   in Loop: Header=BB184_4 Depth=1
	ds_load_b64 v[2:3], v104 offset:264
	s_wait_dscnt 0x0
	ds_store_b64 v90, v[2:3] offset:16
	s_or_b32 exec_lo, exec_lo, s0
	s_and_saveexec_b32 s0, s12
	s_cbranch_execnz .LBB184_28
	s_branch .LBB184_29
.LBB184_78:                             ;   in Loop: Header=BB184_4 Depth=1
	ds_load_b64 v[2:3], v103
	s_wait_dscnt 0x0
	ds_store_b64 v90, v[2:3]
	s_or_b32 exec_lo, exec_lo, s0
	s_and_saveexec_b32 s0, s10
	s_cbranch_execz .LBB184_45
.LBB184_79:                             ;   in Loop: Header=BB184_4 Depth=1
	ds_load_b64 v[2:3], v104
	s_wait_dscnt 0x0
	ds_store_b64 v90, v[2:3] offset:8
	s_or_b32 exec_lo, exec_lo, s0
	s_and_saveexec_b32 s0, s11
	s_cbranch_execz .LBB184_46
.LBB184_80:                             ;   in Loop: Header=BB184_4 Depth=1
	ds_load_b64 v[2:3], v104 offset:264
	s_wait_dscnt 0x0
	ds_store_b64 v90, v[2:3] offset:16
	s_or_b32 exec_lo, exec_lo, s0
	s_and_saveexec_b32 s0, s12
	s_cbranch_execnz .LBB184_47
	s_branch .LBB184_48
.LBB184_81:
	s_sendmsg sendmsg(MSG_DEALLOC_VGPRS)
	s_endpgm
	.section	.rodata,"a",@progbits
	.p2align	6, 0x0
	.amdhsa_kernel _ZL26rocblas_hemvn_kernel_lowerILb0ELi64ELi4ELi33ELi32ELi16ElPK19rocblas_complex_numIfEPKS3_PS1_EviT6_lT7_lT5_lS8_lS9_lS7_lT8_i
		.amdhsa_group_segment_fixed_size 9600
		.amdhsa_private_segment_fixed_size 0
		.amdhsa_kernarg_size 376
		.amdhsa_user_sgpr_count 2
		.amdhsa_user_sgpr_dispatch_ptr 0
		.amdhsa_user_sgpr_queue_ptr 0
		.amdhsa_user_sgpr_kernarg_segment_ptr 1
		.amdhsa_user_sgpr_dispatch_id 0
		.amdhsa_user_sgpr_kernarg_preload_length 0
		.amdhsa_user_sgpr_kernarg_preload_offset 0
		.amdhsa_user_sgpr_private_segment_size 0
		.amdhsa_wavefront_size32 1
		.amdhsa_uses_dynamic_stack 0
		.amdhsa_enable_private_segment 0
		.amdhsa_system_sgpr_workgroup_id_x 1
		.amdhsa_system_sgpr_workgroup_id_y 0
		.amdhsa_system_sgpr_workgroup_id_z 1
		.amdhsa_system_sgpr_workgroup_info 0
		.amdhsa_system_vgpr_workitem_id 1
		.amdhsa_next_free_vgpr 127
		.amdhsa_next_free_sgpr 105
		.amdhsa_named_barrier_count 0
		.amdhsa_reserve_vcc 1
		.amdhsa_float_round_mode_32 0
		.amdhsa_float_round_mode_16_64 0
		.amdhsa_float_denorm_mode_32 3
		.amdhsa_float_denorm_mode_16_64 3
		.amdhsa_fp16_overflow 0
		.amdhsa_memory_ordered 1
		.amdhsa_forward_progress 1
		.amdhsa_inst_pref_size 58
		.amdhsa_round_robin_scheduling 0
		.amdhsa_exception_fp_ieee_invalid_op 0
		.amdhsa_exception_fp_denorm_src 0
		.amdhsa_exception_fp_ieee_div_zero 0
		.amdhsa_exception_fp_ieee_overflow 0
		.amdhsa_exception_fp_ieee_underflow 0
		.amdhsa_exception_fp_ieee_inexact 0
		.amdhsa_exception_int_div_zero 0
	.end_amdhsa_kernel
	.section	.text._ZL26rocblas_hemvn_kernel_lowerILb0ELi64ELi4ELi33ELi32ELi16ElPK19rocblas_complex_numIfEPKS3_PS1_EviT6_lT7_lT5_lS8_lS9_lS7_lT8_i,"axG",@progbits,_ZL26rocblas_hemvn_kernel_lowerILb0ELi64ELi4ELi33ELi32ELi16ElPK19rocblas_complex_numIfEPKS3_PS1_EviT6_lT7_lT5_lS8_lS9_lS7_lT8_i,comdat
.Lfunc_end184:
	.size	_ZL26rocblas_hemvn_kernel_lowerILb0ELi64ELi4ELi33ELi32ELi16ElPK19rocblas_complex_numIfEPKS3_PS1_EviT6_lT7_lT5_lS8_lS9_lS7_lT8_i, .Lfunc_end184-_ZL26rocblas_hemvn_kernel_lowerILb0ELi64ELi4ELi33ELi32ELi16ElPK19rocblas_complex_numIfEPKS3_PS1_EviT6_lT7_lT5_lS8_lS9_lS7_lT8_i
                                        ; -- End function
	.set _ZL26rocblas_hemvn_kernel_lowerILb0ELi64ELi4ELi33ELi32ELi16ElPK19rocblas_complex_numIfEPKS3_PS1_EviT6_lT7_lT5_lS8_lS9_lS7_lT8_i.num_vgpr, 127
	.set _ZL26rocblas_hemvn_kernel_lowerILb0ELi64ELi4ELi33ELi32ELi16ElPK19rocblas_complex_numIfEPKS3_PS1_EviT6_lT7_lT5_lS8_lS9_lS7_lT8_i.num_agpr, 0
	.set _ZL26rocblas_hemvn_kernel_lowerILb0ELi64ELi4ELi33ELi32ELi16ElPK19rocblas_complex_numIfEPKS3_PS1_EviT6_lT7_lT5_lS8_lS9_lS7_lT8_i.numbered_sgpr, 105
	.set _ZL26rocblas_hemvn_kernel_lowerILb0ELi64ELi4ELi33ELi32ELi16ElPK19rocblas_complex_numIfEPKS3_PS1_EviT6_lT7_lT5_lS8_lS9_lS7_lT8_i.num_named_barrier, 0
	.set _ZL26rocblas_hemvn_kernel_lowerILb0ELi64ELi4ELi33ELi32ELi16ElPK19rocblas_complex_numIfEPKS3_PS1_EviT6_lT7_lT5_lS8_lS9_lS7_lT8_i.private_seg_size, 0
	.set _ZL26rocblas_hemvn_kernel_lowerILb0ELi64ELi4ELi33ELi32ELi16ElPK19rocblas_complex_numIfEPKS3_PS1_EviT6_lT7_lT5_lS8_lS9_lS7_lT8_i.uses_vcc, 1
	.set _ZL26rocblas_hemvn_kernel_lowerILb0ELi64ELi4ELi33ELi32ELi16ElPK19rocblas_complex_numIfEPKS3_PS1_EviT6_lT7_lT5_lS8_lS9_lS7_lT8_i.uses_flat_scratch, 1
	.set _ZL26rocblas_hemvn_kernel_lowerILb0ELi64ELi4ELi33ELi32ELi16ElPK19rocblas_complex_numIfEPKS3_PS1_EviT6_lT7_lT5_lS8_lS9_lS7_lT8_i.has_dyn_sized_stack, 0
	.set _ZL26rocblas_hemvn_kernel_lowerILb0ELi64ELi4ELi33ELi32ELi16ElPK19rocblas_complex_numIfEPKS3_PS1_EviT6_lT7_lT5_lS8_lS9_lS7_lT8_i.has_recursion, 0
	.set _ZL26rocblas_hemvn_kernel_lowerILb0ELi64ELi4ELi33ELi32ELi16ElPK19rocblas_complex_numIfEPKS3_PS1_EviT6_lT7_lT5_lS8_lS9_lS7_lT8_i.has_indirect_call, 0
	.section	.AMDGPU.csdata,"",@progbits
; Kernel info:
; codeLenInByte = 7352
; TotalNumSgprs: 107
; NumVgprs: 127
; ScratchSize: 0
; MemoryBound: 1
; FloatMode: 240
; IeeeMode: 1
; LDSByteSize: 9600 bytes/workgroup (compile time only)
; SGPRBlocks: 0
; VGPRBlocks: 7
; NumSGPRsForWavesPerEU: 107
; NumVGPRsForWavesPerEU: 127
; NamedBarCnt: 0
; Occupancy: 8
; WaveLimiterHint : 1
; COMPUTE_PGM_RSRC2:SCRATCH_EN: 0
; COMPUTE_PGM_RSRC2:USER_SGPR: 2
; COMPUTE_PGM_RSRC2:TRAP_HANDLER: 0
; COMPUTE_PGM_RSRC2:TGID_X_EN: 1
; COMPUTE_PGM_RSRC2:TGID_Y_EN: 0
; COMPUTE_PGM_RSRC2:TGID_Z_EN: 1
; COMPUTE_PGM_RSRC2:TIDIG_COMP_CNT: 1
	.section	.text._ZL26rocblas_hemvn_kernel_lowerILb0ELi64ELi4ELi33ELi32ELi16EiPK19rocblas_complex_numIfEPKS3_PS1_EviT6_lT7_lT5_lS8_lS9_lS7_lT8_i,"axG",@progbits,_ZL26rocblas_hemvn_kernel_lowerILb0ELi64ELi4ELi33ELi32ELi16EiPK19rocblas_complex_numIfEPKS3_PS1_EviT6_lT7_lT5_lS8_lS9_lS7_lT8_i,comdat
	.globl	_ZL26rocblas_hemvn_kernel_lowerILb0ELi64ELi4ELi33ELi32ELi16EiPK19rocblas_complex_numIfEPKS3_PS1_EviT6_lT7_lT5_lS8_lS9_lS7_lT8_i ; -- Begin function _ZL26rocblas_hemvn_kernel_lowerILb0ELi64ELi4ELi33ELi32ELi16EiPK19rocblas_complex_numIfEPKS3_PS1_EviT6_lT7_lT5_lS8_lS9_lS7_lT8_i
	.p2align	8
	.type	_ZL26rocblas_hemvn_kernel_lowerILb0ELi64ELi4ELi33ELi32ELi16EiPK19rocblas_complex_numIfEPKS3_PS1_EviT6_lT7_lT5_lS8_lS9_lS7_lT8_i,@function
_ZL26rocblas_hemvn_kernel_lowerILb0ELi64ELi4ELi33ELi32ELi16EiPK19rocblas_complex_numIfEPKS3_PS1_EviT6_lT7_lT5_lS8_lS9_lS7_lT8_i: ; @_ZL26rocblas_hemvn_kernel_lowerILb0ELi64ELi4ELi33ELi32ELi16EiPK19rocblas_complex_numIfEPKS3_PS1_EviT6_lT7_lT5_lS8_lS9_lS7_lT8_i
; %bb.0:
	s_clause 0x1
	s_load_b64 s[4:5], s[0:1], 0x84
	s_load_b32 s21, s[0:1], 0x70
	s_bfe_u32 s2, ttmp6, 0x40014
	s_lshr_b32 s6, ttmp7, 16
	s_add_co_i32 s2, s2, 1
	s_bfe_u32 s7, ttmp6, 0x40008
	s_mul_i32 s2, s6, s2
	s_getreg_b32 s3, hwreg(HW_REG_IB_STS2, 6, 4)
	s_add_co_i32 s7, s7, s2
	s_mov_b32 s23, 0
	s_wait_kmcnt 0x0
	s_lshr_b32 s2, s4, 16
	s_and_b32 s4, s4, 0xffff
	s_and_b32 s5, s5, 0xffff
	s_mul_i32 s2, s2, s4
	s_cmp_eq_u32 s3, 0
	s_mul_i32 s2, s2, s5
	s_cselect_b32 s22, s6, s7
	s_cmp_lg_u32 s2, 0x100
	s_cselect_b32 s2, -1, 0
	s_cmp_ge_u32 s22, s21
	s_cselect_b32 s4, -1, 0
	s_delay_alu instid0(SALU_CYCLE_1) | instskip(NEXT) | instid1(SALU_CYCLE_1)
	s_or_b32 s2, s2, s4
	s_and_b32 vcc_lo, exec_lo, s2
	s_cbranch_vccnz .LBB185_81
; %bb.1:
	s_clause 0x1
	s_load_b32 s8, s[0:1], 0x0
	s_load_b32 s24, s[0:1], 0x28
	s_add_nc_u64 s[6:7], s[0:1], 0x78
	s_clause 0x2
	s_load_b128 s[36:39], s[0:1], 0x38
	s_load_b32 s16, s[0:1], 0x48
	s_load_b64 s[4:5], s[0:1], 0x68
	s_load_b32 s10, s[6:7], 0x0
	s_bfe_u32 s2, ttmp6, 0x4000c
	s_and_b32 s9, ttmp6, 15
	s_add_co_i32 s2, s2, 1
	v_and_b32_e32 v32, 0x3ff, v0
	s_wait_xcnt 0x0
	s_mul_i32 s6, ttmp9, s2
	v_bfe_u32 v1, v0, 10, 10
	s_add_co_i32 s6, s9, s6
                                        ; implicit-def: $vgpr136 : SGPR spill to VGPR lane
	s_mov_b32 s11, s23
	v_mov_b32_e32 v35, 0
	s_load_b128 s[40:43], s[0:1], 0x58
	v_lshl_add_u32 v2, v1, 6, v32
	v_and_b32_e32 v34, 31, v0
	v_cmp_eq_u32_e64 s2, 0, v1
	v_mov_b32_e32 v33, v35
	v_mov_b64_e32 v[50:51], 0
	s_wait_kmcnt 0x0
	s_ashr_i32 s9, s8, 31
	s_ashr_i32 s25, s24, 31
	s_cmp_eq_u32 s3, 0
	v_lshrrev_b32_e32 v3, 5, v2
	s_cselect_b32 s18, ttmp9, s6
	s_lshr_b32 s3, s9, 26
	s_add_co_i32 s6, s10, -1
	s_add_co_i32 s3, s8, s3
	s_lshl_b32 s26, s18, 6
	s_and_not1_b32 s3, s3, 63
	v_dual_add_nc_u32 v6, 8, v3 :: v_dual_add_nc_u32 v7, 16, v3
	s_sub_co_i32 s3, s8, s3
	s_cmp_eq_u32 s18, s6
	s_mul_i32 s6, s8, s18
	s_cselect_b32 s34, s3, 0
	v_dual_lshlrev_b32 v8, 2, v3 :: v_dual_add_nc_u32 v9, 24, v3
	s_cmp_eq_u32 s34, 0
	v_cmp_le_i32_e32 vcc_lo, s34, v32
	s_cselect_b32 s104, -1, 0
	s_cmp_lg_u32 s34, 0
	v_lshlrev_b32_e32 v4, 3, v34
	s_cselect_b32 s3, -1, 0
	s_sub_co_i32 s15, s34, 32
	s_ashr_i32 s7, s6, 31
	v_cmp_gt_i32_e64 s17, s15, v3
	s_lshl_b64 s[6:7], s[6:7], 3
	v_dual_lshlrev_b32 v15, 3, v3 :: v_dual_bitop2_b32 v13, 2, v8 bitop3:0x54
	s_add_nc_u64 s[46:47], s[4:5], s[6:7]
	v_writelane_b32 v136, s17, 0
	v_cmp_gt_i32_e64 s17, s15, v6
	v_cmp_gt_i32_e64 s6, s34, v6
	v_mul_lo_u32 v6, v1, s24
	v_mul_u32_u24_e32 v14, 33, v34
	v_dual_lshlrev_b32 v90, 3, v32 :: v_dual_add_nc_u32 v36, s26, v32
	v_writelane_b32 v136, s17, 1
	v_cmp_gt_i32_e64 s17, s15, v7
	s_and_b32 s3, s3, vcc_lo
	s_mul_i32 s48, s24, s26
	s_lshl_b32 s50, s24, 3
	s_lshl_b32 s52, s24, 4
	s_mul_i32 s54, s24, 24
	s_lshl_b32 s56, s24, 5
	v_writelane_b32 v136, s17, 2
	v_cmp_gt_i32_e64 s15, s15, v9
	s_mul_i32 s28, s16, s26
	s_mul_u64 s[44:45], s[10:11], s[8:9]
	s_ashr_i32 s27, s26, 31
	s_ashr_i32 s49, s48, 31
	;; [unrolled: 1-line block ×6, first 2 shown]
	v_lshl_or_b32 v92, v34, 8, v4
	v_and_b32_e32 v10, 0x7fe0, v2
	v_or_b32_e32 v11, 1, v8
	v_cmp_lt_u32_e64 s9, v8, v34
	v_or_b32_e32 v8, 3, v8
	v_lshl_add_u32 v95, v14, 3, v15
	s_ashr_i32 s57, s56, 31
	s_xor_b32 s17, s3, -1
	s_ashr_i32 s29, s28, 31
	s_cmp_gt_i32 s18, 0
	v_mul_lo_u32 v38, s16, v36
	v_mad_u32 v40, s24, v3, v34
	v_writelane_b32 v136, s15, 3
	s_sub_nc_u64 s[60:61], 0, s[28:29]
	s_cselect_b32 s15, -1, 0
	s_lshl_b64 s[64:65], s[24:25], 6
	s_lshl_b64 s[68:69], s[24:25], 3
	;; [unrolled: 1-line block ×4, first 2 shown]
	s_mul_u64 s[74:75], s[24:25], 24
	s_lshl_b64 s[76:77], s[24:25], 7
	s_mul_u64 s[78:79], s[24:25], 0x90
	s_mul_u64 s[80:81], s[24:25], 0x98
	s_lshl_b64 s[82:83], s[24:25], 8
	s_mul_u64 s[84:85], s[24:25], 0x110
	s_mul_u64 s[86:87], s[24:25], 0x118
	;; [unrolled: 1-line block ×8, first 2 shown]
	s_lshl_b64 s[100:101], s[26:27], 3
	s_load_b256 s[24:31], s[0:1], 0x8
	v_mul_u32_u24_e32 v5, 0x108, v3
	v_cmp_gt_i32_e64 s5, s34, v3
	v_cmp_gt_i32_e64 s7, s34, v7
	v_mul_u32_u24_e32 v12, 0x420, v3
	v_cmp_eq_u32_e64 s19, 1, v3
	v_mul_i32_i24_e32 v7, 0xffffffe8, v3
	v_mad_u32_u24 v96, v3, 24, v95
	v_lshrrev_b32_e32 v3, 4, v2
	v_cmp_lt_u32_e64 s12, v8, v34
	v_lshl_add_u32 v44, v6, 2, v32
	v_or_b32_e32 v8, 32, v34
	v_and_b32_e32 v6, 15, v0
	v_dual_add_nc_u32 v104, v4, v5 :: v_dual_bitop2_b32 v0, 48, v0 bitop3:0x40
	s_delay_alu instid0(VALU_DEP_4) | instskip(NEXT) | instid1(VALU_DEP_4)
	v_ashrrev_i32_e32 v45, 31, v44
	v_cmp_gt_i32_e64 s14, s34, v8
	v_dual_lshlrev_b32 v8, 5, v3 :: v_dual_ashrrev_i32 v39, 31, v38
	v_ashrrev_i32_e32 v41, 31, v40
	v_add_nc_u32_e32 v94, 0x2380, v10
	v_cmp_gt_i32_e64 s8, s34, v9
	v_add_nc_u32_e32 v93, v92, v10
	v_cmp_lt_u32_e64 s10, v11, v34
	v_mul_u32_u24_e32 v11, 0x108, v11
	v_lshlrev_b32_e32 v0, 3, v0
	v_or_b32_e32 v9, 0x78, v90
	v_mad_u32_u24 v99, 0x218, v6, v8
	v_mul_i32_i24_e32 v3, 0xffffffe8, v3
	v_sub_nc_u64_e32 v[42:43], 0, v[34:35]
	v_sub_nc_u64_e32 v[46:47], 0, v[40:41]
	;; [unrolled: 1-line block ×3, first 2 shown]
	v_add_nc_u32_e32 v91, 0x2380, v90
	v_cmp_gt_i32_e64 s4, s34, v34
	v_cmp_lt_u32_e64 s11, v13, v34
	v_cmp_gt_u32_e64 s13, 32, v2
	v_add_nc_u32_e32 v33, 0x2180, v90
	v_lshl_add_u32 v97, v1, 5, 0x2180
	v_mad_u32_u24 v98, 0x860, v1, v90
	v_cmp_gt_u32_e64 s20, 64, v2
	v_mad_u32_u24 v101, 0x218, v6, v9
	v_mad_u32_u24 v102, 0x218, v1, v90
	v_dual_ashrrev_i32 v37, 31, v36 :: v_dual_add_nc_u32 v107, v94, v7
	v_add_nc_u32_e32 v103, 0x2380, v15
	v_dual_add_nc_u32 v105, v4, v12 :: v_dual_add_nc_u32 v108, v99, v3
	v_add_nc_u32_e32 v106, v4, v11
	v_mad_u32_u24 v100, 0x218, v6, v0
	v_lshlrev_b32_e32 v34, 3, v34
	s_sub_nc_u64 s[58:59], 0, s[56:57]
	s_sub_nc_u64 s[62:63], 0, s[48:49]
	s_lshl_b32 s16, s16, 6
	s_and_b32 s17, s2, s17
	s_sub_nc_u64 s[66:67], 0, s[34:35]
	s_lshl_b64 s[38:39], s[38:39], 3
	s_wait_kmcnt 0x0
	s_lshl_b64 s[30:31], s[30:31], 3
	s_branch .LBB185_4
.LBB185_2:                              ;   in Loop: Header=BB185_4 Depth=1
	s_wait_xcnt 0x0
	s_or_b32 exec_lo, exec_lo, s33
.LBB185_3:                              ;   in Loop: Header=BB185_4 Depth=1
	s_add_co_i32 s22, s22, 0x10000
	s_delay_alu instid0(SALU_CYCLE_1)
	s_cmp_lt_u32 s22, s21
	s_cbranch_scc0 .LBB185_81
.LBB185_4:                              ; =>This Loop Header: Depth=1
                                        ;     Child Loop BB185_69 Depth 2
	s_mul_u64 s[0:1], s[26:27], s[22:23]
	s_delay_alu instid0(SALU_CYCLE_1) | instskip(NEXT) | instid1(SALU_CYCLE_1)
	s_lshl_b64 s[0:1], s[0:1], 3
	s_add_nc_u64 s[0:1], s[24:25], s[0:1]
	global_load_b64 v[0:1], v35, s[0:1]
	s_wait_xcnt 0x0
	s_mov_b32 s0, -1
	s_wait_loadcnt 0x0
	v_or_b32_e32 v0, v0, v1
	s_delay_alu instid0(VALU_DEP_1) | instskip(NEXT) | instid1(VALU_DEP_1)
	v_and_b32_e32 v0, 0x7fffffff, v0
	v_cmp_ne_u32_e32 vcc_lo, 0, v0
	s_cbranch_vccz .LBB185_6
; %bb.5:                                ;   in Loop: Header=BB185_4 Depth=1
	s_and_not1_b32 vcc_lo, exec_lo, s0
	s_cbranch_vccnz .LBB185_3
	s_branch .LBB185_7
.LBB185_6:                              ;   in Loop: Header=BB185_4 Depth=1
	s_mul_u64 s[0:1], s[42:43], s[22:23]
	s_delay_alu instid0(SALU_CYCLE_1) | instskip(NEXT) | instid1(SALU_CYCLE_1)
	s_lshl_b64 s[0:1], s[0:1], 3
	s_add_nc_u64 s[0:1], s[40:41], s[0:1]
	global_load_b64 v[0:1], v35, s[0:1]
	s_wait_loadcnt 0x0
	v_cmp_eq_f32_e32 vcc_lo, 1.0, v0
	s_wait_xcnt 0x0
	v_cmp_eq_f32_e64 s0, 0, v1
	s_and_b32 s0, vcc_lo, s0
	s_delay_alu instid0(SALU_CYCLE_1)
	s_and_not1_b32 vcc_lo, exec_lo, s0
	s_cbranch_execnz .LBB185_3
.LBB185_7:                              ;   in Loop: Header=BB185_4 Depth=1
	s_lshl_b64 s[0:1], s[22:23], 3
	s_delay_alu instid0(SALU_CYCLE_1)
	s_add_nc_u64 s[102:103], s[36:37], s[0:1]
	s_add_nc_u64 s[0:1], s[28:29], s[0:1]
	s_clause 0x1
	global_load_b64 v[2:3], v35, s[102:103]
	global_load_b64 v[0:1], v35, s[0:1]
	s_wait_loadcnt 0x1
	v_add_nc_u64_e32 v[2:3], s[38:39], v[2:3]
	s_delay_alu instid0(VALU_DEP_1)
	v_lshl_add_u64 v[16:17], v[38:39], 3, v[2:3]
	s_wait_xcnt 0x0
	s_and_saveexec_b32 s0, s2
	s_cbranch_execz .LBB185_12
; %bb.8:                                ;   in Loop: Header=BB185_4 Depth=1
	s_and_saveexec_b32 s1, s3
	s_delay_alu instid0(SALU_CYCLE_1)
	s_xor_b32 s1, exec_lo, s1
; %bb.9:                                ;   in Loop: Header=BB185_4 Depth=1
	ds_store_b64 v91, v[50:51]
; %bb.10:                               ;   in Loop: Header=BB185_4 Depth=1
	s_and_not1_saveexec_b32 s1, s1
	s_cbranch_execz .LBB185_12
; %bb.11:                               ;   in Loop: Header=BB185_4 Depth=1
	flat_load_b64 v[2:3], v[16:17]
	s_wait_loadcnt_dscnt 0x0
	ds_store_b64 v91, v[2:3]
.LBB185_12:                             ;   in Loop: Header=BB185_4 Depth=1
	s_wait_xcnt 0x0
	s_or_b32 exec_lo, exec_lo, s0
	s_wait_loadcnt 0x0
	v_add_nc_u64_e32 v[0:1], s[30:31], v[0:1]
	s_and_not1_b32 vcc_lo, exec_lo, s104
	s_mov_b32 s0, -1
	s_delay_alu instid0(VALU_DEP_1) | instskip(NEXT) | instid1(VALU_DEP_1)
	v_add_nc_u64_e32 v[0:1], s[100:101], v[0:1]
	v_lshl_add_u64 v[0:1], v[40:41], 3, v[0:1]
	s_delay_alu instid0(VALU_DEP_1)
	v_lshl_add_u64 v[0:1], s[48:49], 3, v[0:1]
	s_cbranch_vccnz .LBB185_14
; %bb.13:                               ;   in Loop: Header=BB185_4 Depth=1
	s_delay_alu instid0(VALU_DEP_1) | instskip(SKIP_1) | instid1(VALU_DEP_1)
	v_lshl_add_u64 v[2:3], s[50:51], 3, v[0:1]
	s_mov_b32 s0, 0
	v_add_nc_u64_e32 v[4:5], s[64:65], v[2:3]
	s_delay_alu instid0(VALU_DEP_1)
	v_add_nc_u64_e32 v[6:7], s[64:65], v[4:5]
	s_clause 0x3
	flat_load_b64 v[8:9], v[0:1]
	flat_load_b64 v[2:3], v[2:3]
	;; [unrolled: 1-line block ×4, first 2 shown]
	s_wait_loadcnt_dscnt 0x303
	ds_store_b64 v104, v[8:9]
	s_wait_loadcnt_dscnt 0x203
	ds_store_b64 v104, v[2:3] offset:2112
	s_wait_loadcnt_dscnt 0x103
	ds_store_b64 v104, v[4:5] offset:4224
	;; [unrolled: 2-line block ×3, first 2 shown]
.LBB185_14:                             ;   in Loop: Header=BB185_4 Depth=1
	s_and_not1_b32 vcc_lo, exec_lo, s0
	s_cbranch_vccnz .LBB185_24
; %bb.15:                               ;   in Loop: Header=BB185_4 Depth=1
	s_wait_xcnt 0x2
	v_lshl_add_u64 v[2:3], v[42:43], 3, v[0:1]
	s_wait_xcnt 0x0
	v_dual_mov_b32 v6, 0 :: v_dual_mov_b32 v4, 0
	v_mov_b32_e32 v5, 0
	s_delay_alu instid0(VALU_DEP_3) | instskip(NEXT) | instid1(VALU_DEP_1)
	v_lshl_add_u64 v[2:3], s[34:35], 3, v[2:3]
	v_add_nc_u64_e32 v[2:3], -8, v[2:3]
	s_delay_alu instid0(VALU_DEP_1)
	v_dual_cndmask_b32 v3, v3, v1, s4 :: v_dual_cndmask_b32 v2, v2, v0, s4
	s_and_saveexec_b32 s0, s5
	s_cbranch_execz .LBB185_17
; %bb.16:                               ;   in Loop: Header=BB185_4 Depth=1
	flat_load_b64 v[4:5], v[2:3]
.LBB185_17:                             ;   in Loop: Header=BB185_4 Depth=1
	s_wait_xcnt 0x0
	s_or_b32 exec_lo, exec_lo, s0
	v_mov_b32_e32 v7, 0
	s_wait_loadcnt_dscnt 0x0
	ds_store_b64 v104, v[4:5]
	s_and_saveexec_b32 s0, s6
	s_cbranch_execz .LBB185_19
; %bb.18:                               ;   in Loop: Header=BB185_4 Depth=1
	v_lshl_add_u64 v[4:5], s[50:51], 3, v[2:3]
	flat_load_b64 v[6:7], v[4:5]
.LBB185_19:                             ;   in Loop: Header=BB185_4 Depth=1
	s_wait_xcnt 0x0
	s_or_b32 exec_lo, exec_lo, s0
	v_dual_mov_b32 v4, 0 :: v_dual_mov_b32 v8, 0
	v_mov_b32_e32 v9, 0
	s_wait_loadcnt_dscnt 0x0
	ds_store_b64 v104, v[6:7] offset:2112
	s_and_saveexec_b32 s0, s7
	s_cbranch_execz .LBB185_21
; %bb.20:                               ;   in Loop: Header=BB185_4 Depth=1
	v_lshl_add_u64 v[6:7], s[52:53], 3, v[2:3]
	flat_load_b64 v[8:9], v[6:7]
.LBB185_21:                             ;   in Loop: Header=BB185_4 Depth=1
	s_wait_xcnt 0x0
	s_or_b32 exec_lo, exec_lo, s0
	v_mov_b32_e32 v5, 0
	s_wait_loadcnt_dscnt 0x0
	ds_store_b64 v104, v[8:9] offset:4224
	s_and_saveexec_b32 s0, s8
	s_cbranch_execz .LBB185_23
; %bb.22:                               ;   in Loop: Header=BB185_4 Depth=1
	v_lshl_add_u64 v[4:5], s[54:55], 3, v[2:3]
	flat_load_b64 v[4:5], v[4:5]
.LBB185_23:                             ;   in Loop: Header=BB185_4 Depth=1
	s_wait_xcnt 0x0
	s_or_b32 exec_lo, exec_lo, s0
	v_add_nc_u64_e32 v[2:3], v[2:3], v[34:35]
	s_wait_loadcnt_dscnt 0x0
	ds_store_b64 v104, v[4:5] offset:6336
	v_lshl_add_u64 v[2:3], s[66:67], 3, v[2:3]
	s_delay_alu instid0(VALU_DEP_1) | instskip(NEXT) | instid1(VALU_DEP_1)
	v_add_nc_u64_e32 v[2:3], 8, v[2:3]
	v_dual_cndmask_b32 v1, v3, v1, s4 :: v_dual_cndmask_b32 v0, v2, v0, s4
.LBB185_24:                             ;   in Loop: Header=BB185_4 Depth=1
	s_wait_dscnt 0x0
	s_barrier_signal -1
	s_barrier_wait -1
	s_wait_xcnt 0x0
	s_and_saveexec_b32 s0, s9
	s_cbranch_execnz .LBB185_75
; %bb.25:                               ;   in Loop: Header=BB185_4 Depth=1
	s_or_b32 exec_lo, exec_lo, s0
	s_and_saveexec_b32 s0, s10
	s_cbranch_execnz .LBB185_76
.LBB185_26:                             ;   in Loop: Header=BB185_4 Depth=1
	s_or_b32 exec_lo, exec_lo, s0
	s_and_saveexec_b32 s0, s11
	s_cbranch_execnz .LBB185_77
.LBB185_27:                             ;   in Loop: Header=BB185_4 Depth=1
	s_or_b32 exec_lo, exec_lo, s0
	s_and_saveexec_b32 s0, s12
	s_cbranch_execz .LBB185_29
.LBB185_28:                             ;   in Loop: Header=BB185_4 Depth=1
	ds_load_b64 v[2:3], v106 offset:528
	s_wait_dscnt 0x0
	ds_store_b64 v93, v[2:3] offset:24
.LBB185_29:                             ;   in Loop: Header=BB185_4 Depth=1
	s_or_b32 exec_lo, exec_lo, s0
	s_wait_dscnt 0x0
	s_barrier_signal -1
	s_barrier_wait -1
	ds_load_b64 v[14:15], v105
	ds_load_b128 v[2:5], v94
	ds_load_2addr_b64 v[6:9], v106 offset1:33
	ds_load_b128 v[10:13], v94 offset:16
	ds_load_b64 v[18:19], v106 offset:528
	v_mov_b64_e32 v[52:53], 0
	s_wait_dscnt 0x0
	s_barrier_signal -1
	s_barrier_wait -1
	v_pk_mul_f32 v[20:21], v[2:3], v[14:15] op_sel:[1,1] op_sel_hi:[0,1]
	v_dual_mov_b32 v22, v5 :: v_dual_mov_b32 v23, v4
	v_pk_mul_f32 v[24:25], v[10:11], v[8:9] op_sel:[1,1] op_sel_hi:[0,1]
	v_dual_mov_b32 v28, v13 :: v_dual_mov_b32 v29, v12
	s_delay_alu instid0(VALU_DEP_4) | instskip(NEXT) | instid1(VALU_DEP_4)
	v_pk_fma_f32 v[26:27], v[2:3], v[14:15], v[20:21] op_sel_hi:[1,0,1]
	v_pk_mul_f32 v[22:23], v[22:23], v[6:7] op_sel:[0,1]
	v_pk_fma_f32 v[2:3], v[2:3], v[14:15], v[20:21] neg_lo:[0,0,1] neg_hi:[0,0,1]
	v_pk_fma_f32 v[20:21], v[10:11], v[8:9], v[24:25] op_sel_hi:[1,0,1]
	s_delay_alu instid0(VALU_DEP_3)
	v_pk_fma_f32 v[14:15], v[4:5], v[6:7], v[22:23] op_sel_hi:[1,0,1]
	v_mov_b32_e32 v3, v27
	v_pk_fma_f32 v[4:5], v[4:5], v[6:7], v[22:23] neg_lo:[0,0,1] neg_hi:[0,0,1]
	v_pk_mul_f32 v[26:27], v[28:29], v[18:19] op_sel:[0,1]
	v_pk_fma_f32 v[6:7], v[10:11], v[8:9], v[24:25] neg_lo:[0,0,1] neg_hi:[0,0,1]
	v_mov_b32_e32 v5, v15
	v_pk_add_f32 v[2:3], v[2:3], 0 op_sel_hi:[1,0]
	s_delay_alu instid0(VALU_DEP_4) | instskip(SKIP_1) | instid1(VALU_DEP_3)
	v_pk_fma_f32 v[8:9], v[12:13], v[18:19], v[26:27] op_sel_hi:[1,0,1]
	v_mov_b32_e32 v7, v21
	v_pk_add_f32 v[2:3], v[2:3], v[4:5]
	v_pk_fma_f32 v[4:5], v[12:13], v[18:19], v[26:27] neg_lo:[0,0,1] neg_hi:[0,0,1]
	s_delay_alu instid0(VALU_DEP_4) | instskip(NEXT) | instid1(VALU_DEP_3)
	v_mov_b32_e32 v5, v9
	v_pk_add_f32 v[2:3], v[2:3], v[6:7]
	s_delay_alu instid0(VALU_DEP_1)
	v_pk_add_f32 v[2:3], v[2:3], v[4:5]
	ds_store_b64 v95, v[2:3]
	s_wait_dscnt 0x0
	s_barrier_signal -1
	s_barrier_wait -1
	s_and_saveexec_b32 s0, s13
	s_cbranch_execz .LBB185_31
; %bb.30:                               ;   in Loop: Header=BB185_4 Depth=1
	ds_load_2addr_b64 v[2:5], v92 offset1:7
	ds_load_2addr_b64 v[6:9], v92 offset0:1 offset1:2
	ds_load_2addr_b64 v[10:13], v92 offset0:3 offset1:4
	;; [unrolled: 1-line block ×3, first 2 shown]
	s_wait_dscnt 0x2
	v_dual_add_f32 v2, v6, v2 :: v_dual_add_f32 v3, v7, v3
	s_delay_alu instid0(VALU_DEP_1) | instskip(SKIP_1) | instid1(VALU_DEP_1)
	v_dual_add_f32 v2, v8, v2 :: v_dual_add_f32 v3, v9, v3
	s_wait_dscnt 0x1
	v_dual_add_f32 v2, v2, v10 :: v_dual_add_f32 v3, v3, v11
	s_delay_alu instid0(VALU_DEP_1) | instskip(SKIP_1) | instid1(VALU_DEP_1)
	v_dual_add_f32 v2, v2, v12 :: v_dual_add_f32 v3, v3, v13
	s_wait_dscnt 0x0
	v_dual_add_f32 v2, v2, v18 :: v_dual_add_f32 v3, v3, v19
	s_delay_alu instid0(VALU_DEP_1) | instskip(NEXT) | instid1(VALU_DEP_1)
	v_dual_add_f32 v2, v2, v20 :: v_dual_add_f32 v3, v3, v21
	v_pk_add_f32 v[52:53], v[2:3], v[4:5]
.LBB185_31:                             ;   in Loop: Header=BB185_4 Depth=1
	s_or_b32 exec_lo, exec_lo, s0
	v_lshl_add_u64 v[2:3], s[56:57], 3, v[0:1]
	s_and_not1_b32 vcc_lo, exec_lo, s104
	s_mov_b32 s0, -1
	s_barrier_signal -1
	s_barrier_wait -1
	s_cbranch_vccnz .LBB185_33
; %bb.32:                               ;   in Loop: Header=BB185_4 Depth=1
	v_lshl_add_u64 v[0:1], s[50:51], 3, v[2:3]
	s_mov_b32 s0, 0
	s_delay_alu instid0(VALU_DEP_1) | instskip(NEXT) | instid1(VALU_DEP_1)
	v_add_nc_u64_e32 v[4:5], s[64:65], v[0:1]
	v_add_nc_u64_e32 v[6:7], s[64:65], v[4:5]
	s_clause 0x3
	flat_load_b64 v[8:9], v[2:3] offset:256
	flat_load_b64 v[0:1], v[0:1] offset:256
	flat_load_b64 v[4:5], v[4:5] offset:256
	flat_load_b64 v[6:7], v[6:7] offset:256
	s_wait_loadcnt_dscnt 0x303
	ds_store_b64 v104, v[8:9]
	s_wait_loadcnt_dscnt 0x203
	ds_store_b64 v104, v[0:1] offset:2112
	s_wait_loadcnt_dscnt 0x103
	ds_store_b64 v104, v[4:5] offset:4224
	;; [unrolled: 2-line block ×3, first 2 shown]
.LBB185_33:                             ;   in Loop: Header=BB185_4 Depth=1
	s_wait_xcnt 0x2
	v_add_nc_u64_e32 v[0:1], 0x100, v[2:3]
	s_and_not1_b32 vcc_lo, exec_lo, s0
	s_cbranch_vccnz .LBB185_43
; %bb.34:                               ;   in Loop: Header=BB185_4 Depth=1
	v_lshl_add_u64 v[2:3], v[42:43], 3, v[2:3]
	s_wait_xcnt 0x0
	v_dual_mov_b32 v6, 0 :: v_dual_mov_b32 v4, 0
	v_mov_b32_e32 v5, 0
	s_delay_alu instid0(VALU_DEP_3) | instskip(NEXT) | instid1(VALU_DEP_1)
	v_lshl_add_u64 v[2:3], s[34:35], 3, v[2:3]
	v_add_nc_u64_e32 v[2:3], -8, v[2:3]
	s_delay_alu instid0(VALU_DEP_1) | instskip(SKIP_3) | instid1(SALU_CYCLE_1)
	v_dual_cndmask_b32 v3, v3, v1, s14 :: v_dual_cndmask_b32 v2, v2, v0, s14
	s_mov_b32 s0, exec_lo
	v_readlane_b32 s1, v136, 0
	s_and_b32 s1, s0, s1
	s_mov_b32 exec_lo, s1
	s_cbranch_execz .LBB185_36
; %bb.35:                               ;   in Loop: Header=BB185_4 Depth=1
	flat_load_b64 v[4:5], v[2:3]
.LBB185_36:                             ;   in Loop: Header=BB185_4 Depth=1
	s_wait_xcnt 0x0
	s_or_b32 exec_lo, exec_lo, s0
	v_mov_b32_e32 v7, 0
	s_wait_loadcnt_dscnt 0x0
	ds_store_b64 v104, v[4:5]
	s_mov_b32 s0, exec_lo
	v_readlane_b32 s1, v136, 1
	s_and_b32 s1, s0, s1
	s_delay_alu instid0(SALU_CYCLE_1)
	s_mov_b32 exec_lo, s1
	s_cbranch_execz .LBB185_38
; %bb.37:                               ;   in Loop: Header=BB185_4 Depth=1
	v_lshl_add_u64 v[4:5], s[50:51], 3, v[2:3]
	flat_load_b64 v[6:7], v[4:5]
.LBB185_38:                             ;   in Loop: Header=BB185_4 Depth=1
	s_wait_xcnt 0x0
	s_or_b32 exec_lo, exec_lo, s0
	v_dual_mov_b32 v4, 0 :: v_dual_mov_b32 v8, 0
	v_mov_b32_e32 v9, 0
	s_wait_loadcnt_dscnt 0x0
	ds_store_b64 v104, v[6:7] offset:2112
	s_mov_b32 s0, exec_lo
	v_readlane_b32 s1, v136, 2
	s_and_b32 s1, s0, s1
	s_delay_alu instid0(SALU_CYCLE_1)
	s_mov_b32 exec_lo, s1
	s_cbranch_execz .LBB185_40
; %bb.39:                               ;   in Loop: Header=BB185_4 Depth=1
	v_lshl_add_u64 v[6:7], s[52:53], 3, v[2:3]
	flat_load_b64 v[8:9], v[6:7]
.LBB185_40:                             ;   in Loop: Header=BB185_4 Depth=1
	s_wait_xcnt 0x0
	s_or_b32 exec_lo, exec_lo, s0
	v_mov_b32_e32 v5, 0
	s_wait_loadcnt_dscnt 0x0
	ds_store_b64 v104, v[8:9] offset:4224
	s_mov_b32 s0, exec_lo
	v_readlane_b32 s1, v136, 3
	s_and_b32 s1, s0, s1
	s_delay_alu instid0(SALU_CYCLE_1)
	s_mov_b32 exec_lo, s1
	s_cbranch_execz .LBB185_42
; %bb.41:                               ;   in Loop: Header=BB185_4 Depth=1
	v_lshl_add_u64 v[4:5], s[54:55], 3, v[2:3]
	flat_load_b64 v[4:5], v[4:5]
.LBB185_42:                             ;   in Loop: Header=BB185_4 Depth=1
	s_wait_xcnt 0x0
	s_or_b32 exec_lo, exec_lo, s0
	v_add_nc_u64_e32 v[2:3], v[2:3], v[34:35]
	s_wait_loadcnt_dscnt 0x0
	ds_store_b64 v104, v[4:5] offset:6336
	v_lshl_add_u64 v[2:3], s[66:67], 3, v[2:3]
	s_delay_alu instid0(VALU_DEP_1) | instskip(NEXT) | instid1(VALU_DEP_1)
	v_add_nc_u64_e32 v[2:3], 0x108, v[2:3]
	v_dual_cndmask_b32 v1, v3, v1, s14 :: v_dual_cndmask_b32 v0, v2, v0, s14
.LBB185_43:                             ;   in Loop: Header=BB185_4 Depth=1
	s_wait_dscnt 0x0
	s_barrier_signal -1
	s_barrier_wait -1
	s_wait_xcnt 0x0
	s_and_saveexec_b32 s0, s9
	s_cbranch_execnz .LBB185_78
; %bb.44:                               ;   in Loop: Header=BB185_4 Depth=1
	s_or_b32 exec_lo, exec_lo, s0
	s_and_saveexec_b32 s0, s10
	s_cbranch_execnz .LBB185_79
.LBB185_45:                             ;   in Loop: Header=BB185_4 Depth=1
	s_or_b32 exec_lo, exec_lo, s0
	s_and_saveexec_b32 s0, s11
	s_cbranch_execnz .LBB185_80
.LBB185_46:                             ;   in Loop: Header=BB185_4 Depth=1
	s_or_b32 exec_lo, exec_lo, s0
	s_and_saveexec_b32 s0, s12
	s_cbranch_execz .LBB185_48
.LBB185_47:                             ;   in Loop: Header=BB185_4 Depth=1
	ds_load_b64 v[2:3], v106 offset:528
	s_wait_dscnt 0x0
	ds_store_b64 v93, v[2:3] offset:24
.LBB185_48:                             ;   in Loop: Header=BB185_4 Depth=1
	s_or_b32 exec_lo, exec_lo, s0
	s_wait_dscnt 0x0
	s_barrier_signal -1
	s_barrier_wait -1
	ds_load_b64 v[14:15], v105
	ds_load_b128 v[2:5], v94 offset:256
	ds_load_2addr_b64 v[6:9], v106 offset1:33
	ds_load_b128 v[10:13], v94 offset:272
	ds_load_b64 v[18:19], v106 offset:528
	s_wait_dscnt 0x0
	s_barrier_signal -1
	s_barrier_wait -1
	v_pk_mul_f32 v[20:21], v[2:3], v[14:15] op_sel:[1,1] op_sel_hi:[0,1]
	v_dual_mov_b32 v22, v5 :: v_dual_mov_b32 v23, v4
	v_pk_mul_f32 v[24:25], v[10:11], v[8:9] op_sel:[1,1] op_sel_hi:[0,1]
	v_dual_mov_b32 v28, v13 :: v_dual_mov_b32 v29, v12
	s_delay_alu instid0(VALU_DEP_4) | instskip(NEXT) | instid1(VALU_DEP_4)
	v_pk_fma_f32 v[26:27], v[2:3], v[14:15], v[20:21] op_sel_hi:[1,0,1]
	v_pk_mul_f32 v[22:23], v[22:23], v[6:7] op_sel:[0,1]
	v_pk_fma_f32 v[2:3], v[2:3], v[14:15], v[20:21] neg_lo:[0,0,1] neg_hi:[0,0,1]
	v_pk_fma_f32 v[20:21], v[10:11], v[8:9], v[24:25] op_sel_hi:[1,0,1]
	s_delay_alu instid0(VALU_DEP_3)
	v_pk_fma_f32 v[14:15], v[4:5], v[6:7], v[22:23] op_sel_hi:[1,0,1]
	v_mov_b32_e32 v3, v27
	v_pk_fma_f32 v[4:5], v[4:5], v[6:7], v[22:23] neg_lo:[0,0,1] neg_hi:[0,0,1]
	v_pk_mul_f32 v[26:27], v[28:29], v[18:19] op_sel:[0,1]
	v_pk_fma_f32 v[6:7], v[10:11], v[8:9], v[24:25] neg_lo:[0,0,1] neg_hi:[0,0,1]
	v_mov_b32_e32 v5, v15
	v_pk_add_f32 v[2:3], v[2:3], 0 op_sel_hi:[1,0]
	s_delay_alu instid0(VALU_DEP_4) | instskip(SKIP_1) | instid1(VALU_DEP_3)
	v_pk_fma_f32 v[8:9], v[12:13], v[18:19], v[26:27] op_sel_hi:[1,0,1]
	v_mov_b32_e32 v7, v21
	v_pk_add_f32 v[2:3], v[2:3], v[4:5]
	v_pk_fma_f32 v[4:5], v[12:13], v[18:19], v[26:27] neg_lo:[0,0,1] neg_hi:[0,0,1]
	s_delay_alu instid0(VALU_DEP_4) | instskip(NEXT) | instid1(VALU_DEP_3)
	v_mov_b32_e32 v5, v9
	v_pk_add_f32 v[2:3], v[2:3], v[6:7]
	s_delay_alu instid0(VALU_DEP_1)
	v_pk_add_f32 v[2:3], v[2:3], v[4:5]
	ds_store_b64 v95, v[2:3]
	s_wait_dscnt 0x0
	s_barrier_signal -1
	s_barrier_wait -1
	s_and_saveexec_b32 s0, s19
	s_cbranch_execz .LBB185_50
; %bb.49:                               ;   in Loop: Header=BB185_4 Depth=1
	ds_load_2addr_b64 v[2:5], v92 offset1:7
	ds_load_2addr_b64 v[6:9], v92 offset0:1 offset1:2
	ds_load_2addr_b64 v[10:13], v92 offset0:3 offset1:4
	;; [unrolled: 1-line block ×3, first 2 shown]
	s_wait_dscnt 0x2
	v_dual_add_f32 v2, v6, v2 :: v_dual_add_f32 v3, v7, v3
	s_delay_alu instid0(VALU_DEP_1) | instskip(SKIP_1) | instid1(VALU_DEP_1)
	v_dual_add_f32 v2, v8, v2 :: v_dual_add_f32 v3, v9, v3
	s_wait_dscnt 0x1
	v_dual_add_f32 v2, v2, v10 :: v_dual_add_f32 v3, v3, v11
	s_delay_alu instid0(VALU_DEP_1) | instskip(SKIP_1) | instid1(VALU_DEP_1)
	v_dual_add_f32 v2, v2, v12 :: v_dual_add_f32 v3, v3, v13
	s_wait_dscnt 0x0
	v_dual_add_f32 v2, v2, v18 :: v_dual_add_f32 v3, v3, v19
	s_delay_alu instid0(VALU_DEP_1) | instskip(NEXT) | instid1(VALU_DEP_1)
	v_pk_add_f32 v[2:3], v[2:3], v[20:21]
	v_pk_add_f32 v[52:53], v[2:3], v[4:5]
.LBB185_50:                             ;   in Loop: Header=BB185_4 Depth=1
	s_or_b32 exec_lo, exec_lo, s0
	v_lshl_add_u64 v[18:19], s[58:59], 3, v[0:1]
	s_and_not1_b32 vcc_lo, exec_lo, s104
	s_mov_b32 s0, -1
	s_barrier_signal -1
	s_barrier_wait -1
	s_cbranch_vccnz .LBB185_52
; %bb.51:                               ;   in Loop: Header=BB185_4 Depth=1
	v_lshl_add_u64 v[0:1], s[50:51], 3, v[18:19]
	s_mov_b32 s0, 0
	s_delay_alu instid0(VALU_DEP_1) | instskip(NEXT) | instid1(VALU_DEP_1)
	v_add_nc_u64_e32 v[2:3], s[64:65], v[0:1]
	v_add_nc_u64_e32 v[4:5], s[64:65], v[2:3]
	s_clause 0x3
	flat_load_b64 v[6:7], v[18:19]
	flat_load_b64 v[0:1], v[0:1]
	;; [unrolled: 1-line block ×4, first 2 shown]
	s_wait_loadcnt_dscnt 0x303
	ds_store_b64 v104, v[6:7]
	s_wait_loadcnt_dscnt 0x203
	ds_store_b64 v104, v[0:1] offset:2112
	s_wait_loadcnt_dscnt 0x103
	ds_store_b64 v104, v[2:3] offset:4224
	;; [unrolled: 2-line block ×3, first 2 shown]
.LBB185_52:                             ;   in Loop: Header=BB185_4 Depth=1
	s_and_not1_b32 vcc_lo, exec_lo, s0
	s_cbranch_vccnz .LBB185_62
; %bb.53:                               ;   in Loop: Header=BB185_4 Depth=1
	s_wait_xcnt 0x2
	v_lshl_add_u64 v[0:1], v[42:43], 3, v[18:19]
	s_mov_b64 s[0:1], 0xfffffffffffffef8
	s_wait_xcnt 0x0
	v_dual_mov_b32 v4, 0 :: v_dual_mov_b32 v2, 0
	v_mov_b32_e32 v3, 0
	v_lshl_add_u64 v[0:1], s[34:35], 3, v[0:1]
	s_delay_alu instid0(VALU_DEP_1) | instskip(NEXT) | instid1(VALU_DEP_1)
	v_add_nc_u64_e32 v[0:1], s[0:1], v[0:1]
	v_dual_cndmask_b32 v1, v1, v19, s14 :: v_dual_cndmask_b32 v0, v0, v18, s14
	s_and_saveexec_b32 s0, s5
	s_cbranch_execz .LBB185_55
; %bb.54:                               ;   in Loop: Header=BB185_4 Depth=1
	flat_load_b64 v[2:3], v[0:1]
.LBB185_55:                             ;   in Loop: Header=BB185_4 Depth=1
	s_wait_xcnt 0x0
	s_or_b32 exec_lo, exec_lo, s0
	v_mov_b32_e32 v5, 0
	s_wait_loadcnt_dscnt 0x0
	ds_store_b64 v104, v[2:3]
	s_and_saveexec_b32 s0, s6
	s_cbranch_execz .LBB185_57
; %bb.56:                               ;   in Loop: Header=BB185_4 Depth=1
	v_lshl_add_u64 v[2:3], s[50:51], 3, v[0:1]
	flat_load_b64 v[4:5], v[2:3]
.LBB185_57:                             ;   in Loop: Header=BB185_4 Depth=1
	s_wait_xcnt 0x0
	s_or_b32 exec_lo, exec_lo, s0
	v_dual_mov_b32 v2, 0 :: v_dual_mov_b32 v6, 0
	v_mov_b32_e32 v7, 0
	s_wait_loadcnt_dscnt 0x0
	ds_store_b64 v104, v[4:5] offset:2112
	s_and_saveexec_b32 s0, s7
	s_cbranch_execz .LBB185_59
; %bb.58:                               ;   in Loop: Header=BB185_4 Depth=1
	v_lshl_add_u64 v[4:5], s[52:53], 3, v[0:1]
	flat_load_b64 v[6:7], v[4:5]
.LBB185_59:                             ;   in Loop: Header=BB185_4 Depth=1
	s_wait_xcnt 0x0
	s_or_b32 exec_lo, exec_lo, s0
	v_mov_b32_e32 v3, 0
	s_wait_loadcnt_dscnt 0x0
	ds_store_b64 v104, v[6:7] offset:4224
	s_and_saveexec_b32 s0, s8
	s_cbranch_execz .LBB185_61
; %bb.60:                               ;   in Loop: Header=BB185_4 Depth=1
	v_lshl_add_u64 v[2:3], s[54:55], 3, v[0:1]
	flat_load_b64 v[2:3], v[2:3]
.LBB185_61:                             ;   in Loop: Header=BB185_4 Depth=1
	s_wait_xcnt 0x0
	s_or_b32 exec_lo, exec_lo, s0
	v_add_nc_u64_e32 v[0:1], v[0:1], v[34:35]
	s_wait_loadcnt_dscnt 0x0
	ds_store_b64 v104, v[2:3] offset:6336
	v_lshl_add_u64 v[0:1], s[66:67], 3, v[0:1]
	s_delay_alu instid0(VALU_DEP_1) | instskip(NEXT) | instid1(VALU_DEP_1)
	v_add_nc_u64_e32 v[0:1], 0x108, v[0:1]
	v_dual_cndmask_b32 v19, v1, v19, s14 :: v_dual_cndmask_b32 v18, v0, v18, s14
.LBB185_62:                             ;   in Loop: Header=BB185_4 Depth=1
	s_wait_dscnt 0x0
	s_barrier_signal -1
	s_barrier_wait -1
	ds_load_b64 v[8:9], v104
	ds_load_b64 v[10:11], v107
	ds_load_2addr_b64 v[20:23], v103 offset0:8 offset1:16
	ds_load_b64 v[12:13], v104 offset:2112
	ds_load_b64 v[24:25], v104 offset:4224
	;; [unrolled: 1-line block ×4, first 2 shown]
	s_wait_xcnt 0x0
	ds_load_2addr_b64 v[4:7], v96 offset1:1
	ds_load_2addr_b64 v[0:3], v96 offset0:2 offset1:3
	s_wait_dscnt 0x7
	v_pk_mul_f32 v[14:15], v[10:11], v[8:9] op_sel:[1,1] op_sel_hi:[0,1]
	s_wait_dscnt 0x5
	v_pk_mul_f32 v[30:31], v[20:21], v[12:13] op_sel:[1,1] op_sel_hi:[0,1]
	;; [unrolled: 2-line block ×3, first 2 shown]
	v_pk_fma_f32 v[54:55], v[10:11], v[8:9], v[14:15] op_sel_hi:[1,0,1]
	v_pk_fma_f32 v[8:9], v[10:11], v[8:9], v[14:15] neg_lo:[0,0,1] neg_hi:[0,0,1]
	v_pk_fma_f32 v[10:11], v[20:21], v[12:13], v[30:31] op_sel_hi:[1,0,1]
	v_pk_fma_f32 v[20:21], v[20:21], v[12:13], v[30:31] neg_lo:[0,0,1] neg_hi:[0,0,1]
	v_pk_fma_f32 v[30:31], v[22:23], v[24:25], v[56:57] op_sel_hi:[1,0,1]
	v_mov_b32_e32 v9, v55
	s_wait_dscnt 0x2
	v_pk_mul_f32 v[54:55], v[28:29], v[26:27] op_sel:[1,1] op_sel_hi:[0,1]
	v_mov_b32_e32 v21, v11
	v_pk_fma_f32 v[22:23], v[22:23], v[24:25], v[56:57] neg_lo:[0,0,1] neg_hi:[0,0,1]
	v_pk_add_f32 v[58:59], v[8:9], 0 op_sel_hi:[1,0]
	ds_load_b128 v[12:15], v94 offset:256
	ds_load_b128 v[8:11], v94 offset:272
	v_pk_fma_f32 v[24:25], v[28:29], v[26:27], v[54:55] op_sel_hi:[1,0,1]
	v_mov_b32_e32 v23, v31
	v_pk_fma_f32 v[26:27], v[28:29], v[26:27], v[54:55] neg_lo:[0,0,1] neg_hi:[0,0,1]
	v_pk_add_f32 v[20:21], v[58:59], v[20:21]
	s_wait_dscnt 0x0
	v_mov_b32_e32 v27, v25
	s_barrier_signal -1
	s_barrier_wait -1
	v_pk_add_f32 v[20:21], v[20:21], v[22:23]
	s_delay_alu instid0(VALU_DEP_1)
	v_pk_add_f32 v[20:21], v[20:21], v[26:27]
	ds_store_b64 v95, v[20:21]
	s_wait_dscnt 0x0
	s_barrier_signal -1
	s_barrier_wait -1
	s_and_saveexec_b32 s0, s19
	s_cbranch_execz .LBB185_64
; %bb.63:                               ;   in Loop: Header=BB185_4 Depth=1
	ds_load_2addr_b64 v[20:23], v92 offset1:1
	ds_load_2addr_b64 v[24:27], v92 offset0:2 offset1:3
	ds_load_2addr_b64 v[28:31], v92 offset0:4 offset1:5
	s_wait_dscnt 0x2
	v_pk_add_f32 v[20:21], v[52:53], v[20:21]
	s_delay_alu instid0(VALU_DEP_1) | instskip(SKIP_1) | instid1(VALU_DEP_1)
	v_pk_add_f32 v[20:21], v[20:21], v[22:23]
	s_wait_dscnt 0x1
	v_pk_add_f32 v[24:25], v[20:21], v[24:25]
	ds_load_2addr_b64 v[20:23], v92 offset0:6 offset1:7
	v_pk_add_f32 v[24:25], v[24:25], v[26:27]
	s_wait_dscnt 0x1
	s_delay_alu instid0(VALU_DEP_1) | instskip(NEXT) | instid1(VALU_DEP_1)
	v_pk_add_f32 v[24:25], v[24:25], v[28:29]
	v_pk_add_f32 v[24:25], v[24:25], v[30:31]
	s_wait_dscnt 0x0
	s_delay_alu instid0(VALU_DEP_1) | instskip(NEXT) | instid1(VALU_DEP_1)
	v_pk_add_f32 v[20:21], v[24:25], v[20:21]
	v_pk_add_f32 v[52:53], v[20:21], v[22:23]
.LBB185_64:                             ;   in Loop: Header=BB185_4 Depth=1
	s_or_b32 exec_lo, exec_lo, s0
	v_pk_mul_f32 v[20:21], v[12:13], v[4:5] op_sel:[1,1] op_sel_hi:[0,1]
	v_dual_mov_b32 v22, v15 :: v_dual_mov_b32 v23, v14
	v_dual_mov_b32 v24, v7 :: v_dual_mov_b32 v30, v11
	s_delay_alu instid0(VALU_DEP_3) | instskip(SKIP_2) | instid1(VALU_DEP_4)
	v_pk_fma_f32 v[28:29], v[12:13], v[4:5], v[20:21] op_sel_hi:[1,0,1]
	v_pk_fma_f32 v[4:5], v[12:13], v[4:5], v[20:21] neg_lo:[0,0,1] neg_hi:[0,0,1]
	v_pk_mul_f32 v[26:27], v[8:9], v[0:1] op_sel:[1,1] op_sel_hi:[0,1]
	v_pk_mul_f32 v[22:23], v[22:23], v[24:25] op_sel_hi:[1,0]
	s_delay_alu instid0(VALU_DEP_4) | instskip(NEXT) | instid1(VALU_DEP_3)
	v_dual_mov_b32 v31, v10 :: v_dual_mov_b32 v5, v29
	v_pk_fma_f32 v[24:25], v[8:9], v[0:1], v[26:27] op_sel_hi:[1,0,1]
	s_delay_alu instid0(VALU_DEP_3)
	v_pk_fma_f32 v[20:21], v[14:15], v[6:7], v[22:23] op_sel_hi:[1,0,1]
	v_mov_b32_e32 v12, v3
	v_pk_fma_f32 v[6:7], v[14:15], v[6:7], v[22:23] neg_lo:[0,0,1] neg_hi:[0,0,1]
	v_pk_add_f32 v[4:5], v[4:5], 0 op_sel_hi:[1,0]
	v_pk_fma_f32 v[0:1], v[8:9], v[0:1], v[26:27] neg_lo:[0,0,1] neg_hi:[0,0,1]
	v_mov_b32_e32 v7, v21
	v_pk_mul_f32 v[12:13], v[30:31], v[12:13] op_sel_hi:[1,0]
	s_barrier_signal -1
	s_barrier_wait -1
	s_delay_alu instid0(VALU_DEP_2) | instskip(NEXT) | instid1(VALU_DEP_2)
	v_pk_add_f32 v[4:5], v[4:5], v[6:7]
	v_pk_fma_f32 v[8:9], v[10:11], v[2:3], v[12:13] op_sel_hi:[1,0,1]
	v_mov_b32_e32 v1, v25
	v_pk_fma_f32 v[2:3], v[10:11], v[2:3], v[12:13] neg_lo:[0,0,1] neg_hi:[0,0,1]
	s_delay_alu instid0(VALU_DEP_3) | instskip(NEXT) | instid1(VALU_DEP_3)
	v_mov_b32_e32 v3, v9
	v_pk_add_f32 v[0:1], v[4:5], v[0:1]
	s_delay_alu instid0(VALU_DEP_1)
	v_pk_add_f32 v[0:1], v[0:1], v[2:3]
	ds_store_b64 v95, v[0:1]
	s_wait_dscnt 0x0
	s_barrier_signal -1
	s_barrier_wait -1
	s_and_saveexec_b32 s0, s13
	s_cbranch_execz .LBB185_66
; %bb.65:                               ;   in Loop: Header=BB185_4 Depth=1
	ds_load_2addr_b64 v[0:3], v92 offset1:1
	ds_load_2addr_b64 v[4:7], v92 offset0:2 offset1:3
	ds_load_2addr_b64 v[8:11], v92 offset0:4 offset1:5
	s_wait_dscnt 0x2
	v_pk_add_f32 v[0:1], v[52:53], v[0:1]
	s_delay_alu instid0(VALU_DEP_1) | instskip(SKIP_1) | instid1(VALU_DEP_1)
	v_pk_add_f32 v[0:1], v[0:1], v[2:3]
	s_wait_dscnt 0x1
	v_pk_add_f32 v[4:5], v[0:1], v[4:5]
	ds_load_2addr_b64 v[0:3], v92 offset0:6 offset1:7
	v_pk_add_f32 v[4:5], v[4:5], v[6:7]
	s_wait_dscnt 0x1
	s_delay_alu instid0(VALU_DEP_1) | instskip(NEXT) | instid1(VALU_DEP_1)
	v_pk_add_f32 v[4:5], v[4:5], v[8:9]
	v_pk_add_f32 v[4:5], v[4:5], v[10:11]
	s_wait_dscnt 0x0
	s_delay_alu instid0(VALU_DEP_1) | instskip(NEXT) | instid1(VALU_DEP_1)
	v_pk_add_f32 v[0:1], v[4:5], v[0:1]
	v_pk_add_f32 v[52:53], v[0:1], v[2:3]
.LBB185_66:                             ;   in Loop: Header=BB185_4 Depth=1
	s_or_b32 exec_lo, exec_lo, s0
	s_mul_u64 s[0:1], s[44:45], s[22:23]
	s_and_not1_b32 vcc_lo, exec_lo, s15
	s_lshl_b64 s[0:1], s[0:1], 3
	s_delay_alu instid0(SALU_CYCLE_1)
	s_add_nc_u64 s[0:1], s[46:47], s[0:1]
	s_barrier_signal -1
	s_barrier_wait -1
	s_cbranch_vccnz .LBB185_73
; %bb.67:                               ;   in Loop: Header=BB185_4 Depth=1
	v_lshl_add_u64 v[0:1], s[62:63], 3, v[18:19]
	s_mov_b64 s[102:103], 0xffffffffffffff00
	v_lshl_add_u64 v[54:55], s[60:61], 3, v[16:17]
	v_mov_b32_e32 v109, v32
	s_mov_b32 vcc_lo, 0
	v_lshl_add_u64 v[0:1], v[46:47], 3, v[0:1]
	s_mov_b32 s33, s18
	s_delay_alu instid0(VALU_DEP_1) | instskip(NEXT) | instid1(VALU_DEP_1)
	v_lshl_add_u64 v[0:1], v[44:45], 3, v[0:1]
	v_lshl_add_u64 v[2:3], v[48:49], 3, v[0:1]
	v_add_nc_u64_e32 v[0:1], s[102:103], v[0:1]
	s_mov_b64 s[102:103], 0xfffffffffffffef8
	s_delay_alu instid0(VALU_DEP_2) | instskip(NEXT) | instid1(VALU_DEP_1)
	v_lshl_add_u64 v[2:3], s[34:35], 3, v[2:3]
	v_add_nc_u64_e32 v[2:3], s[102:103], v[2:3]
	s_delay_alu instid0(VALU_DEP_1)
	v_dual_cndmask_b32 v57, v1, v3, s3 :: v_dual_cndmask_b32 v56, v0, v2, s3
	s_branch .LBB185_69
.LBB185_68:                             ;   in Loop: Header=BB185_69 Depth=2
	s_wait_xcnt 0x0
	s_or_b32 exec_lo, exec_lo, vcc_hi
	v_dual_mul_f32 v110, v5, v63 :: v_dual_mul_f32 v5, v5, v62
	v_dual_mul_f32 v111, v7, v65 :: v_dual_mul_f32 v7, v7, v64
	s_delay_alu instid0(VALU_DEP_2) | instskip(NEXT) | instid1(VALU_DEP_3)
	v_dual_mul_f32 v112, v1, v61 :: v_dual_fma_f32 v62, v4, v62, -v110
	v_dual_mul_f32 v1, v1, v60 :: v_dual_fmac_f32 v5, v4, v63
	s_delay_alu instid0(VALU_DEP_3) | instskip(NEXT) | instid1(VALU_DEP_3)
	v_dual_mul_f32 v4, v3, v59 :: v_dual_fma_f32 v63, v6, v64, -v111
	v_dual_add_f32 v52, v52, v62 :: v_dual_fmac_f32 v7, v6, v65
	s_delay_alu instid0(VALU_DEP_3) | instskip(NEXT) | instid1(VALU_DEP_4)
	v_dual_add_f32 v5, v53, v5 :: v_dual_mul_f32 v3, v3, v58
	v_dual_fma_f32 v6, v0, v60, -v112 :: v_dual_fmac_f32 v1, v0, v61
	s_delay_alu instid0(VALU_DEP_3) | instskip(NEXT) | instid1(VALU_DEP_3)
	v_dual_add_f32 v52, v52, v63 :: v_dual_fma_f32 v4, v2, v58, -v4
	v_add_f32_e32 v0, v5, v7
	s_delay_alu instid0(VALU_DEP_4) | instskip(NEXT) | instid1(VALU_DEP_3)
	v_dual_fmac_f32 v3, v2, v59 :: v_dual_mul_f32 v2, v13, v74
	v_dual_add_f32 v6, v52, v6 :: v_dual_mul_f32 v5, v13, v75
	s_delay_alu instid0(VALU_DEP_3) | instskip(NEXT) | instid1(VALU_DEP_2)
	v_dual_add_f32 v0, v0, v1 :: v_dual_mul_f32 v1, v15, v71
	v_dual_fmac_f32 v2, v12, v75 :: v_dual_add_f32 v4, v6, v4
	s_delay_alu instid0(VALU_DEP_3) | instskip(NEXT) | instid1(VALU_DEP_3)
	v_fma_f32 v5, v12, v74, -v5
	v_dual_add_f32 v0, v0, v3 :: v_dual_fma_f32 v1, v14, v70, -v1
	v_dual_mul_f32 v6, v15, v70 :: v_dual_mov_b32 v13, v30
	s_delay_alu instid0(VALU_DEP_3) | instskip(NEXT) | instid1(VALU_DEP_3)
	v_add_f32_e32 v3, v4, v5
	v_dual_mul_f32 v4, v9, v69 :: v_dual_add_f32 v7, v0, v2
	s_delay_alu instid0(VALU_DEP_3) | instskip(NEXT) | instid1(VALU_DEP_3)
	v_dual_fmac_f32 v6, v14, v71 :: v_dual_mul_f32 v5, v11, v66
	v_dual_add_f32 v0, v3, v1 :: v_dual_mul_f32 v3, v9, v68
	s_delay_alu instid0(VALU_DEP_3) | instskip(NEXT) | instid1(VALU_DEP_3)
	v_dual_fma_f32 v2, v8, v68, -v4 :: v_dual_mul_f32 v4, v11, v67
	v_dual_add_f32 v1, v7, v6 :: v_dual_mov_b32 v6, v81
	s_delay_alu instid0(VALU_DEP_3) | instskip(NEXT) | instid1(VALU_DEP_3)
	v_dual_fmac_f32 v3, v8, v69 :: v_dual_fmac_f32 v5, v10, v67
	v_dual_fma_f32 v4, v10, v66, -v4 :: v_dual_mov_b32 v8, v79
	v_add_nc_u64_e32 v[56:57], s[72:73], v[56:57]
	s_delay_alu instid0(VALU_DEP_3) | instskip(SKIP_3) | instid1(VALU_DEP_4)
	v_pk_add_f32 v[0:1], v[0:1], v[2:3]
	v_pk_mul_f32 v[2:3], v[20:21], v[6:7] op_sel:[1,0] op_sel_hi:[0,0]
	v_dual_mov_b32 v6, v23 :: v_dual_mov_b32 v7, v22
	v_add_nc_u32_e32 v109, 64, v109
	v_pk_add_f32 v[0:1], v[0:1], v[4:5]
	s_delay_alu instid0(VALU_DEP_4)
	v_pk_fma_f32 v[10:11], v[20:21], v[80:81], v[2:3] op_sel_hi:[1,0,1]
	v_pk_fma_f32 v[2:3], v[20:21], v[80:81], v[2:3] neg_lo:[0,0,1] neg_hi:[0,0,1]
	v_pk_mul_f32 v[4:5], v[6:7], v[8:9] op_sel_hi:[1,0]
	v_mov_b32_e32 v6, v77
	s_add_co_i32 s33, s33, -1
	v_mov_b32_e32 v3, v11
	s_add_co_i32 vcc_lo, vcc_lo, s16
	v_pk_fma_f32 v[8:9], v[22:23], v[78:79], v[4:5] op_sel_hi:[1,0,1]
	v_pk_mul_f32 v[6:7], v[16:17], v[6:7] op_sel:[1,0] op_sel_hi:[0,0]
	v_mov_b32_e32 v8, v19
	v_pk_add_f32 v[0:1], v[0:1], v[2:3]
	v_pk_fma_f32 v[2:3], v[22:23], v[78:79], v[4:5] neg_lo:[0,0,1] neg_hi:[0,0,1]
	v_mov_b32_e32 v3, v9
	v_pk_fma_f32 v[4:5], v[16:17], v[76:77], v[6:7] op_sel_hi:[1,0,1]
	v_dual_mov_b32 v9, v18 :: v_dual_mov_b32 v4, v73
	s_cmp_eq_u32 s33, 0
	s_delay_alu instid0(VALU_DEP_3)
	v_pk_add_f32 v[0:1], v[0:1], v[2:3]
	v_pk_fma_f32 v[2:3], v[16:17], v[76:77], v[6:7] neg_lo:[0,0,1] neg_hi:[0,0,1]
	v_mov_b32_e32 v3, v5
	v_pk_mul_f32 v[4:5], v[8:9], v[4:5] op_sel_hi:[1,0]
	v_dual_mov_b32 v6, v27 :: v_dual_mov_b32 v7, v26
	v_mov_b32_e32 v12, v31
	s_delay_alu instid0(VALU_DEP_4) | instskip(NEXT) | instid1(VALU_DEP_4)
	v_pk_add_f32 v[0:1], v[0:1], v[2:3]
	v_pk_fma_f32 v[2:3], v[18:19], v[72:73], v[4:5] op_sel_hi:[1,0,1]
	v_mov_b32_e32 v2, v89
	v_pk_fma_f32 v[4:5], v[18:19], v[72:73], v[4:5] neg_lo:[0,0,1] neg_hi:[0,0,1]
	v_mov_b32_e32 v8, v87
	s_wait_storecnt 0x0
	v_mov_b32_e32 v5, v3
	v_pk_mul_f32 v[2:3], v[24:25], v[2:3] op_sel:[1,0] op_sel_hi:[0,0]
	s_barrier_signal -1
	v_pk_mul_f32 v[6:7], v[6:7], v[8:9] op_sel_hi:[1,0]
	v_mov_b32_e32 v8, v85
	v_pk_add_f32 v[0:1], v[0:1], v[4:5]
	v_pk_fma_f32 v[4:5], v[24:25], v[88:89], v[2:3] neg_lo:[0,0,1] neg_hi:[0,0,1]
	v_pk_fma_f32 v[2:3], v[24:25], v[88:89], v[2:3] op_sel_hi:[1,0,1]
	v_pk_fma_f32 v[10:11], v[26:27], v[86:87], v[6:7] op_sel_hi:[1,0,1]
	v_pk_mul_f32 v[8:9], v[28:29], v[8:9] op_sel:[1,0] op_sel_hi:[0,0]
	v_mov_b32_e32 v2, v83
	v_pk_fma_f32 v[6:7], v[26:27], v[86:87], v[6:7] neg_lo:[0,0,1] neg_hi:[0,0,1]
	s_delay_alu instid0(VALU_DEP_4) | instskip(NEXT) | instid1(VALU_DEP_4)
	v_dual_mov_b32 v5, v3 :: v_dual_mov_b32 v7, v11
	v_pk_fma_f32 v[10:11], v[28:29], v[84:85], v[8:9] op_sel_hi:[1,0,1]
	s_delay_alu instid0(VALU_DEP_4) | instskip(SKIP_1) | instid1(VALU_DEP_3)
	v_pk_mul_f32 v[2:3], v[12:13], v[2:3] op_sel_hi:[1,0]
	s_barrier_wait -1
	v_pk_add_f32 v[0:1], v[0:1], v[4:5]
	v_pk_fma_f32 v[4:5], v[28:29], v[84:85], v[8:9] neg_lo:[0,0,1] neg_hi:[0,0,1]
	s_delay_alu instid0(VALU_DEP_3) | instskip(SKIP_1) | instid1(VALU_DEP_4)
	v_pk_fma_f32 v[8:9], v[30:31], v[82:83], v[2:3] op_sel_hi:[1,0,1]
	v_mov_b32_e32 v5, v11
	v_pk_add_f32 v[0:1], v[0:1], v[6:7]
	v_pk_fma_f32 v[2:3], v[30:31], v[82:83], v[2:3] neg_lo:[0,0,1] neg_hi:[0,0,1]
	s_delay_alu instid0(VALU_DEP_4) | instskip(NEXT) | instid1(VALU_DEP_3)
	v_mov_b32_e32 v3, v9
	v_pk_add_f32 v[0:1], v[0:1], v[4:5]
	s_delay_alu instid0(VALU_DEP_1)
	v_pk_add_f32 v[52:53], v[0:1], v[2:3]
	s_cbranch_scc1 .LBB185_73
.LBB185_69:                             ;   Parent Loop BB185_4 Depth=1
                                        ; =>  This Inner Loop Header: Depth=2
	s_and_saveexec_b32 s102, s2
	s_cbranch_execz .LBB185_71
; %bb.70:                               ;   in Loop: Header=BB185_69 Depth=2
	s_ashr_i32 vcc_hi, vcc_lo, 31
	s_delay_alu instid0(SALU_CYCLE_1)
	v_lshl_add_u64 v[0:1], vcc, 3, v[54:55]
	flat_load_b64 v[0:1], v[0:1]
	s_wait_loadcnt_dscnt 0x0
	ds_store_b64 v33, v[0:1]
.LBB185_71:                             ;   in Loop: Header=BB185_69 Depth=2
	s_wait_xcnt 0x0
	s_or_b32 exec_lo, exec_lo, s102
	v_add_nc_u64_e32 v[0:1], s[68:69], v[56:57]
	v_add_nc_u64_e32 v[2:3], s[70:71], v[56:57]
	;; [unrolled: 1-line block ×3, first 2 shown]
	s_wait_dscnt 0x0
	s_barrier_signal -1
	s_barrier_wait -1
	s_clause 0x3
	flat_load_b64 v[62:63], v[56:57]
	flat_load_b64 v[64:65], v[0:1]
	;; [unrolled: 1-line block ×4, first 2 shown]
	ds_load_b64 v[8:9], v91
	s_wait_xcnt 0x0
	ds_load_b128 v[4:7], v97
	v_add_nc_u64_e32 v[12:13], s[76:77], v[56:57]
	v_add_nc_u64_e32 v[20:21], s[78:79], v[56:57]
	;; [unrolled: 1-line block ×3, first 2 shown]
	ds_load_b128 v[0:3], v97 offset:16
	v_add_nc_u64_e32 v[72:73], s[84:85], v[56:57]
	v_add_nc_u64_e32 v[82:83], s[86:87], v[56:57]
	;; [unrolled: 1-line block ×4, first 2 shown]
	s_wait_loadcnt_dscnt 0x202
	v_dual_mul_f32 v14, v9, v65 :: v_dual_mul_f32 v15, v9, v64
	v_dual_mul_f32 v10, v9, v63 :: v_dual_mul_f32 v11, v9, v62
	s_wait_loadcnt 0x1
	v_dual_mul_f32 v16, v9, v61 :: v_dual_mul_f32 v17, v9, v60
	s_wait_loadcnt 0x0
	v_dual_mul_f32 v18, v9, v59 :: v_dual_mul_f32 v19, v8, v59
	v_dual_fma_f32 v10, v8, v62, -v10 :: v_dual_fmac_f32 v11, v8, v63
	v_dual_fma_f32 v14, v8, v64, -v14 :: v_dual_fmac_f32 v15, v8, v65
	;; [unrolled: 1-line block ×3, first 2 shown]
	s_delay_alu instid0(VALU_DEP_4)
	v_dual_fma_f32 v18, v8, v58, -v18 :: v_dual_fmac_f32 v19, v9, v58
	v_add_nc_u64_e32 v[8:9], s[98:99], v[56:57]
	ds_store_2addr_b64 v98, v[10:11], v[14:15] offset1:67
	ds_store_2addr_b64 v98, v[16:17], v[18:19] offset0:134 offset1:201
	s_wait_dscnt 0x0
	s_barrier_signal -1
	s_barrier_wait -1
	ds_load_2addr_b64 v[24:27], v99 offset1:1
	ds_load_2addr_b64 v[110:113], v99 offset0:2 offset1:3
	s_wait_dscnt 0x0
	s_barrier_signal -1
	s_barrier_wait -1
	s_clause 0x3
	flat_load_b64 v[74:75], v[12:13]
	flat_load_b64 v[70:71], v[8:9]
	;; [unrolled: 1-line block ×4, first 2 shown]
	s_wait_xcnt 0x2
	ds_load_b64 v[8:9], v91
	ds_load_b128 v[12:15], v97 offset:128
	v_add_nc_u64_e32 v[16:17], s[82:83], v[56:57]
	v_add_nc_u64_e32 v[18:19], s[96:97], v[56:57]
	v_pk_add_f32 v[24:25], v[24:25], 0 op_sel_hi:[1,0]
	s_delay_alu instid0(VALU_DEP_1) | instskip(NEXT) | instid1(VALU_DEP_1)
	v_pk_add_f32 v[130:131], v[24:25], v[26:27]
	v_pk_add_f32 v[110:111], v[130:131], v[110:111]
	s_delay_alu instid0(VALU_DEP_1)
	v_pk_add_f32 v[110:111], v[110:111], v[112:113]
	s_wait_loadcnt_dscnt 0x301
	s_wait_xcnt 0x1
	v_dual_mul_f32 v10, v9, v75 :: v_dual_mul_f32 v21, v9, v74
	s_wait_loadcnt 0x2
	s_wait_xcnt 0x0
	v_dual_mul_f32 v11, v9, v71 :: v_dual_mul_f32 v23, v9, v70
	s_wait_loadcnt 0x1
	v_dual_mul_f32 v28, v9, v69 :: v_dual_mul_f32 v29, v9, v68
	s_wait_loadcnt 0x0
	v_dual_mul_f32 v30, v9, v67 :: v_dual_mul_f32 v31, v8, v67
	v_dual_fma_f32 v20, v8, v74, -v10 :: v_dual_fmac_f32 v21, v8, v75
	s_delay_alu instid0(VALU_DEP_3) | instskip(SKIP_1) | instid1(VALU_DEP_4)
	v_dual_fma_f32 v22, v8, v70, -v11 :: v_dual_fma_f32 v28, v8, v68, -v28
	v_dual_fmac_f32 v23, v8, v71 :: v_dual_fmac_f32 v29, v8, v69
	v_dual_fma_f32 v30, v8, v66, -v30 :: v_dual_fmac_f32 v31, v9, v66
	ds_load_b128 v[8:11], v97 offset:144
	ds_store_2addr_b64 v98, v[20:21], v[22:23] offset1:67
	ds_store_2addr_b64 v98, v[28:29], v[30:31] offset0:134 offset1:201
	s_wait_dscnt 0x0
	s_barrier_signal -1
	s_barrier_wait -1
	ds_load_2addr_b64 v[28:31], v99 offset1:1
	ds_load_2addr_b64 v[114:117], v99 offset0:2 offset1:3
	s_wait_dscnt 0x0
	s_barrier_signal -1
	s_barrier_wait -1
	s_clause 0x3
	flat_load_b64 v[80:81], v[16:17]
	flat_load_b64 v[78:79], v[18:19]
	flat_load_b64 v[76:77], v[72:73]
	flat_load_b64 v[72:73], v[82:83]
	ds_load_b64 v[16:17], v91
	ds_load_b128 v[20:23], v97 offset:256
	v_pk_add_f32 v[24:25], v[28:29], 0 op_sel_hi:[1,0]
	s_delay_alu instid0(VALU_DEP_1) | instskip(NEXT) | instid1(VALU_DEP_1)
	v_pk_add_f32 v[132:133], v[24:25], v[30:31]
	v_pk_add_f32 v[112:113], v[132:133], v[114:115]
	s_delay_alu instid0(VALU_DEP_1)
	v_pk_add_f32 v[112:113], v[112:113], v[116:117]
	s_wait_loadcnt_dscnt 0x301
	s_wait_xcnt 0x0
	v_dual_mul_f32 v18, v17, v81 :: v_dual_mul_f32 v83, v17, v80
	s_wait_loadcnt 0x2
	v_dual_mul_f32 v19, v17, v79 :: v_dual_mul_f32 v85, v17, v78
	s_wait_loadcnt 0x1
	;; [unrolled: 2-line block ×3, first 2 shown]
	v_dual_mul_f32 v88, v17, v73 :: v_dual_mul_f32 v89, v16, v73
	v_dual_fma_f32 v82, v16, v80, -v18 :: v_dual_fmac_f32 v83, v16, v81
	v_dual_fma_f32 v84, v16, v78, -v19 :: v_dual_fmac_f32 v85, v16, v79
	;; [unrolled: 1-line block ×3, first 2 shown]
	s_delay_alu instid0(VALU_DEP_4)
	v_dual_fma_f32 v88, v16, v72, -v88 :: v_dual_fmac_f32 v89, v17, v72
	ds_load_b128 v[16:19], v97 offset:272
	ds_store_2addr_b64 v98, v[82:83], v[84:85] offset1:67
	ds_store_2addr_b64 v98, v[86:87], v[88:89] offset0:134 offset1:201
	s_wait_dscnt 0x0
	s_barrier_signal -1
	s_barrier_wait -1
	ds_load_2addr_b64 v[118:121], v99 offset1:1
	ds_load_2addr_b64 v[122:125], v99 offset0:2 offset1:3
	s_wait_dscnt 0x0
	s_barrier_signal -1
	s_barrier_wait -1
	s_clause 0x1
	flat_load_b64 v[88:89], v[126:127]
	flat_load_b64 v[86:87], v[128:129]
	v_add_nc_u64_e32 v[82:83], s[90:91], v[56:57]
	s_wait_xcnt 0x1
	v_add_nc_u64_e32 v[126:127], s[92:93], v[56:57]
	s_clause 0x1
	flat_load_b64 v[84:85], v[82:83]
	flat_load_b64 v[82:83], v[126:127]
	s_wait_xcnt 0x0
	ds_load_b64 v[126:127], v91
	ds_load_b128 v[24:27], v97 offset:384
	v_pk_add_f32 v[28:29], v[118:119], 0 op_sel_hi:[1,0]
	s_delay_alu instid0(VALU_DEP_1) | instskip(NEXT) | instid1(VALU_DEP_1)
	v_pk_add_f32 v[134:135], v[28:29], v[120:121]
	v_pk_add_f32 v[114:115], v[134:135], v[122:123]
	s_delay_alu instid0(VALU_DEP_1) | instskip(SKIP_4) | instid1(VALU_DEP_2)
	v_pk_add_f32 v[114:115], v[114:115], v[124:125]
	s_wait_loadcnt_dscnt 0x301
	v_dual_mul_f32 v30, v127, v89 :: v_dual_mul_f32 v29, v127, v88
	s_wait_loadcnt 0x2
	v_dual_mul_f32 v118, v127, v87 :: v_dual_mul_f32 v31, v127, v86
	v_dual_fma_f32 v28, v126, v88, -v30 :: v_dual_fmac_f32 v29, v126, v89
	s_delay_alu instid0(VALU_DEP_2)
	v_dual_fma_f32 v30, v126, v86, -v118 :: v_dual_fmac_f32 v31, v126, v87
	s_wait_loadcnt 0x1
	v_mul_f32_e32 v118, v127, v85
	ds_store_2addr_b64 v98, v[28:29], v[30:31] offset1:67
	s_wait_loadcnt 0x0
	v_dual_mul_f32 v29, v127, v84 :: v_dual_mul_f32 v30, v127, v83
	v_dual_fma_f32 v28, v126, v84, -v118 :: v_dual_mul_f32 v31, v126, v83
	s_delay_alu instid0(VALU_DEP_2) | instskip(NEXT) | instid1(VALU_DEP_2)
	v_dual_fmac_f32 v29, v126, v85 :: v_dual_fma_f32 v30, v126, v82, -v30
	v_fmac_f32_e32 v31, v127, v82
	ds_store_2addr_b64 v98, v[28:29], v[30:31] offset0:134 offset1:201
	ds_load_b128 v[28:31], v97 offset:400
	s_wait_dscnt 0x0
	s_barrier_signal -1
	s_barrier_wait -1
	ds_load_2addr_b64 v[118:121], v99 offset1:1
	ds_load_2addr_b64 v[126:129], v99 offset0:2 offset1:3
	s_wait_dscnt 0x0
	s_barrier_signal -1
	s_barrier_wait -1
	v_pk_add_f32 v[118:119], v[118:119], 0 op_sel_hi:[1,0]
	s_delay_alu instid0(VALU_DEP_1) | instskip(NEXT) | instid1(VALU_DEP_1)
	v_pk_add_f32 v[118:119], v[118:119], v[120:121]
	v_pk_add_f32 v[118:119], v[118:119], v[126:127]
	s_delay_alu instid0(VALU_DEP_1)
	v_pk_add_f32 v[116:117], v[118:119], v[128:129]
	ds_store_2addr_b64 v108, v[110:111], v[112:113] offset1:16
	ds_store_2addr_b64 v108, v[114:115], v[116:117] offset0:32 offset1:48
	s_wait_dscnt 0x0
	s_barrier_signal -1
	s_barrier_wait -1
	s_and_saveexec_b32 vcc_hi, s20
	s_cbranch_execz .LBB185_68
; %bb.72:                               ;   in Loop: Header=BB185_69 Depth=2
	ds_load_b64 v[122:123], v100
	ds_load_2addr_b64 v[110:113], v100 offset0:1 offset1:2
	ds_load_2addr_b64 v[114:117], v100 offset0:3 offset1:4
	;; [unrolled: 1-line block ×3, first 2 shown]
	s_wait_dscnt 0x2
	v_dual_add_f32 v110, v110, v122 :: v_dual_add_f32 v111, v111, v123
	s_delay_alu instid0(VALU_DEP_1) | instskip(SKIP_3) | instid1(VALU_DEP_1)
	v_dual_add_f32 v122, v112, v110 :: v_dual_add_f32 v123, v113, v111
	ds_load_2addr_b64 v[110:113], v100 offset0:7 offset1:8
	s_wait_dscnt 0x2
	v_dual_add_f32 v114, v122, v114 :: v_dual_add_f32 v115, v123, v115
	v_dual_add_f32 v122, v114, v116 :: v_dual_add_f32 v123, v115, v117
	ds_load_2addr_b64 v[114:117], v100 offset0:9 offset1:10
	s_wait_dscnt 0x2
	v_pk_add_f32 v[118:119], v[122:123], v[118:119]
	s_delay_alu instid0(VALU_DEP_1) | instskip(SKIP_3) | instid1(VALU_DEP_1)
	v_pk_add_f32 v[122:123], v[118:119], v[120:121]
	ds_load_2addr_b64 v[118:121], v100 offset0:11 offset1:12
	s_wait_dscnt 0x2
	v_pk_add_f32 v[110:111], v[122:123], v[110:111]
	v_pk_add_f32 v[110:111], v[110:111], v[112:113]
	s_wait_dscnt 0x1
	s_delay_alu instid0(VALU_DEP_1)
	v_pk_add_f32 v[114:115], v[110:111], v[114:115]
	ds_load_2addr_b64 v[110:113], v100 offset0:13 offset1:14
	v_pk_add_f32 v[114:115], v[114:115], v[116:117]
	ds_load_b64 v[116:117], v101
	s_wait_dscnt 0x2
	v_pk_add_f32 v[114:115], v[114:115], v[118:119]
	s_delay_alu instid0(VALU_DEP_1) | instskip(SKIP_1) | instid1(VALU_DEP_1)
	v_pk_add_f32 v[114:115], v[114:115], v[120:121]
	s_wait_dscnt 0x1
	v_pk_add_f32 v[110:111], v[114:115], v[110:111]
	s_delay_alu instid0(VALU_DEP_1) | instskip(SKIP_1) | instid1(VALU_DEP_1)
	v_pk_add_f32 v[110:111], v[110:111], v[112:113]
	s_wait_dscnt 0x0
	v_pk_add_f32 v[110:111], v[110:111], v[116:117]
	global_store_b64 v109, v[110:111], s[0:1] scale_offset
	s_branch .LBB185_68
.LBB185_73:                             ;   in Loop: Header=BB185_4 Depth=1
	ds_store_b64 v102, v[52:53]
	s_wait_dscnt 0x0
	s_barrier_signal -1
	s_barrier_wait -1
	s_and_saveexec_b32 s33, s17
	s_cbranch_execz .LBB185_2
; %bb.74:                               ;   in Loop: Header=BB185_4 Depth=1
	ds_load_2addr_b64 v[0:3], v90 offset1:67
	ds_load_2addr_b64 v[4:7], v90 offset0:134 offset1:201
	s_wait_dscnt 0x1
	v_pk_add_f32 v[0:1], v[2:3], v[0:1]
	v_lshl_add_u64 v[2:3], v[36:37], 3, s[0:1]
	s_wait_dscnt 0x0
	s_delay_alu instid0(VALU_DEP_2) | instskip(NEXT) | instid1(VALU_DEP_1)
	v_pk_add_f32 v[0:1], v[4:5], v[0:1]
	v_pk_add_f32 v[0:1], v[0:1], v[6:7]
	global_store_b64 v[2:3], v[0:1], off
	s_branch .LBB185_2
.LBB185_75:                             ;   in Loop: Header=BB185_4 Depth=1
	ds_load_b64 v[2:3], v105
	s_wait_dscnt 0x0
	ds_store_b64 v93, v[2:3]
	s_or_b32 exec_lo, exec_lo, s0
	s_and_saveexec_b32 s0, s10
	s_cbranch_execz .LBB185_26
.LBB185_76:                             ;   in Loop: Header=BB185_4 Depth=1
	ds_load_b64 v[2:3], v106
	s_wait_dscnt 0x0
	ds_store_b64 v93, v[2:3] offset:8
	s_or_b32 exec_lo, exec_lo, s0
	s_and_saveexec_b32 s0, s11
	s_cbranch_execz .LBB185_27
.LBB185_77:                             ;   in Loop: Header=BB185_4 Depth=1
	ds_load_b64 v[2:3], v106 offset:264
	s_wait_dscnt 0x0
	ds_store_b64 v93, v[2:3] offset:16
	s_or_b32 exec_lo, exec_lo, s0
	s_and_saveexec_b32 s0, s12
	s_cbranch_execnz .LBB185_28
	s_branch .LBB185_29
.LBB185_78:                             ;   in Loop: Header=BB185_4 Depth=1
	ds_load_b64 v[2:3], v105
	s_wait_dscnt 0x0
	ds_store_b64 v93, v[2:3]
	s_or_b32 exec_lo, exec_lo, s0
	s_and_saveexec_b32 s0, s10
	s_cbranch_execz .LBB185_45
.LBB185_79:                             ;   in Loop: Header=BB185_4 Depth=1
	ds_load_b64 v[2:3], v106
	s_wait_dscnt 0x0
	ds_store_b64 v93, v[2:3] offset:8
	s_or_b32 exec_lo, exec_lo, s0
	s_and_saveexec_b32 s0, s11
	s_cbranch_execz .LBB185_46
.LBB185_80:                             ;   in Loop: Header=BB185_4 Depth=1
	ds_load_b64 v[2:3], v106 offset:264
	s_wait_dscnt 0x0
	ds_store_b64 v93, v[2:3] offset:16
	s_or_b32 exec_lo, exec_lo, s0
	s_and_saveexec_b32 s0, s12
	s_cbranch_execnz .LBB185_47
	s_branch .LBB185_48
.LBB185_81:
	s_sendmsg sendmsg(MSG_DEALLOC_VGPRS)
	s_endpgm
	.section	.rodata,"a",@progbits
	.p2align	6, 0x0
	.amdhsa_kernel _ZL26rocblas_hemvn_kernel_lowerILb0ELi64ELi4ELi33ELi32ELi16EiPK19rocblas_complex_numIfEPKS3_PS1_EviT6_lT7_lT5_lS8_lS9_lS7_lT8_i
		.amdhsa_group_segment_fixed_size 9600
		.amdhsa_private_segment_fixed_size 0
		.amdhsa_kernarg_size 376
		.amdhsa_user_sgpr_count 2
		.amdhsa_user_sgpr_dispatch_ptr 0
		.amdhsa_user_sgpr_queue_ptr 0
		.amdhsa_user_sgpr_kernarg_segment_ptr 1
		.amdhsa_user_sgpr_dispatch_id 0
		.amdhsa_user_sgpr_kernarg_preload_length 0
		.amdhsa_user_sgpr_kernarg_preload_offset 0
		.amdhsa_user_sgpr_private_segment_size 0
		.amdhsa_wavefront_size32 1
		.amdhsa_uses_dynamic_stack 0
		.amdhsa_enable_private_segment 0
		.amdhsa_system_sgpr_workgroup_id_x 1
		.amdhsa_system_sgpr_workgroup_id_y 0
		.amdhsa_system_sgpr_workgroup_id_z 1
		.amdhsa_system_sgpr_workgroup_info 0
		.amdhsa_system_vgpr_workitem_id 1
		.amdhsa_next_free_vgpr 137
		.amdhsa_next_free_sgpr 105
		.amdhsa_named_barrier_count 0
		.amdhsa_reserve_vcc 1
		.amdhsa_float_round_mode_32 0
		.amdhsa_float_round_mode_16_64 0
		.amdhsa_float_denorm_mode_32 3
		.amdhsa_float_denorm_mode_16_64 3
		.amdhsa_fp16_overflow 0
		.amdhsa_memory_ordered 1
		.amdhsa_forward_progress 1
		.amdhsa_inst_pref_size 59
		.amdhsa_round_robin_scheduling 0
		.amdhsa_exception_fp_ieee_invalid_op 0
		.amdhsa_exception_fp_denorm_src 0
		.amdhsa_exception_fp_ieee_div_zero 0
		.amdhsa_exception_fp_ieee_overflow 0
		.amdhsa_exception_fp_ieee_underflow 0
		.amdhsa_exception_fp_ieee_inexact 0
		.amdhsa_exception_int_div_zero 0
	.end_amdhsa_kernel
	.section	.text._ZL26rocblas_hemvn_kernel_lowerILb0ELi64ELi4ELi33ELi32ELi16EiPK19rocblas_complex_numIfEPKS3_PS1_EviT6_lT7_lT5_lS8_lS9_lS7_lT8_i,"axG",@progbits,_ZL26rocblas_hemvn_kernel_lowerILb0ELi64ELi4ELi33ELi32ELi16EiPK19rocblas_complex_numIfEPKS3_PS1_EviT6_lT7_lT5_lS8_lS9_lS7_lT8_i,comdat
.Lfunc_end185:
	.size	_ZL26rocblas_hemvn_kernel_lowerILb0ELi64ELi4ELi33ELi32ELi16EiPK19rocblas_complex_numIfEPKS3_PS1_EviT6_lT7_lT5_lS8_lS9_lS7_lT8_i, .Lfunc_end185-_ZL26rocblas_hemvn_kernel_lowerILb0ELi64ELi4ELi33ELi32ELi16EiPK19rocblas_complex_numIfEPKS3_PS1_EviT6_lT7_lT5_lS8_lS9_lS7_lT8_i
                                        ; -- End function
	.set _ZL26rocblas_hemvn_kernel_lowerILb0ELi64ELi4ELi33ELi32ELi16EiPK19rocblas_complex_numIfEPKS3_PS1_EviT6_lT7_lT5_lS8_lS9_lS7_lT8_i.num_vgpr, 137
	.set _ZL26rocblas_hemvn_kernel_lowerILb0ELi64ELi4ELi33ELi32ELi16EiPK19rocblas_complex_numIfEPKS3_PS1_EviT6_lT7_lT5_lS8_lS9_lS7_lT8_i.num_agpr, 0
	.set _ZL26rocblas_hemvn_kernel_lowerILb0ELi64ELi4ELi33ELi32ELi16EiPK19rocblas_complex_numIfEPKS3_PS1_EviT6_lT7_lT5_lS8_lS9_lS7_lT8_i.numbered_sgpr, 105
	.set _ZL26rocblas_hemvn_kernel_lowerILb0ELi64ELi4ELi33ELi32ELi16EiPK19rocblas_complex_numIfEPKS3_PS1_EviT6_lT7_lT5_lS8_lS9_lS7_lT8_i.num_named_barrier, 0
	.set _ZL26rocblas_hemvn_kernel_lowerILb0ELi64ELi4ELi33ELi32ELi16EiPK19rocblas_complex_numIfEPKS3_PS1_EviT6_lT7_lT5_lS8_lS9_lS7_lT8_i.private_seg_size, 0
	.set _ZL26rocblas_hemvn_kernel_lowerILb0ELi64ELi4ELi33ELi32ELi16EiPK19rocblas_complex_numIfEPKS3_PS1_EviT6_lT7_lT5_lS8_lS9_lS7_lT8_i.uses_vcc, 1
	.set _ZL26rocblas_hemvn_kernel_lowerILb0ELi64ELi4ELi33ELi32ELi16EiPK19rocblas_complex_numIfEPKS3_PS1_EviT6_lT7_lT5_lS8_lS9_lS7_lT8_i.uses_flat_scratch, 1
	.set _ZL26rocblas_hemvn_kernel_lowerILb0ELi64ELi4ELi33ELi32ELi16EiPK19rocblas_complex_numIfEPKS3_PS1_EviT6_lT7_lT5_lS8_lS9_lS7_lT8_i.has_dyn_sized_stack, 0
	.set _ZL26rocblas_hemvn_kernel_lowerILb0ELi64ELi4ELi33ELi32ELi16EiPK19rocblas_complex_numIfEPKS3_PS1_EviT6_lT7_lT5_lS8_lS9_lS7_lT8_i.has_recursion, 0
	.set _ZL26rocblas_hemvn_kernel_lowerILb0ELi64ELi4ELi33ELi32ELi16EiPK19rocblas_complex_numIfEPKS3_PS1_EviT6_lT7_lT5_lS8_lS9_lS7_lT8_i.has_indirect_call, 0
	.section	.AMDGPU.csdata,"",@progbits
; Kernel info:
; codeLenInByte = 7464
; TotalNumSgprs: 107
; NumVgprs: 137
; ScratchSize: 0
; MemoryBound: 1
; FloatMode: 240
; IeeeMode: 1
; LDSByteSize: 9600 bytes/workgroup (compile time only)
; SGPRBlocks: 0
; VGPRBlocks: 8
; NumSGPRsForWavesPerEU: 107
; NumVGPRsForWavesPerEU: 137
; NamedBarCnt: 0
; Occupancy: 7
; WaveLimiterHint : 1
; COMPUTE_PGM_RSRC2:SCRATCH_EN: 0
; COMPUTE_PGM_RSRC2:USER_SGPR: 2
; COMPUTE_PGM_RSRC2:TRAP_HANDLER: 0
; COMPUTE_PGM_RSRC2:TGID_X_EN: 1
; COMPUTE_PGM_RSRC2:TGID_Y_EN: 0
; COMPUTE_PGM_RSRC2:TGID_Z_EN: 1
; COMPUTE_PGM_RSRC2:TIDIG_COMP_CNT: 1
	.section	.text._ZL26rocblas_hemvn_kernel_lowerILb0ELi64ELi4ELi33ELi32ELi16El19rocblas_complex_numIfEPKPKS1_PS1_EviT6_lT7_lT5_lS8_lS9_lS7_lT8_i,"axG",@progbits,_ZL26rocblas_hemvn_kernel_lowerILb0ELi64ELi4ELi33ELi32ELi16El19rocblas_complex_numIfEPKPKS1_PS1_EviT6_lT7_lT5_lS8_lS9_lS7_lT8_i,comdat
	.globl	_ZL26rocblas_hemvn_kernel_lowerILb0ELi64ELi4ELi33ELi32ELi16El19rocblas_complex_numIfEPKPKS1_PS1_EviT6_lT7_lT5_lS8_lS9_lS7_lT8_i ; -- Begin function _ZL26rocblas_hemvn_kernel_lowerILb0ELi64ELi4ELi33ELi32ELi16El19rocblas_complex_numIfEPKPKS1_PS1_EviT6_lT7_lT5_lS8_lS9_lS7_lT8_i
	.p2align	8
	.type	_ZL26rocblas_hemvn_kernel_lowerILb0ELi64ELi4ELi33ELi32ELi16El19rocblas_complex_numIfEPKPKS1_PS1_EviT6_lT7_lT5_lS8_lS9_lS7_lT8_i,@function
_ZL26rocblas_hemvn_kernel_lowerILb0ELi64ELi4ELi33ELi32ELi16El19rocblas_complex_numIfEPKPKS1_PS1_EviT6_lT7_lT5_lS8_lS9_lS7_lT8_i: ; @_ZL26rocblas_hemvn_kernel_lowerILb0ELi64ELi4ELi33ELi32ELi16El19rocblas_complex_numIfEPKPKS1_PS1_EviT6_lT7_lT5_lS8_lS9_lS7_lT8_i
; %bb.0:
	s_clause 0x1
	s_load_b64 s[2:3], s[0:1], 0x84
	s_load_b32 s19, s[0:1], 0x70
	s_bfe_u32 s4, ttmp6, 0x40014
	s_lshr_b32 s5, ttmp7, 16
	s_add_co_i32 s4, s4, 1
	s_bfe_u32 s7, ttmp6, 0x40008
	s_mul_i32 s4, s5, s4
	s_getreg_b32 s6, hwreg(HW_REG_IB_STS2, 6, 4)
	s_add_co_i32 s7, s7, s4
	s_mov_b32 s31, 0
	s_wait_kmcnt 0x0
	s_lshr_b32 s4, s2, 16
	s_and_b32 s2, s2, 0xffff
	s_and_b32 s3, s3, 0xffff
	s_mul_i32 s2, s4, s2
	s_cmp_eq_u32 s6, 0
	s_mul_i32 s2, s2, s3
	s_cselect_b32 s28, s5, s7
	s_cmp_lg_u32 s2, 0x100
	s_cselect_b32 s2, -1, 0
	s_cmp_ge_u32 s28, s19
	s_cselect_b32 s3, -1, 0
	s_delay_alu instid0(SALU_CYCLE_1) | instskip(NEXT) | instid1(SALU_CYCLE_1)
	s_or_b32 s2, s2, s3
	s_and_b32 vcc_lo, exec_lo, s2
	s_cbranch_vccnz .LBB186_82
; %bb.1:
	s_clause 0x5
	s_load_b32 s2, s[0:1], 0x0
	s_load_b64 s[8:9], s[0:1], 0x4
	s_load_b128 s[20:23], s[0:1], 0x18
	s_load_b64 s[88:89], s[0:1], 0x28
	s_load_b64 s[4:5], s[0:1], 0x68
	;; [unrolled: 1-line block ×3, first 2 shown]
	s_bfe_u32 s3, ttmp6, 0x4000c
	s_and_b32 s7, ttmp6, 15
	s_add_co_i32 s3, s3, 1
	s_add_nc_u64 s[10:11], s[0:1], 0x78
	s_mul_i32 s3, ttmp9, s3
	s_clause 0x1
	s_load_b128 s[24:27], s[0:1], 0x38
	s_load_b64 s[34:35], s[0:1], 0x48
	s_add_co_i32 s7, s7, s3
	s_load_b32 s30, s[10:11], 0x0
	v_and_b32_e32 v32, 0x3ff, v0
	v_bfe_u32 v1, v0, 10, 10
	v_dual_mov_b32 v35, 0 :: v_dual_bitop2_b32 v34, 31, v0 bitop3:0x40
	v_mov_b64_e32 v[48:49], 0
	s_mov_b64 s[90:91], 0xfffffffffffffef8
	s_delay_alu instid0(VALU_DEP_3) | instskip(NEXT) | instid1(VALU_DEP_3)
	v_lshl_add_u32 v4, v1, 6, v32
	v_mul_u32_u24_e32 v14, 33, v34
	s_wait_kmcnt 0x0
	s_ashr_i32 s3, s2, 31
	s_cmp_eq_u32 s6, 0
	v_sub_nc_u64_e32 v[42:43], 0, v[34:35]
	s_cselect_b32 s33, ttmp9, s7
	s_or_b32 s0, s8, s9
	v_and_b32_e32 v10, 0x7fe0, v4
	s_bitset0_b32 s0, 31
	v_cmp_gt_u32_e64 s11, 32, v4
	s_cmp_eq_u32 s0, 0
	v_lshl_add_u32 v95, v1, 5, 0x2180
	s_cselect_b32 s98, -1, 0
	s_cmp_lg_u32 s0, 0
	s_mul_u64 s[38:39], s[30:31], s[2:3]
	s_cselect_b32 s29, -1, 0
	s_cmp_neq_f32 s12, 1.0
	v_add_nc_u32_e32 v91, 0x2380, v10
	v_cmp_eq_u32_e64 s0, 0, v1
	v_cmp_gt_u32_e64 s18, 64, v4
	s_cselect_b32 s58, -1, 0
	s_cmp_neq_f32 s13, 0
	s_mul_u64 s[48:49], s[88:89], 0xc0
	s_mul_u64 s[66:67], s[88:89], 24
	;; [unrolled: 1-line block ×3, first 2 shown]
	s_cselect_b32 s59, -1, 0
	s_lshr_b32 s1, s3, 26
	s_lshl_b32 s94, s33, 6
	s_add_co_i32 s1, s2, s1
	v_dual_lshlrev_b32 v33, 3, v32 :: v_dual_add_nc_u32 v38, s94, v32
	v_lshrrev_b32_e32 v2, 5, v4
	s_and_not1_b32 s1, s1, 63
	s_add_co_i32 s6, s30, -1
	s_sub_co_i32 s1, s2, s1
	s_cmp_eq_u32 s33, s6
	v_ashrrev_i32_e32 v39, 31, v38
	s_cselect_b32 s36, s1, 0
	v_dual_lshlrev_b32 v8, 2, v2 :: v_dual_add_nc_u32 v9, 24, v2
	v_lshlrev_b32_e32 v5, 3, v34
	s_cmp_eq_u32 s36, 0
	s_mul_i32 s6, s2, s33
	s_cselect_b32 s99, -1, 0
	s_cmp_lg_u32 s36, 0
	v_or_b32_e32 v11, 1, v8
	v_lshl_or_b32 v89, v34, 8, v5
	s_cselect_b32 s1, -1, 0
	s_ashr_i32 s7, s6, 31
	v_mad_nc_u64_u32 v[36:37], s88, v2, v[34:35]
	s_lshl_b64 s[6:7], s[6:7], 3
	v_dual_add_nc_u32 v90, v89, v10 :: v_dual_bitop2_b32 v13, 2, v8 bitop3:0x54
	s_add_nc_u64 s[40:41], s[4:5], s[6:7]
	v_cmp_lt_u32_e64 s7, v8, v34
	v_dual_lshlrev_b32 v15, 3, v2 :: v_dual_bitop2_b32 v8, 3, v8 bitop3:0x54
	v_dual_add_nc_u32 v3, 8, v2 :: v_dual_add_nc_u32 v7, 16, v2
	s_sub_co_i32 s16, s36, 32
	v_add_nc_u32_e32 v88, 0x2380, v33
	s_delay_alu instid0(VALU_DEP_3)
	v_lshl_add_u32 v92, v14, 3, v15
	v_mad_u32 v37, s89, v2, v37
	v_mul_u32_u24_e32 v6, 0x108, v2
	v_cmp_gt_i32_e64 s3, s36, v2
	v_cmp_gt_i32_e64 s4, s36, v3
	;; [unrolled: 1-line block ×3, first 2 shown]
	v_mul_u32_u24_e32 v12, 0x420, v2
	v_cmp_lt_u32_e64 s10, v8, v34
	v_or_b32_e32 v8, 32, v34
	v_cmp_gt_i32_e64 s13, s16, v2
	v_cmp_gt_i32_e64 s14, s16, v3
	;; [unrolled: 1-line block ×3, first 2 shown]
	v_cmp_eq_u32_e64 s17, 1, v2
	v_mul_i32_i24_e32 v7, 0xffffffe8, v2
	v_mad_u32_u24 v93, v2, 24, v92
	v_dual_mov_b32 v3, v35 :: v_dual_lshlrev_b32 v2, 2, v1
	v_mul_u64_e32 v[40:41], s[34:35], v[38:39]
	v_cmp_gt_i32_e64 s12, s36, v8
	v_dual_lshrrev_b32 v8, 4, v4 :: v_dual_add_nc_u32 v102, v5, v6
	s_delay_alu instid0(VALU_DEP_4)
	v_mul_u64_e32 v[46:47], s[88:89], v[2:3]
	v_cmp_gt_i32_e64 s6, s36, v9
	v_cmp_lt_u32_e64 s8, v11, v34
	v_mul_u32_u24_e32 v11, 0x108, v11
	v_cmp_gt_i32_e64 s16, s16, v9
	v_and_b32_e32 v9, 15, v0
	v_and_b32_e32 v0, 48, v0
	v_dual_lshlrev_b32 v2, 5, v8 :: v_dual_add_nc_u32 v105, v91, v7
	v_cmp_le_i32_e32 vcc_lo, s36, v32
	v_or_b32_e32 v3, 0x78, v33
	s_delay_alu instid0(VALU_DEP_4) | instskip(NEXT) | instid1(VALU_DEP_4)
	v_dual_add_nc_u32 v104, v5, v11 :: v_dual_lshlrev_b32 v0, 3, v0
	v_mad_u32_u24 v97, 0x218, v9, v2
	v_mul_i32_i24_e32 v2, 0xffffffe8, v8
	s_and_b32 s1, s1, vcc_lo
	s_ashr_i32 s95, s94, 31
	s_lshl_b64 s[44:45], s[88:89], 6
	s_lshl_b64 s[46:47], s[88:89], 7
	s_ashr_i32 s37, s36, 31
	s_lshl_b64 s[50:51], s[88:89], 5
	s_xor_b32 s30, s1, -1
	v_sub_nc_u64_e32 v[44:45], 0, v[36:37]
	s_cmp_gt_i32 s33, 0
	v_cmp_gt_i32_e64 s2, s36, v34
	v_cmp_lt_u32_e64 s9, v13, v34
	v_add_nc_u32_e32 v94, 0x2180, v33
	v_mad_u32_u24 v96, 0x860, v1, v33
	v_mad_u32_u24 v98, 0x218, v9, v0
	;; [unrolled: 1-line block ×4, first 2 shown]
	v_add_nc_u32_e32 v101, 0x2380, v15
	v_dual_add_nc_u32 v103, v5, v12 :: v_dual_lshlrev_b32 v34, 3, v34
	v_add_nc_u32_e32 v106, v97, v2
	s_mul_u64 s[42:43], s[88:89], s[94:95]
	s_mul_u64 s[54:55], s[34:35], s[94:95]
	s_cselect_b32 s100, -1, 0
	s_and_b32 s101, s0, s30
	s_or_b32 s30, s58, s59
	s_sub_nc_u64 s[52:53], 0, s[50:51]
	s_sub_nc_u64 s[54:55], 0, s[54:55]
	;; [unrolled: 1-line block ×4, first 2 shown]
	s_lshl_b64 s[60:61], s[88:89], 3
	s_lshl_b64 s[62:63], s[88:89], 4
	;; [unrolled: 1-line block ×3, first 2 shown]
	s_mul_u64 s[70:71], s[88:89], 0x98
	s_lshl_b64 s[72:73], s[88:89], 8
	s_mul_u64 s[74:75], s[88:89], 0x110
	s_mul_u64 s[76:77], s[88:89], 0x118
	;; [unrolled: 1-line block ×8, first 2 shown]
	s_or_b32 s102, s30, s29
	s_mov_b64 s[92:93], 0xffffffffffffff00
	s_lshl_b64 s[26:27], s[26:27], 3
	s_lshl_b64 s[22:23], s[22:23], 3
	;; [unrolled: 1-line block ×3, first 2 shown]
	s_branch .LBB186_4
.LBB186_2:                              ;   in Loop: Header=BB186_4 Depth=1
	s_wait_xcnt 0x0
	s_or_b32 exec_lo, exec_lo, s29
.LBB186_3:                              ;   in Loop: Header=BB186_4 Depth=1
	s_add_co_i32 s28, s28, 0x10000
	s_delay_alu instid0(SALU_CYCLE_1)
	s_cmp_lt_u32 s28, s19
	s_cbranch_scc0 .LBB186_82
.LBB186_4:                              ; =>This Loop Header: Depth=1
                                        ;     Child Loop BB186_70 Depth 2
	s_and_not1_b32 vcc_lo, exec_lo, s102
	s_cbranch_vccnz .LBB186_3
; %bb.5:                                ;   in Loop: Header=BB186_4 Depth=1
	s_and_b32 vcc_lo, exec_lo, s98
	s_mov_b32 s29, -1
	s_cbranch_vccz .LBB186_7
; %bb.6:                                ;   in Loop: Header=BB186_4 Depth=1
	s_mov_b32 s29, 0
.LBB186_7:                              ;   in Loop: Header=BB186_4 Depth=1
	s_delay_alu instid0(SALU_CYCLE_1)
	s_and_not1_b32 vcc_lo, exec_lo, s29
	s_cbranch_vccnz .LBB186_3
; %bb.8:                                ;   in Loop: Header=BB186_4 Depth=1
	v_mov_b32_e32 v0, s28
	s_clause 0x1
	global_load_b64 v[2:3], v0, s[24:25] scale_offset
	global_load_b64 v[0:1], v0, s[20:21] scale_offset
	s_wait_loadcnt 0x1
	v_add_nc_u64_e32 v[2:3], s[26:27], v[2:3]
	s_delay_alu instid0(VALU_DEP_1)
	v_lshl_add_u64 v[16:17], v[40:41], 3, v[2:3]
	s_wait_xcnt 0x0
	s_and_saveexec_b32 s29, s0
	s_cbranch_execz .LBB186_13
; %bb.9:                                ;   in Loop: Header=BB186_4 Depth=1
	s_and_saveexec_b32 s30, s1
	s_delay_alu instid0(SALU_CYCLE_1)
	s_xor_b32 s30, exec_lo, s30
; %bb.10:                               ;   in Loop: Header=BB186_4 Depth=1
	ds_store_b64 v88, v[48:49]
; %bb.11:                               ;   in Loop: Header=BB186_4 Depth=1
	s_and_not1_saveexec_b32 s30, s30
	s_cbranch_execz .LBB186_13
; %bb.12:                               ;   in Loop: Header=BB186_4 Depth=1
	flat_load_b64 v[2:3], v[16:17]
	s_wait_loadcnt_dscnt 0x0
	ds_store_b64 v88, v[2:3]
.LBB186_13:                             ;   in Loop: Header=BB186_4 Depth=1
	s_wait_xcnt 0x0
	s_or_b32 exec_lo, exec_lo, s29
	s_wait_loadcnt 0x0
	v_add_nc_u64_e32 v[0:1], s[22:23], v[0:1]
	s_and_not1_b32 vcc_lo, exec_lo, s99
	s_mov_b32 s29, -1
	s_delay_alu instid0(VALU_DEP_1) | instskip(NEXT) | instid1(VALU_DEP_1)
	v_add_nc_u64_e32 v[0:1], s[94:95], v[0:1]
	v_lshl_add_u64 v[0:1], v[36:37], 3, v[0:1]
	s_delay_alu instid0(VALU_DEP_1)
	v_lshl_add_u64 v[0:1], s[42:43], 3, v[0:1]
	s_cbranch_vccnz .LBB186_15
; %bb.14:                               ;   in Loop: Header=BB186_4 Depth=1
	s_delay_alu instid0(VALU_DEP_1) | instskip(SKIP_1) | instid1(VALU_DEP_1)
	v_add_nc_u64_e32 v[2:3], s[44:45], v[0:1]
	s_mov_b32 s29, 0
	v_add_nc_u64_e32 v[4:5], s[44:45], v[2:3]
	s_delay_alu instid0(VALU_DEP_1)
	v_add_nc_u64_e32 v[6:7], s[44:45], v[4:5]
	s_clause 0x3
	flat_load_b64 v[8:9], v[0:1]
	flat_load_b64 v[2:3], v[2:3]
	;; [unrolled: 1-line block ×4, first 2 shown]
	s_wait_loadcnt_dscnt 0x303
	ds_store_b64 v102, v[8:9]
	s_wait_loadcnt_dscnt 0x203
	ds_store_b64 v102, v[2:3] offset:2112
	s_wait_loadcnt_dscnt 0x103
	ds_store_b64 v102, v[4:5] offset:4224
	;; [unrolled: 2-line block ×3, first 2 shown]
.LBB186_15:                             ;   in Loop: Header=BB186_4 Depth=1
	s_and_not1_b32 vcc_lo, exec_lo, s29
	s_cbranch_vccnz .LBB186_25
; %bb.16:                               ;   in Loop: Header=BB186_4 Depth=1
	s_wait_xcnt 0x2
	v_lshl_add_u64 v[2:3], v[42:43], 3, v[0:1]
	s_wait_xcnt 0x0
	v_dual_mov_b32 v6, 0 :: v_dual_mov_b32 v4, 0
	v_mov_b32_e32 v5, 0
	s_delay_alu instid0(VALU_DEP_3) | instskip(NEXT) | instid1(VALU_DEP_1)
	v_lshl_add_u64 v[2:3], s[36:37], 3, v[2:3]
	v_add_nc_u64_e32 v[2:3], -8, v[2:3]
	s_delay_alu instid0(VALU_DEP_1)
	v_dual_cndmask_b32 v3, v3, v1, s2 :: v_dual_cndmask_b32 v2, v2, v0, s2
	s_and_saveexec_b32 s29, s3
	s_cbranch_execz .LBB186_18
; %bb.17:                               ;   in Loop: Header=BB186_4 Depth=1
	flat_load_b64 v[4:5], v[2:3]
.LBB186_18:                             ;   in Loop: Header=BB186_4 Depth=1
	s_wait_xcnt 0x0
	s_or_b32 exec_lo, exec_lo, s29
	v_mov_b32_e32 v7, 0
	s_wait_loadcnt_dscnt 0x0
	ds_store_b64 v102, v[4:5]
	s_and_saveexec_b32 s29, s4
	s_cbranch_execz .LBB186_20
; %bb.19:                               ;   in Loop: Header=BB186_4 Depth=1
	v_add_nc_u64_e32 v[4:5], s[44:45], v[2:3]
	flat_load_b64 v[6:7], v[4:5]
.LBB186_20:                             ;   in Loop: Header=BB186_4 Depth=1
	s_wait_xcnt 0x0
	s_or_b32 exec_lo, exec_lo, s29
	v_dual_mov_b32 v4, 0 :: v_dual_mov_b32 v8, 0
	v_mov_b32_e32 v9, 0
	s_wait_loadcnt_dscnt 0x0
	ds_store_b64 v102, v[6:7] offset:2112
	s_and_saveexec_b32 s29, s5
	s_cbranch_execz .LBB186_22
; %bb.21:                               ;   in Loop: Header=BB186_4 Depth=1
	v_add_nc_u64_e32 v[6:7], s[46:47], v[2:3]
	flat_load_b64 v[8:9], v[6:7]
.LBB186_22:                             ;   in Loop: Header=BB186_4 Depth=1
	s_wait_xcnt 0x0
	s_or_b32 exec_lo, exec_lo, s29
	v_mov_b32_e32 v5, 0
	s_wait_loadcnt_dscnt 0x0
	ds_store_b64 v102, v[8:9] offset:4224
	s_and_saveexec_b32 s29, s6
	s_cbranch_execz .LBB186_24
; %bb.23:                               ;   in Loop: Header=BB186_4 Depth=1
	v_add_nc_u64_e32 v[4:5], s[48:49], v[2:3]
	flat_load_b64 v[4:5], v[4:5]
.LBB186_24:                             ;   in Loop: Header=BB186_4 Depth=1
	s_wait_xcnt 0x0
	s_or_b32 exec_lo, exec_lo, s29
	v_add_nc_u64_e32 v[2:3], v[2:3], v[34:35]
	s_wait_loadcnt_dscnt 0x0
	ds_store_b64 v102, v[4:5] offset:6336
	v_lshl_add_u64 v[2:3], s[58:59], 3, v[2:3]
	s_delay_alu instid0(VALU_DEP_1) | instskip(NEXT) | instid1(VALU_DEP_1)
	v_add_nc_u64_e32 v[2:3], 8, v[2:3]
	v_dual_cndmask_b32 v1, v3, v1, s2 :: v_dual_cndmask_b32 v0, v2, v0, s2
.LBB186_25:                             ;   in Loop: Header=BB186_4 Depth=1
	s_mov_b32 s29, s31
	s_wait_dscnt 0x0
	s_barrier_signal -1
	s_barrier_wait -1
	s_wait_xcnt 0x0
	s_and_saveexec_b32 s30, s7
	s_cbranch_execnz .LBB186_76
; %bb.26:                               ;   in Loop: Header=BB186_4 Depth=1
	s_or_b32 exec_lo, exec_lo, s30
	s_and_saveexec_b32 s30, s8
	s_cbranch_execnz .LBB186_77
.LBB186_27:                             ;   in Loop: Header=BB186_4 Depth=1
	s_or_b32 exec_lo, exec_lo, s30
	s_and_saveexec_b32 s30, s9
	s_cbranch_execnz .LBB186_78
.LBB186_28:                             ;   in Loop: Header=BB186_4 Depth=1
	s_or_b32 exec_lo, exec_lo, s30
	s_and_saveexec_b32 s30, s10
	s_cbranch_execz .LBB186_30
.LBB186_29:                             ;   in Loop: Header=BB186_4 Depth=1
	ds_load_b64 v[2:3], v104 offset:528
	s_wait_dscnt 0x0
	ds_store_b64 v90, v[2:3] offset:24
.LBB186_30:                             ;   in Loop: Header=BB186_4 Depth=1
	s_or_b32 exec_lo, exec_lo, s30
	s_wait_dscnt 0x0
	s_barrier_signal -1
	s_barrier_wait -1
	ds_load_b64 v[14:15], v103
	ds_load_b128 v[2:5], v91
	ds_load_2addr_b64 v[6:9], v104 offset1:33
	ds_load_b128 v[10:13], v91 offset:16
	ds_load_b64 v[18:19], v104 offset:528
	v_mov_b64_e32 v[50:51], 0
	s_wait_dscnt 0x0
	s_barrier_signal -1
	s_barrier_wait -1
	v_pk_mul_f32 v[20:21], v[2:3], v[14:15] op_sel:[1,1] op_sel_hi:[0,1]
	v_dual_mov_b32 v22, v5 :: v_dual_mov_b32 v23, v4
	v_pk_mul_f32 v[24:25], v[10:11], v[8:9] op_sel:[1,1] op_sel_hi:[0,1]
	v_dual_mov_b32 v28, v13 :: v_dual_mov_b32 v29, v12
	s_delay_alu instid0(VALU_DEP_4) | instskip(NEXT) | instid1(VALU_DEP_4)
	v_pk_fma_f32 v[26:27], v[2:3], v[14:15], v[20:21] op_sel_hi:[1,0,1]
	v_pk_mul_f32 v[22:23], v[22:23], v[6:7] op_sel:[0,1]
	v_pk_fma_f32 v[2:3], v[2:3], v[14:15], v[20:21] neg_lo:[0,0,1] neg_hi:[0,0,1]
	v_pk_fma_f32 v[20:21], v[10:11], v[8:9], v[24:25] op_sel_hi:[1,0,1]
	s_delay_alu instid0(VALU_DEP_3)
	v_pk_fma_f32 v[14:15], v[4:5], v[6:7], v[22:23] op_sel_hi:[1,0,1]
	v_mov_b32_e32 v3, v27
	v_pk_fma_f32 v[4:5], v[4:5], v[6:7], v[22:23] neg_lo:[0,0,1] neg_hi:[0,0,1]
	v_pk_mul_f32 v[26:27], v[28:29], v[18:19] op_sel:[0,1]
	v_pk_fma_f32 v[6:7], v[10:11], v[8:9], v[24:25] neg_lo:[0,0,1] neg_hi:[0,0,1]
	v_mov_b32_e32 v5, v15
	v_pk_add_f32 v[2:3], v[2:3], 0 op_sel_hi:[1,0]
	s_delay_alu instid0(VALU_DEP_4) | instskip(SKIP_1) | instid1(VALU_DEP_3)
	v_pk_fma_f32 v[8:9], v[12:13], v[18:19], v[26:27] op_sel_hi:[1,0,1]
	v_mov_b32_e32 v7, v21
	v_pk_add_f32 v[2:3], v[2:3], v[4:5]
	v_pk_fma_f32 v[4:5], v[12:13], v[18:19], v[26:27] neg_lo:[0,0,1] neg_hi:[0,0,1]
	s_delay_alu instid0(VALU_DEP_4) | instskip(NEXT) | instid1(VALU_DEP_3)
	v_mov_b32_e32 v5, v9
	v_pk_add_f32 v[2:3], v[2:3], v[6:7]
	s_delay_alu instid0(VALU_DEP_1)
	v_pk_add_f32 v[2:3], v[2:3], v[4:5]
	ds_store_b64 v92, v[2:3]
	s_wait_dscnt 0x0
	s_barrier_signal -1
	s_barrier_wait -1
	s_and_saveexec_b32 s30, s11
	s_cbranch_execz .LBB186_32
; %bb.31:                               ;   in Loop: Header=BB186_4 Depth=1
	ds_load_2addr_b64 v[2:5], v89 offset1:7
	ds_load_2addr_b64 v[6:9], v89 offset0:1 offset1:2
	ds_load_2addr_b64 v[10:13], v89 offset0:3 offset1:4
	;; [unrolled: 1-line block ×3, first 2 shown]
	s_wait_dscnt 0x2
	v_dual_add_f32 v2, v6, v2 :: v_dual_add_f32 v3, v7, v3
	s_delay_alu instid0(VALU_DEP_1) | instskip(SKIP_1) | instid1(VALU_DEP_1)
	v_dual_add_f32 v2, v8, v2 :: v_dual_add_f32 v3, v9, v3
	s_wait_dscnt 0x1
	v_dual_add_f32 v2, v2, v10 :: v_dual_add_f32 v3, v3, v11
	s_delay_alu instid0(VALU_DEP_1) | instskip(SKIP_1) | instid1(VALU_DEP_1)
	v_dual_add_f32 v2, v2, v12 :: v_dual_add_f32 v3, v3, v13
	s_wait_dscnt 0x0
	v_dual_add_f32 v2, v2, v18 :: v_dual_add_f32 v3, v3, v19
	s_delay_alu instid0(VALU_DEP_1) | instskip(NEXT) | instid1(VALU_DEP_1)
	v_dual_add_f32 v2, v2, v20 :: v_dual_add_f32 v3, v3, v21
	v_pk_add_f32 v[50:51], v[2:3], v[4:5]
.LBB186_32:                             ;   in Loop: Header=BB186_4 Depth=1
	s_or_b32 exec_lo, exec_lo, s30
	v_lshl_add_u64 v[2:3], s[50:51], 3, v[0:1]
	s_and_not1_b32 vcc_lo, exec_lo, s99
	s_mov_b32 s30, -1
	s_barrier_signal -1
	s_barrier_wait -1
	s_cbranch_vccnz .LBB186_34
; %bb.33:                               ;   in Loop: Header=BB186_4 Depth=1
	v_add_nc_u64_e32 v[0:1], s[44:45], v[2:3]
	s_mov_b32 s30, 0
	s_delay_alu instid0(VALU_DEP_1) | instskip(NEXT) | instid1(VALU_DEP_1)
	v_add_nc_u64_e32 v[4:5], s[44:45], v[0:1]
	v_add_nc_u64_e32 v[6:7], s[44:45], v[4:5]
	s_clause 0x3
	flat_load_b64 v[8:9], v[2:3] offset:256
	flat_load_b64 v[0:1], v[0:1] offset:256
	;; [unrolled: 1-line block ×4, first 2 shown]
	s_wait_loadcnt_dscnt 0x303
	ds_store_b64 v102, v[8:9]
	s_wait_loadcnt_dscnt 0x203
	ds_store_b64 v102, v[0:1] offset:2112
	s_wait_loadcnt_dscnt 0x103
	ds_store_b64 v102, v[4:5] offset:4224
	;; [unrolled: 2-line block ×3, first 2 shown]
.LBB186_34:                             ;   in Loop: Header=BB186_4 Depth=1
	s_wait_xcnt 0x2
	v_add_nc_u64_e32 v[0:1], 0x100, v[2:3]
	s_and_not1_b32 vcc_lo, exec_lo, s30
	s_cbranch_vccnz .LBB186_44
; %bb.35:                               ;   in Loop: Header=BB186_4 Depth=1
	v_lshl_add_u64 v[2:3], v[42:43], 3, v[2:3]
	s_wait_xcnt 0x0
	v_dual_mov_b32 v6, 0 :: v_dual_mov_b32 v4, 0
	v_mov_b32_e32 v5, 0
	s_delay_alu instid0(VALU_DEP_3) | instskip(NEXT) | instid1(VALU_DEP_1)
	v_lshl_add_u64 v[2:3], s[36:37], 3, v[2:3]
	v_add_nc_u64_e32 v[2:3], -8, v[2:3]
	s_delay_alu instid0(VALU_DEP_1)
	v_dual_cndmask_b32 v3, v3, v1, s12 :: v_dual_cndmask_b32 v2, v2, v0, s12
	s_and_saveexec_b32 s30, s13
	s_cbranch_execz .LBB186_37
; %bb.36:                               ;   in Loop: Header=BB186_4 Depth=1
	flat_load_b64 v[4:5], v[2:3]
.LBB186_37:                             ;   in Loop: Header=BB186_4 Depth=1
	s_wait_xcnt 0x0
	s_or_b32 exec_lo, exec_lo, s30
	v_mov_b32_e32 v7, 0
	s_wait_loadcnt_dscnt 0x0
	ds_store_b64 v102, v[4:5]
	s_and_saveexec_b32 s30, s14
	s_cbranch_execz .LBB186_39
; %bb.38:                               ;   in Loop: Header=BB186_4 Depth=1
	v_add_nc_u64_e32 v[4:5], s[44:45], v[2:3]
	flat_load_b64 v[6:7], v[4:5]
.LBB186_39:                             ;   in Loop: Header=BB186_4 Depth=1
	s_wait_xcnt 0x0
	s_or_b32 exec_lo, exec_lo, s30
	v_dual_mov_b32 v4, 0 :: v_dual_mov_b32 v8, 0
	v_mov_b32_e32 v9, 0
	s_wait_loadcnt_dscnt 0x0
	ds_store_b64 v102, v[6:7] offset:2112
	s_and_saveexec_b32 s30, s15
	s_cbranch_execz .LBB186_41
; %bb.40:                               ;   in Loop: Header=BB186_4 Depth=1
	v_add_nc_u64_e32 v[6:7], s[46:47], v[2:3]
	flat_load_b64 v[8:9], v[6:7]
.LBB186_41:                             ;   in Loop: Header=BB186_4 Depth=1
	s_wait_xcnt 0x0
	s_or_b32 exec_lo, exec_lo, s30
	v_mov_b32_e32 v5, 0
	s_wait_loadcnt_dscnt 0x0
	ds_store_b64 v102, v[8:9] offset:4224
	s_and_saveexec_b32 s30, s16
	s_cbranch_execz .LBB186_43
; %bb.42:                               ;   in Loop: Header=BB186_4 Depth=1
	v_add_nc_u64_e32 v[4:5], s[48:49], v[2:3]
	flat_load_b64 v[4:5], v[4:5]
.LBB186_43:                             ;   in Loop: Header=BB186_4 Depth=1
	s_wait_xcnt 0x0
	s_or_b32 exec_lo, exec_lo, s30
	v_add_nc_u64_e32 v[2:3], v[2:3], v[34:35]
	s_wait_loadcnt_dscnt 0x0
	ds_store_b64 v102, v[4:5] offset:6336
	v_lshl_add_u64 v[2:3], s[58:59], 3, v[2:3]
	s_delay_alu instid0(VALU_DEP_1) | instskip(NEXT) | instid1(VALU_DEP_1)
	v_add_nc_u64_e32 v[2:3], 0x108, v[2:3]
	v_dual_cndmask_b32 v1, v3, v1, s12 :: v_dual_cndmask_b32 v0, v2, v0, s12
.LBB186_44:                             ;   in Loop: Header=BB186_4 Depth=1
	s_wait_dscnt 0x0
	s_barrier_signal -1
	s_barrier_wait -1
	s_wait_xcnt 0x0
	s_and_saveexec_b32 s30, s7
	s_cbranch_execnz .LBB186_79
; %bb.45:                               ;   in Loop: Header=BB186_4 Depth=1
	s_or_b32 exec_lo, exec_lo, s30
	s_and_saveexec_b32 s30, s8
	s_cbranch_execnz .LBB186_80
.LBB186_46:                             ;   in Loop: Header=BB186_4 Depth=1
	s_or_b32 exec_lo, exec_lo, s30
	s_and_saveexec_b32 s30, s9
	s_cbranch_execnz .LBB186_81
.LBB186_47:                             ;   in Loop: Header=BB186_4 Depth=1
	s_or_b32 exec_lo, exec_lo, s30
	s_and_saveexec_b32 s30, s10
	s_cbranch_execz .LBB186_49
.LBB186_48:                             ;   in Loop: Header=BB186_4 Depth=1
	ds_load_b64 v[2:3], v104 offset:528
	s_wait_dscnt 0x0
	ds_store_b64 v90, v[2:3] offset:24
.LBB186_49:                             ;   in Loop: Header=BB186_4 Depth=1
	s_or_b32 exec_lo, exec_lo, s30
	s_wait_dscnt 0x0
	s_barrier_signal -1
	s_barrier_wait -1
	ds_load_b64 v[14:15], v103
	ds_load_b128 v[2:5], v91 offset:256
	ds_load_2addr_b64 v[6:9], v104 offset1:33
	ds_load_b128 v[10:13], v91 offset:272
	ds_load_b64 v[18:19], v104 offset:528
	s_wait_dscnt 0x0
	s_barrier_signal -1
	s_barrier_wait -1
	v_pk_mul_f32 v[20:21], v[2:3], v[14:15] op_sel:[1,1] op_sel_hi:[0,1]
	v_dual_mov_b32 v22, v5 :: v_dual_mov_b32 v23, v4
	v_pk_mul_f32 v[24:25], v[10:11], v[8:9] op_sel:[1,1] op_sel_hi:[0,1]
	v_dual_mov_b32 v28, v13 :: v_dual_mov_b32 v29, v12
	s_delay_alu instid0(VALU_DEP_4) | instskip(NEXT) | instid1(VALU_DEP_4)
	v_pk_fma_f32 v[26:27], v[2:3], v[14:15], v[20:21] op_sel_hi:[1,0,1]
	v_pk_mul_f32 v[22:23], v[22:23], v[6:7] op_sel:[0,1]
	v_pk_fma_f32 v[2:3], v[2:3], v[14:15], v[20:21] neg_lo:[0,0,1] neg_hi:[0,0,1]
	v_pk_fma_f32 v[20:21], v[10:11], v[8:9], v[24:25] op_sel_hi:[1,0,1]
	s_delay_alu instid0(VALU_DEP_3)
	v_pk_fma_f32 v[14:15], v[4:5], v[6:7], v[22:23] op_sel_hi:[1,0,1]
	v_mov_b32_e32 v3, v27
	v_pk_fma_f32 v[4:5], v[4:5], v[6:7], v[22:23] neg_lo:[0,0,1] neg_hi:[0,0,1]
	v_pk_mul_f32 v[26:27], v[28:29], v[18:19] op_sel:[0,1]
	v_pk_fma_f32 v[6:7], v[10:11], v[8:9], v[24:25] neg_lo:[0,0,1] neg_hi:[0,0,1]
	v_mov_b32_e32 v5, v15
	v_pk_add_f32 v[2:3], v[2:3], 0 op_sel_hi:[1,0]
	s_delay_alu instid0(VALU_DEP_4) | instskip(SKIP_1) | instid1(VALU_DEP_3)
	v_pk_fma_f32 v[8:9], v[12:13], v[18:19], v[26:27] op_sel_hi:[1,0,1]
	v_mov_b32_e32 v7, v21
	v_pk_add_f32 v[2:3], v[2:3], v[4:5]
	v_pk_fma_f32 v[4:5], v[12:13], v[18:19], v[26:27] neg_lo:[0,0,1] neg_hi:[0,0,1]
	s_delay_alu instid0(VALU_DEP_4) | instskip(NEXT) | instid1(VALU_DEP_3)
	v_mov_b32_e32 v5, v9
	v_pk_add_f32 v[2:3], v[2:3], v[6:7]
	s_delay_alu instid0(VALU_DEP_1)
	v_pk_add_f32 v[2:3], v[2:3], v[4:5]
	ds_store_b64 v92, v[2:3]
	s_wait_dscnt 0x0
	s_barrier_signal -1
	s_barrier_wait -1
	s_and_saveexec_b32 s30, s17
	s_cbranch_execz .LBB186_51
; %bb.50:                               ;   in Loop: Header=BB186_4 Depth=1
	ds_load_2addr_b64 v[2:5], v89 offset1:7
	ds_load_2addr_b64 v[6:9], v89 offset0:1 offset1:2
	ds_load_2addr_b64 v[10:13], v89 offset0:3 offset1:4
	;; [unrolled: 1-line block ×3, first 2 shown]
	s_wait_dscnt 0x2
	v_dual_add_f32 v2, v6, v2 :: v_dual_add_f32 v3, v7, v3
	s_delay_alu instid0(VALU_DEP_1) | instskip(SKIP_1) | instid1(VALU_DEP_1)
	v_dual_add_f32 v2, v8, v2 :: v_dual_add_f32 v3, v9, v3
	s_wait_dscnt 0x1
	v_dual_add_f32 v2, v2, v10 :: v_dual_add_f32 v3, v3, v11
	s_delay_alu instid0(VALU_DEP_1) | instskip(SKIP_1) | instid1(VALU_DEP_1)
	v_dual_add_f32 v2, v2, v12 :: v_dual_add_f32 v3, v3, v13
	s_wait_dscnt 0x0
	v_dual_add_f32 v2, v2, v18 :: v_dual_add_f32 v3, v3, v19
	s_delay_alu instid0(VALU_DEP_1) | instskip(NEXT) | instid1(VALU_DEP_1)
	v_pk_add_f32 v[2:3], v[2:3], v[20:21]
	v_pk_add_f32 v[50:51], v[2:3], v[4:5]
.LBB186_51:                             ;   in Loop: Header=BB186_4 Depth=1
	s_or_b32 exec_lo, exec_lo, s30
	v_lshl_add_u64 v[18:19], s[52:53], 3, v[0:1]
	s_and_not1_b32 vcc_lo, exec_lo, s99
	s_mov_b32 s30, -1
	s_barrier_signal -1
	s_barrier_wait -1
	s_cbranch_vccnz .LBB186_53
; %bb.52:                               ;   in Loop: Header=BB186_4 Depth=1
	v_add_nc_u64_e32 v[0:1], s[44:45], v[18:19]
	s_mov_b32 s30, 0
	s_delay_alu instid0(VALU_DEP_1) | instskip(NEXT) | instid1(VALU_DEP_1)
	v_add_nc_u64_e32 v[2:3], s[44:45], v[0:1]
	v_add_nc_u64_e32 v[4:5], s[44:45], v[2:3]
	s_clause 0x3
	flat_load_b64 v[6:7], v[18:19]
	flat_load_b64 v[0:1], v[0:1]
	;; [unrolled: 1-line block ×4, first 2 shown]
	s_wait_loadcnt_dscnt 0x303
	ds_store_b64 v102, v[6:7]
	s_wait_loadcnt_dscnt 0x203
	ds_store_b64 v102, v[0:1] offset:2112
	s_wait_loadcnt_dscnt 0x103
	ds_store_b64 v102, v[2:3] offset:4224
	;; [unrolled: 2-line block ×3, first 2 shown]
.LBB186_53:                             ;   in Loop: Header=BB186_4 Depth=1
	s_and_not1_b32 vcc_lo, exec_lo, s30
	s_cbranch_vccnz .LBB186_63
; %bb.54:                               ;   in Loop: Header=BB186_4 Depth=1
	s_wait_xcnt 0x2
	v_lshl_add_u64 v[0:1], v[42:43], 3, v[18:19]
	s_wait_xcnt 0x0
	v_dual_mov_b32 v4, 0 :: v_dual_mov_b32 v2, 0
	v_mov_b32_e32 v3, 0
	s_delay_alu instid0(VALU_DEP_3) | instskip(NEXT) | instid1(VALU_DEP_1)
	v_lshl_add_u64 v[0:1], s[36:37], 3, v[0:1]
	v_add_nc_u64_e32 v[0:1], s[90:91], v[0:1]
	s_delay_alu instid0(VALU_DEP_1)
	v_dual_cndmask_b32 v1, v1, v19, s12 :: v_dual_cndmask_b32 v0, v0, v18, s12
	s_and_saveexec_b32 s30, s3
	s_cbranch_execz .LBB186_56
; %bb.55:                               ;   in Loop: Header=BB186_4 Depth=1
	flat_load_b64 v[2:3], v[0:1]
.LBB186_56:                             ;   in Loop: Header=BB186_4 Depth=1
	s_wait_xcnt 0x0
	s_or_b32 exec_lo, exec_lo, s30
	v_mov_b32_e32 v5, 0
	s_wait_loadcnt_dscnt 0x0
	ds_store_b64 v102, v[2:3]
	s_and_saveexec_b32 s30, s4
	s_cbranch_execz .LBB186_58
; %bb.57:                               ;   in Loop: Header=BB186_4 Depth=1
	v_add_nc_u64_e32 v[2:3], s[44:45], v[0:1]
	flat_load_b64 v[4:5], v[2:3]
.LBB186_58:                             ;   in Loop: Header=BB186_4 Depth=1
	s_wait_xcnt 0x0
	s_or_b32 exec_lo, exec_lo, s30
	v_dual_mov_b32 v2, 0 :: v_dual_mov_b32 v6, 0
	v_mov_b32_e32 v7, 0
	s_wait_loadcnt_dscnt 0x0
	ds_store_b64 v102, v[4:5] offset:2112
	s_and_saveexec_b32 s30, s5
	s_cbranch_execz .LBB186_60
; %bb.59:                               ;   in Loop: Header=BB186_4 Depth=1
	v_add_nc_u64_e32 v[4:5], s[46:47], v[0:1]
	flat_load_b64 v[6:7], v[4:5]
.LBB186_60:                             ;   in Loop: Header=BB186_4 Depth=1
	s_wait_xcnt 0x0
	s_or_b32 exec_lo, exec_lo, s30
	v_mov_b32_e32 v3, 0
	s_wait_loadcnt_dscnt 0x0
	ds_store_b64 v102, v[6:7] offset:4224
	s_and_saveexec_b32 s30, s6
	s_cbranch_execz .LBB186_62
; %bb.61:                               ;   in Loop: Header=BB186_4 Depth=1
	v_add_nc_u64_e32 v[2:3], s[48:49], v[0:1]
	flat_load_b64 v[2:3], v[2:3]
.LBB186_62:                             ;   in Loop: Header=BB186_4 Depth=1
	s_wait_xcnt 0x0
	s_or_b32 exec_lo, exec_lo, s30
	v_add_nc_u64_e32 v[0:1], v[0:1], v[34:35]
	s_wait_loadcnt_dscnt 0x0
	ds_store_b64 v102, v[2:3] offset:6336
	v_lshl_add_u64 v[0:1], s[58:59], 3, v[0:1]
	s_delay_alu instid0(VALU_DEP_1) | instskip(NEXT) | instid1(VALU_DEP_1)
	v_add_nc_u64_e32 v[0:1], 0x108, v[0:1]
	v_dual_cndmask_b32 v19, v1, v19, s12 :: v_dual_cndmask_b32 v18, v0, v18, s12
.LBB186_63:                             ;   in Loop: Header=BB186_4 Depth=1
	s_wait_dscnt 0x0
	s_barrier_signal -1
	s_barrier_wait -1
	ds_load_b64 v[8:9], v102
	ds_load_b64 v[10:11], v105
	ds_load_2addr_b64 v[20:23], v101 offset0:8 offset1:16
	ds_load_b64 v[12:13], v102 offset:2112
	ds_load_b64 v[24:25], v102 offset:4224
	;; [unrolled: 1-line block ×4, first 2 shown]
	s_wait_xcnt 0x0
	ds_load_2addr_b64 v[4:7], v93 offset1:1
	ds_load_2addr_b64 v[0:3], v93 offset0:2 offset1:3
	s_wait_dscnt 0x7
	v_pk_mul_f32 v[14:15], v[10:11], v[8:9] op_sel:[1,1] op_sel_hi:[0,1]
	s_wait_dscnt 0x5
	v_pk_mul_f32 v[30:31], v[20:21], v[12:13] op_sel:[1,1] op_sel_hi:[0,1]
	;; [unrolled: 2-line block ×3, first 2 shown]
	v_pk_fma_f32 v[52:53], v[10:11], v[8:9], v[14:15] op_sel_hi:[1,0,1]
	v_pk_fma_f32 v[8:9], v[10:11], v[8:9], v[14:15] neg_lo:[0,0,1] neg_hi:[0,0,1]
	v_pk_fma_f32 v[10:11], v[20:21], v[12:13], v[30:31] op_sel_hi:[1,0,1]
	v_pk_fma_f32 v[20:21], v[20:21], v[12:13], v[30:31] neg_lo:[0,0,1] neg_hi:[0,0,1]
	v_pk_fma_f32 v[30:31], v[22:23], v[24:25], v[54:55] op_sel_hi:[1,0,1]
	v_mov_b32_e32 v9, v53
	s_wait_dscnt 0x2
	v_pk_mul_f32 v[52:53], v[28:29], v[26:27] op_sel:[1,1] op_sel_hi:[0,1]
	v_mov_b32_e32 v21, v11
	v_pk_fma_f32 v[22:23], v[22:23], v[24:25], v[54:55] neg_lo:[0,0,1] neg_hi:[0,0,1]
	v_pk_add_f32 v[56:57], v[8:9], 0 op_sel_hi:[1,0]
	ds_load_b128 v[12:15], v91 offset:256
	ds_load_b128 v[8:11], v91 offset:272
	v_pk_fma_f32 v[24:25], v[28:29], v[26:27], v[52:53] op_sel_hi:[1,0,1]
	v_mov_b32_e32 v23, v31
	v_pk_fma_f32 v[26:27], v[28:29], v[26:27], v[52:53] neg_lo:[0,0,1] neg_hi:[0,0,1]
	v_pk_add_f32 v[20:21], v[56:57], v[20:21]
	s_wait_dscnt 0x0
	v_mov_b32_e32 v27, v25
	s_barrier_signal -1
	s_barrier_wait -1
	v_pk_add_f32 v[20:21], v[20:21], v[22:23]
	s_delay_alu instid0(VALU_DEP_1)
	v_pk_add_f32 v[20:21], v[20:21], v[26:27]
	ds_store_b64 v92, v[20:21]
	s_wait_dscnt 0x0
	s_barrier_signal -1
	s_barrier_wait -1
	s_and_saveexec_b32 s30, s17
	s_cbranch_execz .LBB186_65
; %bb.64:                               ;   in Loop: Header=BB186_4 Depth=1
	ds_load_2addr_b64 v[20:23], v89 offset1:1
	ds_load_2addr_b64 v[24:27], v89 offset0:2 offset1:3
	ds_load_2addr_b64 v[28:31], v89 offset0:4 offset1:5
	s_wait_dscnt 0x2
	v_pk_add_f32 v[20:21], v[50:51], v[20:21]
	s_delay_alu instid0(VALU_DEP_1) | instskip(SKIP_1) | instid1(VALU_DEP_1)
	v_pk_add_f32 v[20:21], v[20:21], v[22:23]
	s_wait_dscnt 0x1
	v_pk_add_f32 v[24:25], v[20:21], v[24:25]
	ds_load_2addr_b64 v[20:23], v89 offset0:6 offset1:7
	v_pk_add_f32 v[24:25], v[24:25], v[26:27]
	s_wait_dscnt 0x1
	s_delay_alu instid0(VALU_DEP_1) | instskip(NEXT) | instid1(VALU_DEP_1)
	v_pk_add_f32 v[24:25], v[24:25], v[28:29]
	v_pk_add_f32 v[24:25], v[24:25], v[30:31]
	s_wait_dscnt 0x0
	s_delay_alu instid0(VALU_DEP_1) | instskip(NEXT) | instid1(VALU_DEP_1)
	v_pk_add_f32 v[20:21], v[24:25], v[20:21]
	v_pk_add_f32 v[50:51], v[20:21], v[22:23]
.LBB186_65:                             ;   in Loop: Header=BB186_4 Depth=1
	s_or_b32 exec_lo, exec_lo, s30
	v_pk_mul_f32 v[20:21], v[12:13], v[4:5] op_sel:[1,1] op_sel_hi:[0,1]
	v_dual_mov_b32 v22, v15 :: v_dual_mov_b32 v23, v14
	v_dual_mov_b32 v24, v7 :: v_dual_mov_b32 v30, v11
	s_delay_alu instid0(VALU_DEP_3) | instskip(SKIP_2) | instid1(VALU_DEP_4)
	v_pk_fma_f32 v[28:29], v[12:13], v[4:5], v[20:21] op_sel_hi:[1,0,1]
	v_pk_fma_f32 v[4:5], v[12:13], v[4:5], v[20:21] neg_lo:[0,0,1] neg_hi:[0,0,1]
	v_pk_mul_f32 v[26:27], v[8:9], v[0:1] op_sel:[1,1] op_sel_hi:[0,1]
	v_pk_mul_f32 v[22:23], v[22:23], v[24:25] op_sel_hi:[1,0]
	s_delay_alu instid0(VALU_DEP_4) | instskip(NEXT) | instid1(VALU_DEP_3)
	v_dual_mov_b32 v31, v10 :: v_dual_mov_b32 v5, v29
	v_pk_fma_f32 v[24:25], v[8:9], v[0:1], v[26:27] op_sel_hi:[1,0,1]
	s_delay_alu instid0(VALU_DEP_3)
	v_pk_fma_f32 v[20:21], v[14:15], v[6:7], v[22:23] op_sel_hi:[1,0,1]
	v_mov_b32_e32 v12, v3
	v_pk_fma_f32 v[6:7], v[14:15], v[6:7], v[22:23] neg_lo:[0,0,1] neg_hi:[0,0,1]
	v_pk_add_f32 v[4:5], v[4:5], 0 op_sel_hi:[1,0]
	v_pk_fma_f32 v[0:1], v[8:9], v[0:1], v[26:27] neg_lo:[0,0,1] neg_hi:[0,0,1]
	v_mov_b32_e32 v7, v21
	v_pk_mul_f32 v[12:13], v[30:31], v[12:13] op_sel_hi:[1,0]
	s_barrier_signal -1
	s_barrier_wait -1
	s_delay_alu instid0(VALU_DEP_2) | instskip(NEXT) | instid1(VALU_DEP_2)
	v_pk_add_f32 v[4:5], v[4:5], v[6:7]
	v_pk_fma_f32 v[8:9], v[10:11], v[2:3], v[12:13] op_sel_hi:[1,0,1]
	v_mov_b32_e32 v1, v25
	v_pk_fma_f32 v[2:3], v[10:11], v[2:3], v[12:13] neg_lo:[0,0,1] neg_hi:[0,0,1]
	s_delay_alu instid0(VALU_DEP_3) | instskip(NEXT) | instid1(VALU_DEP_3)
	v_mov_b32_e32 v3, v9
	v_pk_add_f32 v[0:1], v[4:5], v[0:1]
	s_delay_alu instid0(VALU_DEP_1)
	v_pk_add_f32 v[0:1], v[0:1], v[2:3]
	ds_store_b64 v92, v[0:1]
	s_wait_dscnt 0x0
	s_barrier_signal -1
	s_barrier_wait -1
	s_and_saveexec_b32 s30, s11
	s_cbranch_execz .LBB186_67
; %bb.66:                               ;   in Loop: Header=BB186_4 Depth=1
	ds_load_2addr_b64 v[0:3], v89 offset1:1
	ds_load_2addr_b64 v[4:7], v89 offset0:2 offset1:3
	ds_load_2addr_b64 v[8:11], v89 offset0:4 offset1:5
	s_wait_dscnt 0x2
	v_pk_add_f32 v[0:1], v[50:51], v[0:1]
	s_delay_alu instid0(VALU_DEP_1) | instskip(SKIP_1) | instid1(VALU_DEP_1)
	v_pk_add_f32 v[0:1], v[0:1], v[2:3]
	s_wait_dscnt 0x1
	v_pk_add_f32 v[4:5], v[0:1], v[4:5]
	ds_load_2addr_b64 v[0:3], v89 offset0:6 offset1:7
	v_pk_add_f32 v[4:5], v[4:5], v[6:7]
	s_wait_dscnt 0x1
	s_delay_alu instid0(VALU_DEP_1) | instskip(NEXT) | instid1(VALU_DEP_1)
	v_pk_add_f32 v[4:5], v[4:5], v[8:9]
	v_pk_add_f32 v[4:5], v[4:5], v[10:11]
	s_wait_dscnt 0x0
	s_delay_alu instid0(VALU_DEP_1) | instskip(NEXT) | instid1(VALU_DEP_1)
	v_pk_add_f32 v[0:1], v[4:5], v[0:1]
	v_pk_add_f32 v[50:51], v[0:1], v[2:3]
.LBB186_67:                             ;   in Loop: Header=BB186_4 Depth=1
	s_or_b32 exec_lo, exec_lo, s30
	s_mul_u64 s[96:97], s[38:39], s[28:29]
	s_and_not1_b32 vcc_lo, exec_lo, s100
	s_lshl_b64 s[96:97], s[96:97], 3
	s_delay_alu instid0(SALU_CYCLE_1)
	s_add_nc_u64 s[96:97], s[40:41], s[96:97]
	s_barrier_signal -1
	s_barrier_wait -1
	s_cbranch_vccnz .LBB186_74
; %bb.68:                               ;   in Loop: Header=BB186_4 Depth=1
	v_lshl_add_u64 v[0:1], s[56:57], 3, v[18:19]
	v_dual_mov_b32 v3, v35 :: v_dual_lshlrev_b32 v2, 3, v32
	v_lshl_add_u64 v[52:53], s[54:55], 3, v[16:17]
	s_mov_b32 s30, 0
	s_delay_alu instid0(VALU_DEP_3) | instskip(SKIP_1) | instid1(VALU_DEP_1)
	v_lshl_add_u64 v[0:1], v[44:45], 3, v[0:1]
	s_mov_b32 s29, s33
	v_lshl_add_u64 v[0:1], v[46:47], 3, v[0:1]
	s_delay_alu instid0(VALU_DEP_1) | instskip(SKIP_1) | instid1(VALU_DEP_1)
	v_add_nc_u64_e32 v[2:3], v[0:1], v[2:3]
	v_lshl_add_u64 v[0:1], s[36:37], 3, v[0:1]
	v_add_nc_u64_e32 v[0:1], s[90:91], v[0:1]
	s_delay_alu instid0(VALU_DEP_3) | instskip(NEXT) | instid1(VALU_DEP_1)
	v_add_nc_u64_e32 v[2:3], s[92:93], v[2:3]
	v_dual_cndmask_b32 v55, v3, v1, s1 :: v_dual_cndmask_b32 v54, v2, v0, s1
	s_branch .LBB186_70
.LBB186_69:                             ;   in Loop: Header=BB186_70 Depth=2
	s_wait_xcnt 0x0
	s_or_b32 exec_lo, exec_lo, s103
	v_dual_mul_f32 v107, v5, v61 :: v_dual_mul_f32 v5, v5, v60
	v_dual_mul_f32 v108, v7, v63 :: v_dual_mul_f32 v7, v7, v62
	s_delay_alu instid0(VALU_DEP_2) | instskip(NEXT) | instid1(VALU_DEP_3)
	v_dual_mul_f32 v109, v1, v59 :: v_dual_fma_f32 v60, v4, v60, -v107
	v_dual_mul_f32 v1, v1, v58 :: v_dual_fmac_f32 v5, v4, v61
	s_delay_alu instid0(VALU_DEP_3) | instskip(NEXT) | instid1(VALU_DEP_3)
	v_dual_mul_f32 v4, v3, v57 :: v_dual_fma_f32 v61, v6, v62, -v108
	v_add_f32_e32 v50, v50, v60
	v_dual_fmac_f32 v7, v6, v63 :: v_dual_mul_f32 v3, v3, v56
	s_delay_alu instid0(VALU_DEP_4) | instskip(NEXT) | instid1(VALU_DEP_3)
	v_dual_add_f32 v5, v51, v5 :: v_dual_fma_f32 v6, v0, v58, -v109
	v_dual_add_f32 v50, v50, v61 :: v_dual_fmac_f32 v1, v0, v59
	s_delay_alu instid0(VALU_DEP_2) | instskip(NEXT) | instid1(VALU_DEP_2)
	v_dual_fma_f32 v4, v2, v56, -v4 :: v_dual_add_f32 v0, v5, v7
	v_dual_mul_f32 v5, v13, v73 :: v_dual_add_f32 v6, v50, v6
	v_dual_fmac_f32 v3, v2, v57 :: v_dual_mul_f32 v2, v13, v72
	s_delay_alu instid0(VALU_DEP_3) | instskip(NEXT) | instid1(VALU_DEP_3)
	v_add_f32_e32 v0, v0, v1
	v_dual_mul_f32 v1, v15, v69 :: v_dual_add_f32 v4, v6, v4
	s_delay_alu instid0(VALU_DEP_3) | instskip(NEXT) | instid1(VALU_DEP_2)
	v_dual_fma_f32 v5, v12, v72, -v5 :: v_dual_fmac_f32 v2, v12, v73
	v_dual_add_f32 v0, v0, v3 :: v_dual_fma_f32 v1, v14, v68, -v1
	s_delay_alu instid0(VALU_DEP_2) | instskip(NEXT) | instid1(VALU_DEP_2)
	v_dual_mul_f32 v6, v15, v68 :: v_dual_add_f32 v3, v4, v5
	v_dual_mul_f32 v4, v9, v67 :: v_dual_add_f32 v7, v0, v2
	v_mov_b32_e32 v13, v30
	s_delay_alu instid0(VALU_DEP_3) | instskip(NEXT) | instid1(VALU_DEP_4)
	v_fmac_f32_e32 v6, v14, v69
	v_dual_add_f32 v0, v3, v1 :: v_dual_mul_f32 v3, v9, v66
	s_delay_alu instid0(VALU_DEP_4) | instskip(SKIP_1) | instid1(VALU_DEP_3)
	v_dual_fma_f32 v2, v8, v66, -v4 :: v_dual_mul_f32 v4, v11, v65
	v_mul_f32_e32 v5, v11, v64
	v_dual_add_f32 v1, v7, v6 :: v_dual_fmac_f32 v3, v8, v67
	s_delay_alu instid0(VALU_DEP_3) | instskip(NEXT) | instid1(VALU_DEP_3)
	v_dual_mov_b32 v6, v79 :: v_dual_fma_f32 v4, v10, v64, -v4
	v_dual_fmac_f32 v5, v10, v65 :: v_dual_mov_b32 v8, v77
	s_delay_alu instid0(VALU_DEP_3) | instskip(NEXT) | instid1(VALU_DEP_3)
	v_pk_add_f32 v[0:1], v[0:1], v[2:3]
	v_pk_mul_f32 v[2:3], v[20:21], v[6:7] op_sel:[1,0] op_sel_hi:[0,0]
	v_dual_mov_b32 v6, v23 :: v_dual_mov_b32 v7, v22
	v_add_nc_u64_e32 v[54:55], s[64:65], v[54:55]
	s_delay_alu instid0(VALU_DEP_4) | instskip(NEXT) | instid1(VALU_DEP_4)
	v_pk_add_f32 v[0:1], v[0:1], v[4:5]
	v_pk_fma_f32 v[10:11], v[20:21], v[78:79], v[2:3] op_sel_hi:[1,0,1]
	v_pk_fma_f32 v[2:3], v[20:21], v[78:79], v[2:3] neg_lo:[0,0,1] neg_hi:[0,0,1]
	v_pk_mul_f32 v[4:5], v[6:7], v[8:9] op_sel_hi:[1,0]
	v_mov_b32_e32 v6, v75
	s_add_co_i32 s29, s29, -1
	v_mov_b32_e32 v3, v11
	s_add_co_i32 s30, s30, 64
	v_pk_fma_f32 v[8:9], v[22:23], v[76:77], v[4:5] op_sel_hi:[1,0,1]
	v_pk_mul_f32 v[6:7], v[16:17], v[6:7] op_sel:[1,0] op_sel_hi:[0,0]
	v_mov_b32_e32 v8, v19
	v_pk_add_f32 v[0:1], v[0:1], v[2:3]
	v_pk_fma_f32 v[2:3], v[22:23], v[76:77], v[4:5] neg_lo:[0,0,1] neg_hi:[0,0,1]
	v_mov_b32_e32 v3, v9
	v_pk_fma_f32 v[4:5], v[16:17], v[74:75], v[6:7] op_sel_hi:[1,0,1]
	v_dual_mov_b32 v9, v18 :: v_dual_mov_b32 v4, v71
	s_cmp_eq_u32 s29, 0
	s_delay_alu instid0(VALU_DEP_3)
	v_pk_add_f32 v[0:1], v[0:1], v[2:3]
	v_pk_fma_f32 v[2:3], v[16:17], v[74:75], v[6:7] neg_lo:[0,0,1] neg_hi:[0,0,1]
	v_mov_b32_e32 v3, v5
	v_pk_mul_f32 v[4:5], v[8:9], v[4:5] op_sel_hi:[1,0]
	v_dual_mov_b32 v6, v27 :: v_dual_mov_b32 v7, v26
	s_wait_storecnt 0x0
	s_delay_alu instid0(VALU_DEP_3) | instskip(NEXT) | instid1(VALU_DEP_3)
	v_pk_add_f32 v[0:1], v[0:1], v[2:3]
	v_pk_fma_f32 v[2:3], v[18:19], v[70:71], v[4:5] op_sel_hi:[1,0,1]
	v_mov_b32_e32 v2, v87
	v_pk_fma_f32 v[4:5], v[18:19], v[70:71], v[4:5] neg_lo:[0,0,1] neg_hi:[0,0,1]
	v_dual_mov_b32 v8, v85 :: v_dual_mov_b32 v12, v31
	s_delay_alu instid0(VALU_DEP_4) | instskip(NEXT) | instid1(VALU_DEP_4)
	v_mov_b32_e32 v5, v3
	v_pk_mul_f32 v[2:3], v[24:25], v[2:3] op_sel:[1,0] op_sel_hi:[0,0]
	s_barrier_signal -1
	s_delay_alu instid0(VALU_DEP_3)
	v_pk_mul_f32 v[6:7], v[6:7], v[8:9] op_sel_hi:[1,0]
	v_mov_b32_e32 v8, v83
	v_pk_add_f32 v[0:1], v[0:1], v[4:5]
	v_pk_fma_f32 v[4:5], v[24:25], v[86:87], v[2:3] neg_lo:[0,0,1] neg_hi:[0,0,1]
	v_pk_fma_f32 v[2:3], v[24:25], v[86:87], v[2:3] op_sel_hi:[1,0,1]
	v_pk_fma_f32 v[10:11], v[26:27], v[84:85], v[6:7] op_sel_hi:[1,0,1]
	v_pk_mul_f32 v[8:9], v[28:29], v[8:9] op_sel:[1,0] op_sel_hi:[0,0]
	v_mov_b32_e32 v2, v81
	v_pk_fma_f32 v[6:7], v[26:27], v[84:85], v[6:7] neg_lo:[0,0,1] neg_hi:[0,0,1]
	s_delay_alu instid0(VALU_DEP_4) | instskip(NEXT) | instid1(VALU_DEP_4)
	v_dual_mov_b32 v5, v3 :: v_dual_mov_b32 v7, v11
	v_pk_fma_f32 v[10:11], v[28:29], v[82:83], v[8:9] op_sel_hi:[1,0,1]
	s_delay_alu instid0(VALU_DEP_4) | instskip(SKIP_1) | instid1(VALU_DEP_3)
	v_pk_mul_f32 v[2:3], v[12:13], v[2:3] op_sel_hi:[1,0]
	s_barrier_wait -1
	v_pk_add_f32 v[0:1], v[0:1], v[4:5]
	v_pk_fma_f32 v[4:5], v[28:29], v[82:83], v[8:9] neg_lo:[0,0,1] neg_hi:[0,0,1]
	s_delay_alu instid0(VALU_DEP_3) | instskip(SKIP_1) | instid1(VALU_DEP_4)
	v_pk_fma_f32 v[8:9], v[30:31], v[80:81], v[2:3] op_sel_hi:[1,0,1]
	v_mov_b32_e32 v5, v11
	v_pk_add_f32 v[0:1], v[0:1], v[6:7]
	v_pk_fma_f32 v[2:3], v[30:31], v[80:81], v[2:3] neg_lo:[0,0,1] neg_hi:[0,0,1]
	s_delay_alu instid0(VALU_DEP_4) | instskip(NEXT) | instid1(VALU_DEP_3)
	v_mov_b32_e32 v3, v9
	v_pk_add_f32 v[0:1], v[0:1], v[4:5]
	s_delay_alu instid0(VALU_DEP_1)
	v_pk_add_f32 v[50:51], v[0:1], v[2:3]
	s_cbranch_scc1 .LBB186_74
.LBB186_70:                             ;   Parent Loop BB186_4 Depth=1
                                        ; =>  This Inner Loop Header: Depth=2
	s_and_saveexec_b32 s103, s0
	s_cbranch_execz .LBB186_72
; %bb.71:                               ;   in Loop: Header=BB186_70 Depth=2
	s_mul_u64 vcc, s[34:35], s[30:31]
	s_delay_alu instid0(SALU_CYCLE_1)
	v_lshl_add_u64 v[0:1], vcc, 3, v[52:53]
	flat_load_b64 v[0:1], v[0:1]
	s_wait_loadcnt_dscnt 0x0
	ds_store_b64 v94, v[0:1]
.LBB186_72:                             ;   in Loop: Header=BB186_70 Depth=2
	s_wait_xcnt 0x0
	s_or_b32 exec_lo, exec_lo, s103
	v_add_nc_u64_e32 v[0:1], s[60:61], v[54:55]
	v_add_nc_u64_e32 v[2:3], s[62:63], v[54:55]
	;; [unrolled: 1-line block ×3, first 2 shown]
	s_wait_dscnt 0x0
	s_barrier_signal -1
	s_barrier_wait -1
	s_clause 0x3
	flat_load_b64 v[60:61], v[54:55]
	flat_load_b64 v[62:63], v[0:1]
	;; [unrolled: 1-line block ×4, first 2 shown]
	ds_load_b64 v[8:9], v88
	s_wait_xcnt 0x0
	ds_load_b128 v[4:7], v95
	v_add_nc_u64_e32 v[12:13], s[46:47], v[54:55]
	v_add_nc_u64_e32 v[20:21], s[68:69], v[54:55]
	;; [unrolled: 1-line block ×3, first 2 shown]
	ds_load_b128 v[0:3], v95 offset:16
	v_add_nc_u64_e32 v[28:29], s[74:75], v[54:55]
	v_add_nc_u64_e32 v[30:31], s[76:77], v[54:55]
	;; [unrolled: 1-line block ×4, first 2 shown]
	s_wait_loadcnt_dscnt 0x202
	v_dual_mul_f32 v14, v9, v63 :: v_dual_mul_f32 v15, v9, v62
	v_dual_mul_f32 v10, v9, v61 :: v_dual_mul_f32 v11, v9, v60
	s_wait_loadcnt 0x1
	v_dual_mul_f32 v16, v9, v59 :: v_dual_mul_f32 v17, v9, v58
	s_wait_loadcnt 0x0
	v_dual_mul_f32 v18, v9, v57 :: v_dual_mul_f32 v19, v8, v57
	v_dual_fma_f32 v10, v8, v60, -v10 :: v_dual_fmac_f32 v11, v8, v61
	v_dual_fma_f32 v14, v8, v62, -v14 :: v_dual_fmac_f32 v15, v8, v63
	;; [unrolled: 1-line block ×3, first 2 shown]
	s_delay_alu instid0(VALU_DEP_4)
	v_dual_fma_f32 v18, v8, v56, -v18 :: v_dual_fmac_f32 v19, v9, v56
	v_add_nc_u64_e32 v[8:9], s[88:89], v[54:55]
	ds_store_2addr_b64 v96, v[10:11], v[14:15] offset1:67
	ds_store_2addr_b64 v96, v[16:17], v[18:19] offset0:134 offset1:201
	s_wait_dscnt 0x0
	s_barrier_signal -1
	s_barrier_wait -1
	ds_load_2addr_b64 v[108:111], v97 offset1:1
	ds_load_2addr_b64 v[112:115], v97 offset0:2 offset1:3
	s_wait_dscnt 0x0
	s_barrier_signal -1
	s_barrier_wait -1
	s_clause 0x3
	flat_load_b64 v[72:73], v[12:13]
	flat_load_b64 v[68:69], v[8:9]
	;; [unrolled: 1-line block ×4, first 2 shown]
	s_wait_xcnt 0x2
	ds_load_b64 v[8:9], v88
	ds_load_b128 v[12:15], v95 offset:128
	v_add_nc_u64_e32 v[16:17], s[72:73], v[54:55]
	v_add_nc_u64_e32 v[18:19], s[86:87], v[54:55]
	v_pk_add_f32 v[108:109], v[108:109], 0 op_sel_hi:[1,0]
	s_delay_alu instid0(VALU_DEP_1) | instskip(NEXT) | instid1(VALU_DEP_1)
	v_pk_add_f32 v[108:109], v[108:109], v[110:111]
	v_pk_add_f32 v[108:109], v[108:109], v[112:113]
	s_delay_alu instid0(VALU_DEP_1)
	v_pk_add_f32 v[108:109], v[108:109], v[114:115]
	s_wait_loadcnt_dscnt 0x301
	s_wait_xcnt 0x1
	v_dual_mul_f32 v10, v9, v73 :: v_dual_mul_f32 v21, v9, v72
	s_wait_loadcnt 0x2
	s_wait_xcnt 0x0
	v_dual_mul_f32 v11, v9, v69 :: v_dual_mul_f32 v23, v9, v68
	s_wait_loadcnt 0x1
	v_dual_mul_f32 v24, v9, v67 :: v_dual_mul_f32 v25, v9, v66
	s_wait_loadcnt 0x0
	v_dual_mul_f32 v26, v9, v65 :: v_dual_mul_f32 v27, v8, v65
	v_dual_fma_f32 v20, v8, v72, -v10 :: v_dual_fmac_f32 v21, v8, v73
	s_delay_alu instid0(VALU_DEP_3) | instskip(SKIP_1) | instid1(VALU_DEP_4)
	v_dual_fma_f32 v22, v8, v68, -v11 :: v_dual_fma_f32 v24, v8, v66, -v24
	v_dual_fmac_f32 v23, v8, v69 :: v_dual_fmac_f32 v25, v8, v67
	v_dual_fma_f32 v26, v8, v64, -v26 :: v_dual_fmac_f32 v27, v9, v64
	ds_load_b128 v[8:11], v95 offset:144
	ds_store_2addr_b64 v96, v[20:21], v[22:23] offset1:67
	ds_store_2addr_b64 v96, v[24:25], v[26:27] offset0:134 offset1:201
	s_wait_dscnt 0x0
	s_barrier_signal -1
	s_barrier_wait -1
	ds_load_2addr_b64 v[116:119], v97 offset1:1
	ds_load_2addr_b64 v[120:123], v97 offset0:2 offset1:3
	s_wait_dscnt 0x0
	s_barrier_signal -1
	s_barrier_wait -1
	s_clause 0x3
	flat_load_b64 v[78:79], v[16:17]
	flat_load_b64 v[76:77], v[18:19]
	;; [unrolled: 1-line block ×4, first 2 shown]
	s_wait_xcnt 0x3
	ds_load_b64 v[16:17], v88
	ds_load_b128 v[20:23], v95 offset:256
	v_add_nc_u64_e32 v[24:25], s[78:79], v[54:55]
	v_add_nc_u64_e32 v[26:27], s[84:85], v[54:55]
	v_pk_add_f32 v[116:117], v[116:117], 0 op_sel_hi:[1,0]
	s_delay_alu instid0(VALU_DEP_1) | instskip(NEXT) | instid1(VALU_DEP_1)
	v_pk_add_f32 v[110:111], v[116:117], v[118:119]
	v_pk_add_f32 v[110:111], v[110:111], v[120:121]
	s_delay_alu instid0(VALU_DEP_1)
	v_pk_add_f32 v[110:111], v[110:111], v[122:123]
	s_wait_loadcnt_dscnt 0x301
	s_wait_xcnt 0x1
	v_dual_mul_f32 v18, v17, v79 :: v_dual_mul_f32 v29, v17, v78
	s_wait_loadcnt 0x2
	s_wait_xcnt 0x0
	v_dual_mul_f32 v19, v17, v77 :: v_dual_mul_f32 v31, v17, v76
	s_wait_loadcnt 0x1
	v_dual_mul_f32 v80, v17, v75 :: v_dual_mul_f32 v81, v17, v74
	s_wait_loadcnt 0x0
	v_dual_mul_f32 v82, v17, v71 :: v_dual_mul_f32 v83, v16, v71
	v_dual_fma_f32 v28, v16, v78, -v18 :: v_dual_fma_f32 v30, v16, v76, -v19
	s_delay_alu instid0(VALU_DEP_3) | instskip(SKIP_1) | instid1(VALU_DEP_4)
	v_dual_fma_f32 v80, v16, v74, -v80 :: v_dual_fmac_f32 v29, v16, v79
	v_dual_fmac_f32 v31, v16, v77 :: v_dual_fmac_f32 v81, v16, v75
	v_dual_fma_f32 v82, v16, v70, -v82 :: v_dual_fmac_f32 v83, v17, v70
	ds_load_b128 v[16:19], v95 offset:272
	ds_store_2addr_b64 v96, v[28:29], v[30:31] offset1:67
	ds_store_2addr_b64 v96, v[80:81], v[82:83] offset0:134 offset1:201
	s_wait_dscnt 0x0
	s_barrier_signal -1
	s_barrier_wait -1
	ds_load_2addr_b64 v[124:127], v97 offset1:1
	ds_load_2addr_b64 v[128:131], v97 offset0:2 offset1:3
	s_wait_dscnt 0x0
	s_barrier_signal -1
	s_barrier_wait -1
	s_clause 0x3
	flat_load_b64 v[86:87], v[24:25]
	flat_load_b64 v[84:85], v[26:27]
	;; [unrolled: 1-line block ×4, first 2 shown]
	ds_load_b64 v[28:29], v88
	s_wait_xcnt 0x2
	ds_load_b128 v[24:27], v95 offset:384
	v_pk_add_f32 v[124:125], v[124:125], 0 op_sel_hi:[1,0]
	s_delay_alu instid0(VALU_DEP_1) | instskip(NEXT) | instid1(VALU_DEP_1)
	v_pk_add_f32 v[116:117], v[124:125], v[126:127]
	v_pk_add_f32 v[112:113], v[116:117], v[128:129]
	s_delay_alu instid0(VALU_DEP_1)
	v_pk_add_f32 v[112:113], v[112:113], v[130:131]
	s_wait_loadcnt_dscnt 0x301
	s_wait_xcnt 0x1
	v_dual_mul_f32 v30, v29, v87 :: v_dual_mul_f32 v133, v29, v86
	s_wait_loadcnt 0x2
	s_wait_xcnt 0x0
	v_dual_mul_f32 v31, v29, v85 :: v_dual_mul_f32 v135, v29, v84
	s_wait_loadcnt 0x1
	v_dual_mul_f32 v107, v29, v83 :: v_dual_mul_f32 v137, v29, v82
	s_wait_loadcnt 0x0
	v_dual_mul_f32 v138, v29, v81 :: v_dual_mul_f32 v139, v28, v81
	v_dual_fma_f32 v132, v28, v86, -v30 :: v_dual_fma_f32 v134, v28, v84, -v31
	v_dual_fmac_f32 v133, v28, v87 :: v_dual_fmac_f32 v135, v28, v85
	s_delay_alu instid0(VALU_DEP_3) | instskip(NEXT) | instid1(VALU_DEP_4)
	v_dual_fma_f32 v136, v28, v82, -v107 :: v_dual_fma_f32 v138, v28, v80, -v138
	v_dual_fmac_f32 v137, v28, v83 :: v_dual_fmac_f32 v139, v29, v80
	ds_load_b128 v[28:31], v95 offset:400
	ds_store_2addr_b64 v96, v[132:133], v[134:135] offset1:67
	ds_store_2addr_b64 v96, v[136:137], v[138:139] offset0:134 offset1:201
	s_wait_dscnt 0x0
	s_barrier_signal -1
	s_barrier_wait -1
	ds_load_2addr_b64 v[132:135], v97 offset1:1
	ds_load_2addr_b64 v[136:139], v97 offset0:2 offset1:3
	s_wait_dscnt 0x0
	s_barrier_signal -1
	s_barrier_wait -1
	v_pk_add_f32 v[132:133], v[132:133], 0 op_sel_hi:[1,0]
	s_delay_alu instid0(VALU_DEP_1) | instskip(NEXT) | instid1(VALU_DEP_1)
	v_pk_add_f32 v[118:119], v[132:133], v[134:135]
	v_pk_add_f32 v[116:117], v[118:119], v[136:137]
	s_delay_alu instid0(VALU_DEP_1)
	v_pk_add_f32 v[114:115], v[116:117], v[138:139]
	ds_store_2addr_b64 v106, v[108:109], v[110:111] offset1:16
	ds_store_2addr_b64 v106, v[112:113], v[114:115] offset0:32 offset1:48
	s_wait_dscnt 0x0
	s_barrier_signal -1
	s_barrier_wait -1
	s_and_saveexec_b32 s103, s18
	s_cbranch_execz .LBB186_69
; %bb.73:                               ;   in Loop: Header=BB186_70 Depth=2
	ds_load_b64 v[120:121], v98
	ds_load_2addr_b64 v[108:111], v98 offset0:1 offset1:2
	ds_load_2addr_b64 v[112:115], v98 offset0:3 offset1:4
	;; [unrolled: 1-line block ×3, first 2 shown]
	s_wait_dscnt 0x2
	v_dual_add_f32 v107, v108, v120 :: v_dual_add_f32 v108, v109, v121
	s_delay_alu instid0(VALU_DEP_1) | instskip(SKIP_3) | instid1(VALU_DEP_1)
	v_dual_add_f32 v107, v110, v107 :: v_dual_add_f32 v120, v111, v108
	ds_load_2addr_b64 v[108:111], v98 offset0:7 offset1:8
	s_wait_dscnt 0x2
	v_dual_add_f32 v107, v107, v112 :: v_dual_add_f32 v112, v120, v113
	v_dual_add_f32 v120, v107, v114 :: v_dual_add_f32 v121, v112, v115
	ds_load_2addr_b64 v[112:115], v98 offset0:9 offset1:10
	v_add_nc_u32_e32 v107, s30, v32
	s_wait_dscnt 0x2
	v_pk_add_f32 v[116:117], v[120:121], v[116:117]
	s_delay_alu instid0(VALU_DEP_1) | instskip(SKIP_3) | instid1(VALU_DEP_1)
	v_pk_add_f32 v[120:121], v[116:117], v[118:119]
	ds_load_2addr_b64 v[116:119], v98 offset0:11 offset1:12
	s_wait_dscnt 0x2
	v_pk_add_f32 v[108:109], v[120:121], v[108:109]
	v_pk_add_f32 v[108:109], v[108:109], v[110:111]
	s_wait_dscnt 0x1
	s_delay_alu instid0(VALU_DEP_1)
	v_pk_add_f32 v[112:113], v[108:109], v[112:113]
	ds_load_2addr_b64 v[108:111], v98 offset0:13 offset1:14
	v_pk_add_f32 v[112:113], v[112:113], v[114:115]
	ds_load_b64 v[114:115], v99
	s_wait_dscnt 0x2
	v_pk_add_f32 v[112:113], v[112:113], v[116:117]
	s_delay_alu instid0(VALU_DEP_1) | instskip(SKIP_1) | instid1(VALU_DEP_1)
	v_pk_add_f32 v[112:113], v[112:113], v[118:119]
	s_wait_dscnt 0x1
	v_pk_add_f32 v[108:109], v[112:113], v[108:109]
	s_delay_alu instid0(VALU_DEP_1) | instskip(SKIP_1) | instid1(VALU_DEP_1)
	v_pk_add_f32 v[108:109], v[108:109], v[110:111]
	s_wait_dscnt 0x0
	v_pk_add_f32 v[108:109], v[108:109], v[114:115]
	global_store_b64 v107, v[108:109], s[96:97] scale_offset
	s_branch .LBB186_69
.LBB186_74:                             ;   in Loop: Header=BB186_4 Depth=1
	ds_store_b64 v100, v[50:51]
	s_wait_dscnt 0x0
	s_barrier_signal -1
	s_barrier_wait -1
	s_and_saveexec_b32 s29, s101
	s_cbranch_execz .LBB186_2
; %bb.75:                               ;   in Loop: Header=BB186_4 Depth=1
	ds_load_2addr_b64 v[0:3], v33 offset1:67
	ds_load_2addr_b64 v[4:7], v33 offset0:134 offset1:201
	s_wait_dscnt 0x1
	v_pk_add_f32 v[0:1], v[2:3], v[0:1]
	v_lshl_add_u64 v[2:3], v[38:39], 3, s[96:97]
	s_wait_dscnt 0x0
	s_delay_alu instid0(VALU_DEP_2) | instskip(NEXT) | instid1(VALU_DEP_1)
	v_pk_add_f32 v[0:1], v[4:5], v[0:1]
	v_pk_add_f32 v[0:1], v[0:1], v[6:7]
	global_store_b64 v[2:3], v[0:1], off
	s_branch .LBB186_2
.LBB186_76:                             ;   in Loop: Header=BB186_4 Depth=1
	ds_load_b64 v[2:3], v103
	s_wait_dscnt 0x0
	ds_store_b64 v90, v[2:3]
	s_or_b32 exec_lo, exec_lo, s30
	s_and_saveexec_b32 s30, s8
	s_cbranch_execz .LBB186_27
.LBB186_77:                             ;   in Loop: Header=BB186_4 Depth=1
	ds_load_b64 v[2:3], v104
	s_wait_dscnt 0x0
	ds_store_b64 v90, v[2:3] offset:8
	s_or_b32 exec_lo, exec_lo, s30
	s_and_saveexec_b32 s30, s9
	s_cbranch_execz .LBB186_28
.LBB186_78:                             ;   in Loop: Header=BB186_4 Depth=1
	ds_load_b64 v[2:3], v104 offset:264
	s_wait_dscnt 0x0
	ds_store_b64 v90, v[2:3] offset:16
	s_or_b32 exec_lo, exec_lo, s30
	s_and_saveexec_b32 s30, s10
	s_cbranch_execnz .LBB186_29
	s_branch .LBB186_30
.LBB186_79:                             ;   in Loop: Header=BB186_4 Depth=1
	ds_load_b64 v[2:3], v103
	s_wait_dscnt 0x0
	ds_store_b64 v90, v[2:3]
	s_or_b32 exec_lo, exec_lo, s30
	s_and_saveexec_b32 s30, s8
	s_cbranch_execz .LBB186_46
.LBB186_80:                             ;   in Loop: Header=BB186_4 Depth=1
	ds_load_b64 v[2:3], v104
	s_wait_dscnt 0x0
	ds_store_b64 v90, v[2:3] offset:8
	s_or_b32 exec_lo, exec_lo, s30
	s_and_saveexec_b32 s30, s9
	s_cbranch_execz .LBB186_47
.LBB186_81:                             ;   in Loop: Header=BB186_4 Depth=1
	ds_load_b64 v[2:3], v104 offset:264
	s_wait_dscnt 0x0
	ds_store_b64 v90, v[2:3] offset:16
	s_or_b32 exec_lo, exec_lo, s30
	s_and_saveexec_b32 s30, s10
	s_cbranch_execnz .LBB186_48
	s_branch .LBB186_49
.LBB186_82:
	s_sendmsg sendmsg(MSG_DEALLOC_VGPRS)
	s_endpgm
	.section	.rodata,"a",@progbits
	.p2align	6, 0x0
	.amdhsa_kernel _ZL26rocblas_hemvn_kernel_lowerILb0ELi64ELi4ELi33ELi32ELi16El19rocblas_complex_numIfEPKPKS1_PS1_EviT6_lT7_lT5_lS8_lS9_lS7_lT8_i
		.amdhsa_group_segment_fixed_size 9600
		.amdhsa_private_segment_fixed_size 0
		.amdhsa_kernarg_size 376
		.amdhsa_user_sgpr_count 2
		.amdhsa_user_sgpr_dispatch_ptr 0
		.amdhsa_user_sgpr_queue_ptr 0
		.amdhsa_user_sgpr_kernarg_segment_ptr 1
		.amdhsa_user_sgpr_dispatch_id 0
		.amdhsa_user_sgpr_kernarg_preload_length 0
		.amdhsa_user_sgpr_kernarg_preload_offset 0
		.amdhsa_user_sgpr_private_segment_size 0
		.amdhsa_wavefront_size32 1
		.amdhsa_uses_dynamic_stack 0
		.amdhsa_enable_private_segment 0
		.amdhsa_system_sgpr_workgroup_id_x 1
		.amdhsa_system_sgpr_workgroup_id_y 0
		.amdhsa_system_sgpr_workgroup_id_z 1
		.amdhsa_system_sgpr_workgroup_info 0
		.amdhsa_system_vgpr_workitem_id 1
		.amdhsa_next_free_vgpr 140
		.amdhsa_next_free_sgpr 104
		.amdhsa_named_barrier_count 0
		.amdhsa_reserve_vcc 1
		.amdhsa_float_round_mode_32 0
		.amdhsa_float_round_mode_16_64 0
		.amdhsa_float_denorm_mode_32 3
		.amdhsa_float_denorm_mode_16_64 3
		.amdhsa_fp16_overflow 0
		.amdhsa_memory_ordered 1
		.amdhsa_forward_progress 1
		.amdhsa_inst_pref_size 57
		.amdhsa_round_robin_scheduling 0
		.amdhsa_exception_fp_ieee_invalid_op 0
		.amdhsa_exception_fp_denorm_src 0
		.amdhsa_exception_fp_ieee_div_zero 0
		.amdhsa_exception_fp_ieee_overflow 0
		.amdhsa_exception_fp_ieee_underflow 0
		.amdhsa_exception_fp_ieee_inexact 0
		.amdhsa_exception_int_div_zero 0
	.end_amdhsa_kernel
	.section	.text._ZL26rocblas_hemvn_kernel_lowerILb0ELi64ELi4ELi33ELi32ELi16El19rocblas_complex_numIfEPKPKS1_PS1_EviT6_lT7_lT5_lS8_lS9_lS7_lT8_i,"axG",@progbits,_ZL26rocblas_hemvn_kernel_lowerILb0ELi64ELi4ELi33ELi32ELi16El19rocblas_complex_numIfEPKPKS1_PS1_EviT6_lT7_lT5_lS8_lS9_lS7_lT8_i,comdat
.Lfunc_end186:
	.size	_ZL26rocblas_hemvn_kernel_lowerILb0ELi64ELi4ELi33ELi32ELi16El19rocblas_complex_numIfEPKPKS1_PS1_EviT6_lT7_lT5_lS8_lS9_lS7_lT8_i, .Lfunc_end186-_ZL26rocblas_hemvn_kernel_lowerILb0ELi64ELi4ELi33ELi32ELi16El19rocblas_complex_numIfEPKPKS1_PS1_EviT6_lT7_lT5_lS8_lS9_lS7_lT8_i
                                        ; -- End function
	.set _ZL26rocblas_hemvn_kernel_lowerILb0ELi64ELi4ELi33ELi32ELi16El19rocblas_complex_numIfEPKPKS1_PS1_EviT6_lT7_lT5_lS8_lS9_lS7_lT8_i.num_vgpr, 140
	.set _ZL26rocblas_hemvn_kernel_lowerILb0ELi64ELi4ELi33ELi32ELi16El19rocblas_complex_numIfEPKPKS1_PS1_EviT6_lT7_lT5_lS8_lS9_lS7_lT8_i.num_agpr, 0
	.set _ZL26rocblas_hemvn_kernel_lowerILb0ELi64ELi4ELi33ELi32ELi16El19rocblas_complex_numIfEPKPKS1_PS1_EviT6_lT7_lT5_lS8_lS9_lS7_lT8_i.numbered_sgpr, 104
	.set _ZL26rocblas_hemvn_kernel_lowerILb0ELi64ELi4ELi33ELi32ELi16El19rocblas_complex_numIfEPKPKS1_PS1_EviT6_lT7_lT5_lS8_lS9_lS7_lT8_i.num_named_barrier, 0
	.set _ZL26rocblas_hemvn_kernel_lowerILb0ELi64ELi4ELi33ELi32ELi16El19rocblas_complex_numIfEPKPKS1_PS1_EviT6_lT7_lT5_lS8_lS9_lS7_lT8_i.private_seg_size, 0
	.set _ZL26rocblas_hemvn_kernel_lowerILb0ELi64ELi4ELi33ELi32ELi16El19rocblas_complex_numIfEPKPKS1_PS1_EviT6_lT7_lT5_lS8_lS9_lS7_lT8_i.uses_vcc, 1
	.set _ZL26rocblas_hemvn_kernel_lowerILb0ELi64ELi4ELi33ELi32ELi16El19rocblas_complex_numIfEPKPKS1_PS1_EviT6_lT7_lT5_lS8_lS9_lS7_lT8_i.uses_flat_scratch, 1
	.set _ZL26rocblas_hemvn_kernel_lowerILb0ELi64ELi4ELi33ELi32ELi16El19rocblas_complex_numIfEPKPKS1_PS1_EviT6_lT7_lT5_lS8_lS9_lS7_lT8_i.has_dyn_sized_stack, 0
	.set _ZL26rocblas_hemvn_kernel_lowerILb0ELi64ELi4ELi33ELi32ELi16El19rocblas_complex_numIfEPKPKS1_PS1_EviT6_lT7_lT5_lS8_lS9_lS7_lT8_i.has_recursion, 0
	.set _ZL26rocblas_hemvn_kernel_lowerILb0ELi64ELi4ELi33ELi32ELi16El19rocblas_complex_numIfEPKPKS1_PS1_EviT6_lT7_lT5_lS8_lS9_lS7_lT8_i.has_indirect_call, 0
	.section	.AMDGPU.csdata,"",@progbits
; Kernel info:
; codeLenInByte = 7216
; TotalNumSgprs: 106
; NumVgprs: 140
; ScratchSize: 0
; MemoryBound: 1
; FloatMode: 240
; IeeeMode: 1
; LDSByteSize: 9600 bytes/workgroup (compile time only)
; SGPRBlocks: 0
; VGPRBlocks: 8
; NumSGPRsForWavesPerEU: 106
; NumVGPRsForWavesPerEU: 140
; NamedBarCnt: 0
; Occupancy: 7
; WaveLimiterHint : 1
; COMPUTE_PGM_RSRC2:SCRATCH_EN: 0
; COMPUTE_PGM_RSRC2:USER_SGPR: 2
; COMPUTE_PGM_RSRC2:TRAP_HANDLER: 0
; COMPUTE_PGM_RSRC2:TGID_X_EN: 1
; COMPUTE_PGM_RSRC2:TGID_Y_EN: 0
; COMPUTE_PGM_RSRC2:TGID_Z_EN: 1
; COMPUTE_PGM_RSRC2:TIDIG_COMP_CNT: 1
	.section	.text._ZL26rocblas_hemvn_kernel_lowerILb0ELi64ELi4ELi33ELi32ELi16Ei19rocblas_complex_numIfEPKPKS1_PS1_EviT6_lT7_lT5_lS8_lS9_lS7_lT8_i,"axG",@progbits,_ZL26rocblas_hemvn_kernel_lowerILb0ELi64ELi4ELi33ELi32ELi16Ei19rocblas_complex_numIfEPKPKS1_PS1_EviT6_lT7_lT5_lS8_lS9_lS7_lT8_i,comdat
	.globl	_ZL26rocblas_hemvn_kernel_lowerILb0ELi64ELi4ELi33ELi32ELi16Ei19rocblas_complex_numIfEPKPKS1_PS1_EviT6_lT7_lT5_lS8_lS9_lS7_lT8_i ; -- Begin function _ZL26rocblas_hemvn_kernel_lowerILb0ELi64ELi4ELi33ELi32ELi16Ei19rocblas_complex_numIfEPKPKS1_PS1_EviT6_lT7_lT5_lS8_lS9_lS7_lT8_i
	.p2align	8
	.type	_ZL26rocblas_hemvn_kernel_lowerILb0ELi64ELi4ELi33ELi32ELi16Ei19rocblas_complex_numIfEPKPKS1_PS1_EviT6_lT7_lT5_lS8_lS9_lS7_lT8_i,@function
_ZL26rocblas_hemvn_kernel_lowerILb0ELi64ELi4ELi33ELi32ELi16Ei19rocblas_complex_numIfEPKPKS1_PS1_EviT6_lT7_lT5_lS8_lS9_lS7_lT8_i: ; @_ZL26rocblas_hemvn_kernel_lowerILb0ELi64ELi4ELi33ELi32ELi16Ei19rocblas_complex_numIfEPKPKS1_PS1_EviT6_lT7_lT5_lS8_lS9_lS7_lT8_i
; %bb.0:
	s_clause 0x1
	s_load_b64 s[2:3], s[0:1], 0x84
	s_load_b32 s19, s[0:1], 0x70
	s_bfe_u32 s4, ttmp6, 0x40014
	s_lshr_b32 s5, ttmp7, 16
	s_add_co_i32 s4, s4, 1
	s_bfe_u32 s6, ttmp6, 0x40008
	s_mul_i32 s7, s5, s4
	s_getreg_b32 s4, hwreg(HW_REG_IB_STS2, 6, 4)
	s_add_co_i32 s6, s6, s7
	s_mov_b32 s29, 0
	s_wait_kmcnt 0x0
	s_lshr_b32 s7, s2, 16
	s_and_b32 s2, s2, 0xffff
	s_and_b32 s3, s3, 0xffff
	s_mul_i32 s2, s7, s2
	s_cmp_eq_u32 s4, 0
	s_mul_i32 s2, s2, s3
	s_cselect_b32 s28, s5, s6
	s_cmp_lg_u32 s2, 0x100
	s_cselect_b32 s2, -1, 0
	s_cmp_ge_u32 s28, s19
	s_cselect_b32 s3, -1, 0
	s_delay_alu instid0(SALU_CYCLE_1) | instskip(NEXT) | instid1(SALU_CYCLE_1)
	s_or_b32 s2, s2, s3
	s_and_b32 vcc_lo, exec_lo, s2
	s_cbranch_vccnz .LBB187_82
; %bb.1:
	s_clause 0x5
	s_load_b32 s2, s[0:1], 0x0
	s_load_b32 s88, s[0:1], 0x28
	s_load_b64 s[6:7], s[0:1], 0x4
	s_load_b128 s[20:23], s[0:1], 0x18
	s_load_b64 s[8:9], s[0:1], 0x68
	s_load_b64 s[10:11], s[0:1], 0x58
	s_bfe_u32 s3, ttmp6, 0x4000c
	s_and_b32 s5, ttmp6, 15
	s_add_co_i32 s3, s3, 1
	s_add_nc_u64 s[12:13], s[0:1], 0x78
	s_mul_i32 s3, ttmp9, s3
	s_clause 0x1
	s_load_b128 s[24:27], s[0:1], 0x38
	s_load_b32 s18, s[0:1], 0x48
	s_add_co_i32 s5, s5, s3
	v_and_b32_e32 v32, 0x3ff, v0
	v_bfe_u32 v1, v0, 10, 10
	v_mov_b32_e32 v35, 0
	v_mov_b64_e32 v[48:49], 0
	s_delay_alu instid0(VALU_DEP_3)
	v_lshl_add_u32 v2, v1, 6, v32
	v_and_b32_e32 v34, 31, v0
	s_wait_kmcnt 0x0
	s_ashr_i32 s3, s2, 31
	s_ashr_i32 s89, s88, 31
	s_cmp_eq_u32 s4, 0
	s_load_b32 s4, s[12:13], 0x0
	s_cselect_b32 s33, ttmp9, s5
	s_or_b32 s0, s6, s7
	v_lshrrev_b32_e32 v3, 5, v2
	s_bitset0_b32 s0, 31
	s_mov_b32 s5, s29
	s_cmp_eq_u32 s0, 0
	v_lshlrev_b32_e32 v4, 3, v34
	s_cselect_b32 s100, -1, 0
	s_cmp_lg_u32 s0, 0
	v_dual_add_nc_u32 v6, 8, v3 :: v_dual_add_nc_u32 v7, 16, v3
	s_cselect_b32 s90, -1, 0
	s_cmp_neq_f32 s10, 1.0
	v_dual_lshlrev_b32 v8, 2, v3 :: v_dual_add_nc_u32 v9, 24, v3
	v_mul_u32_u24_e32 v14, 33, v34
	s_cselect_b32 s54, -1, 0
	s_cmp_neq_f32 s11, 0
	s_delay_alu instid0(VALU_DEP_2)
	v_dual_lshlrev_b32 v15, 3, v3 :: v_dual_bitop2_b32 v13, 2, v8 bitop3:0x54
	s_wait_kmcnt 0x0
	s_mul_u64 s[34:35], s[4:5], s[2:3]
	s_cselect_b32 s55, -1, 0
	s_lshr_b32 s1, s3, 26
	s_add_co_i32 s6, s4, -1
	s_add_co_i32 s1, s2, s1
	s_lshl_b32 s94, s33, 6
	s_and_not1_b32 s1, s1, 63
	v_lshl_or_b32 v90, v34, 8, v4
	s_sub_co_i32 s1, s2, s1
	s_cmp_eq_u32 s33, s6
	s_mul_i32 s6, s2, s33
	s_cselect_b32 s30, s1, 0
	v_and_b32_e32 v10, 0x7fe0, v2
	s_cmp_eq_u32 s30, 0
	v_cmp_gt_i32_e64 s4, s30, v6
	s_cselect_b32 s101, -1, 0
	s_cmp_lg_u32 s30, 0
	v_dual_add_nc_u32 v91, v90, v10 :: v_dual_bitop2_b32 v11, 1, v8 bitop3:0x54
	s_cselect_b32 s1, -1, 0
	s_sub_co_i32 s16, s30, 32
	s_ashr_i32 s7, s6, 31
	v_cmp_gt_i32_e64 s14, s16, v6
	v_mul_lo_u32 v6, v1, s88
	s_lshl_b64 s[6:7], s[6:7], 3
	v_lshl_add_u32 v93, v14, 3, v15
	s_add_nc_u64 s[36:37], s[8:9], s[6:7]
	v_cmp_lt_u32_e64 s7, v8, v34
	v_dual_mov_b32 v33, v35 :: v_dual_bitop2_b32 v8, 3, v8 bitop3:0x54
	v_dual_lshlrev_b32 v88, 3, v32 :: v_dual_add_nc_u32 v36, s94, v32
	v_mad_u32 v40, s88, v3, v34
	v_mul_u32_u24_e32 v5, 0x108, v3
	v_cmp_gt_i32_e64 s3, s30, v3
	v_cmp_gt_i32_e64 s5, s30, v7
	v_mul_u32_u24_e32 v12, 0x420, v3
	v_cmp_lt_u32_e64 s10, v8, v34
	v_cmp_gt_i32_e64 s13, s16, v3
	v_cmp_gt_i32_e64 s15, s16, v7
	v_cmp_eq_u32_e64 s17, 1, v3
	v_mul_i32_i24_e32 v7, 0xffffffe8, v3
	v_mad_u32_u24 v94, v3, 24, v93
	v_lshl_add_u32 v44, v6, 2, v32
	v_or_b32_e32 v8, 32, v34
	v_dual_lshrrev_b32 v3, 4, v2 :: v_dual_bitop2_b32 v6, 15, v0 bitop3:0x40
	v_mul_lo_u32 v38, s18, v36
	v_cmp_le_i32_e32 vcc_lo, s30, v32
	v_ashrrev_i32_e32 v45, 31, v44
	v_cmp_gt_i32_e64 s12, s30, v8
	v_dual_lshlrev_b32 v8, 5, v3 :: v_dual_bitop2_b32 v0, 48, v0 bitop3:0x40
	s_and_b32 s1, s1, vcc_lo
	s_mul_i32 s38, s88, s94
	s_lshl_b32 s40, s88, 3
	s_lshl_b32 s42, s88, 4
	s_mul_i32 s44, s88, 24
	v_cmp_gt_i32_e64 s6, s30, v9
	v_cmp_lt_u32_e64 s8, v11, v34
	v_mul_u32_u24_e32 v11, 0x108, v11
	v_add_nc_u32_e32 v92, 0x2380, v10
	s_lshl_b32 s46, s88, 5
	v_cmp_gt_i32_e64 s16, s16, v9
	s_mul_i32 s50, s18, s94
	v_dual_lshlrev_b32 v0, 3, v0 :: v_dual_add_nc_u32 v102, v4, v5
	v_or_b32_e32 v9, 0x78, v88
	v_mad_u32_u24 v97, 0x218, v6, v8
	v_mul_i32_i24_e32 v3, 0xffffffe8, v3
	s_ashr_i32 s95, s94, 31
	s_ashr_i32 s39, s38, 31
	;; [unrolled: 1-line block ×7, first 2 shown]
	s_xor_b32 s56, s1, -1
	s_ashr_i32 s51, s50, 31
	v_cmp_eq_u32_e64 s0, 0, v1
	v_sub_nc_u64_e32 v[42:43], 0, v[34:35]
	s_cmp_gt_i32 s33, 0
	v_sub_nc_u64_e32 v[46:47], 0, v[32:33]
	v_add_nc_u32_e32 v89, 0x2380, v88
	v_dual_ashrrev_i32 v39, 31, v38 :: v_dual_ashrrev_i32 v41, 31, v40
	v_cmp_gt_i32_e64 s2, s30, v34
	v_cmp_lt_u32_e64 s9, v13, v34
	v_cmp_gt_u32_e64 s11, 32, v2
	s_cselect_b32 s102, -1, 0
	s_lshl_b32 s103, s18, 6
	v_add_nc_u32_e32 v33, 0x2180, v88
	v_lshl_add_u32 v95, v1, 5, 0x2180
	v_mad_u32_u24 v96, 0x860, v1, v88
	v_cmp_gt_u32_e64 s18, 64, v2
	v_mad_u32_u24 v98, 0x218, v6, v0
	v_mad_u32_u24 v99, 0x218, v6, v9
	;; [unrolled: 1-line block ×3, first 2 shown]
	v_dual_ashrrev_i32 v37, 31, v36 :: v_dual_add_nc_u32 v104, v4, v11
	v_add_nc_u32_e32 v101, 0x2380, v15
	v_dual_add_nc_u32 v103, v4, v12 :: v_dual_add_nc_u32 v106, v97, v3
	v_dual_add_nc_u32 v105, v92, v7 :: v_dual_lshlrev_b32 v34, 3, v34
	s_or_b32 s91, s54, s55
	s_sub_nc_u64 s[48:49], 0, s[46:47]
	s_sub_nc_u64 s[50:51], 0, s[50:51]
	;; [unrolled: 1-line block ×3, first 2 shown]
	s_and_b32 s104, s0, s56
	s_lshl_b64 s[54:55], s[88:89], 6
	s_sub_nc_u64 s[56:57], 0, s[30:31]
	s_lshl_b64 s[58:59], s[88:89], 3
	s_lshl_b64 s[60:61], s[88:89], 4
	;; [unrolled: 1-line block ×3, first 2 shown]
	s_mul_u64 s[64:65], s[88:89], 24
	s_lshl_b64 s[66:67], s[88:89], 7
	s_mul_u64 s[68:69], s[88:89], 0x90
	s_mul_u64 s[70:71], s[88:89], 0x98
	s_lshl_b64 s[72:73], s[88:89], 8
	s_mul_u64 s[74:75], s[88:89], 0x110
	s_mul_u64 s[76:77], s[88:89], 0x118
	;; [unrolled: 1-line block ×8, first 2 shown]
	s_or_b32 vcc_hi, s91, s90
	s_mov_b64 s[90:91], 0xfffffffffffffef8
	s_lshl_b64 s[26:27], s[26:27], 3
	s_lshl_b64 s[94:95], s[94:95], 3
	;; [unrolled: 1-line block ×3, first 2 shown]
	s_branch .LBB187_4
.LBB187_2:                              ;   in Loop: Header=BB187_4 Depth=1
	s_wait_xcnt 0x0
	s_or_b32 exec_lo, exec_lo, s98
.LBB187_3:                              ;   in Loop: Header=BB187_4 Depth=1
	s_add_co_i32 s28, s28, 0x10000
	s_delay_alu instid0(SALU_CYCLE_1)
	s_cmp_lt_u32 s28, s19
	s_cbranch_scc0 .LBB187_82
.LBB187_4:                              ; =>This Loop Header: Depth=1
                                        ;     Child Loop BB187_70 Depth 2
	s_and_not1_b32 vcc_lo, exec_lo, vcc_hi
	s_cbranch_vccnz .LBB187_3
; %bb.5:                                ;   in Loop: Header=BB187_4 Depth=1
	s_and_b32 vcc_lo, exec_lo, s100
	s_mov_b32 s92, -1
	s_cbranch_vccz .LBB187_7
; %bb.6:                                ;   in Loop: Header=BB187_4 Depth=1
	s_mov_b32 s92, 0
.LBB187_7:                              ;   in Loop: Header=BB187_4 Depth=1
	s_delay_alu instid0(SALU_CYCLE_1)
	s_and_not1_b32 vcc_lo, exec_lo, s92
	s_cbranch_vccnz .LBB187_3
; %bb.8:                                ;   in Loop: Header=BB187_4 Depth=1
	v_mov_b32_e32 v0, s28
	s_clause 0x1
	global_load_b64 v[2:3], v0, s[24:25] scale_offset
	global_load_b64 v[0:1], v0, s[20:21] scale_offset
	s_wait_loadcnt 0x1
	v_add_nc_u64_e32 v[2:3], s[26:27], v[2:3]
	s_delay_alu instid0(VALU_DEP_1)
	v_lshl_add_u64 v[16:17], v[38:39], 3, v[2:3]
	s_wait_xcnt 0x0
	s_and_saveexec_b32 s96, s0
	s_cbranch_execz .LBB187_13
; %bb.9:                                ;   in Loop: Header=BB187_4 Depth=1
	s_and_saveexec_b32 s92, s1
	s_delay_alu instid0(SALU_CYCLE_1)
	s_xor_b32 s92, exec_lo, s92
; %bb.10:                               ;   in Loop: Header=BB187_4 Depth=1
	ds_store_b64 v89, v[48:49]
; %bb.11:                               ;   in Loop: Header=BB187_4 Depth=1
	s_and_not1_saveexec_b32 s92, s92
	s_cbranch_execz .LBB187_13
; %bb.12:                               ;   in Loop: Header=BB187_4 Depth=1
	flat_load_b64 v[2:3], v[16:17]
	s_wait_loadcnt_dscnt 0x0
	ds_store_b64 v89, v[2:3]
.LBB187_13:                             ;   in Loop: Header=BB187_4 Depth=1
	s_wait_xcnt 0x0
	s_or_b32 exec_lo, exec_lo, s96
	s_wait_loadcnt 0x0
	v_add_nc_u64_e32 v[0:1], s[22:23], v[0:1]
	s_and_not1_b32 vcc_lo, exec_lo, s101
	s_mov_b32 s96, -1
	s_delay_alu instid0(VALU_DEP_1) | instskip(NEXT) | instid1(VALU_DEP_1)
	v_add_nc_u64_e32 v[0:1], s[94:95], v[0:1]
	v_lshl_add_u64 v[0:1], v[40:41], 3, v[0:1]
	s_delay_alu instid0(VALU_DEP_1)
	v_lshl_add_u64 v[0:1], s[38:39], 3, v[0:1]
	s_cbranch_vccnz .LBB187_15
; %bb.14:                               ;   in Loop: Header=BB187_4 Depth=1
	s_delay_alu instid0(VALU_DEP_1) | instskip(SKIP_1) | instid1(VALU_DEP_1)
	v_lshl_add_u64 v[2:3], s[40:41], 3, v[0:1]
	s_mov_b32 s96, 0
	v_add_nc_u64_e32 v[4:5], s[54:55], v[2:3]
	s_delay_alu instid0(VALU_DEP_1)
	v_add_nc_u64_e32 v[6:7], s[54:55], v[4:5]
	s_clause 0x3
	flat_load_b64 v[8:9], v[0:1]
	flat_load_b64 v[2:3], v[2:3]
	;; [unrolled: 1-line block ×4, first 2 shown]
	s_wait_loadcnt_dscnt 0x303
	ds_store_b64 v102, v[8:9]
	s_wait_loadcnt_dscnt 0x203
	ds_store_b64 v102, v[2:3] offset:2112
	s_wait_loadcnt_dscnt 0x103
	ds_store_b64 v102, v[4:5] offset:4224
	;; [unrolled: 2-line block ×3, first 2 shown]
.LBB187_15:                             ;   in Loop: Header=BB187_4 Depth=1
	s_and_not1_b32 vcc_lo, exec_lo, s96
	s_cbranch_vccnz .LBB187_25
; %bb.16:                               ;   in Loop: Header=BB187_4 Depth=1
	s_wait_xcnt 0x2
	v_lshl_add_u64 v[2:3], v[42:43], 3, v[0:1]
	s_wait_xcnt 0x0
	v_dual_mov_b32 v6, 0 :: v_dual_mov_b32 v4, 0
	v_mov_b32_e32 v5, 0
	s_delay_alu instid0(VALU_DEP_3) | instskip(NEXT) | instid1(VALU_DEP_1)
	v_lshl_add_u64 v[2:3], s[30:31], 3, v[2:3]
	v_add_nc_u64_e32 v[2:3], -8, v[2:3]
	s_delay_alu instid0(VALU_DEP_1)
	v_dual_cndmask_b32 v3, v3, v1, s2 :: v_dual_cndmask_b32 v2, v2, v0, s2
	s_and_saveexec_b32 s96, s3
	s_cbranch_execz .LBB187_18
; %bb.17:                               ;   in Loop: Header=BB187_4 Depth=1
	flat_load_b64 v[4:5], v[2:3]
.LBB187_18:                             ;   in Loop: Header=BB187_4 Depth=1
	s_wait_xcnt 0x0
	s_or_b32 exec_lo, exec_lo, s96
	v_mov_b32_e32 v7, 0
	s_wait_loadcnt_dscnt 0x0
	ds_store_b64 v102, v[4:5]
	s_and_saveexec_b32 s96, s4
	s_cbranch_execz .LBB187_20
; %bb.19:                               ;   in Loop: Header=BB187_4 Depth=1
	v_lshl_add_u64 v[4:5], s[40:41], 3, v[2:3]
	flat_load_b64 v[6:7], v[4:5]
.LBB187_20:                             ;   in Loop: Header=BB187_4 Depth=1
	s_wait_xcnt 0x0
	s_or_b32 exec_lo, exec_lo, s96
	v_dual_mov_b32 v4, 0 :: v_dual_mov_b32 v8, 0
	v_mov_b32_e32 v9, 0
	s_wait_loadcnt_dscnt 0x0
	ds_store_b64 v102, v[6:7] offset:2112
	s_and_saveexec_b32 s96, s5
	s_cbranch_execz .LBB187_22
; %bb.21:                               ;   in Loop: Header=BB187_4 Depth=1
	v_lshl_add_u64 v[6:7], s[42:43], 3, v[2:3]
	flat_load_b64 v[8:9], v[6:7]
.LBB187_22:                             ;   in Loop: Header=BB187_4 Depth=1
	s_wait_xcnt 0x0
	s_or_b32 exec_lo, exec_lo, s96
	v_mov_b32_e32 v5, 0
	s_wait_loadcnt_dscnt 0x0
	ds_store_b64 v102, v[8:9] offset:4224
	s_and_saveexec_b32 s96, s6
	s_cbranch_execz .LBB187_24
; %bb.23:                               ;   in Loop: Header=BB187_4 Depth=1
	v_lshl_add_u64 v[4:5], s[44:45], 3, v[2:3]
	flat_load_b64 v[4:5], v[4:5]
.LBB187_24:                             ;   in Loop: Header=BB187_4 Depth=1
	s_wait_xcnt 0x0
	s_or_b32 exec_lo, exec_lo, s96
	v_add_nc_u64_e32 v[2:3], v[2:3], v[34:35]
	s_wait_loadcnt_dscnt 0x0
	ds_store_b64 v102, v[4:5] offset:6336
	v_lshl_add_u64 v[2:3], s[56:57], 3, v[2:3]
	s_delay_alu instid0(VALU_DEP_1) | instskip(NEXT) | instid1(VALU_DEP_1)
	v_add_nc_u64_e32 v[2:3], 8, v[2:3]
	v_dual_cndmask_b32 v1, v3, v1, s2 :: v_dual_cndmask_b32 v0, v2, v0, s2
.LBB187_25:                             ;   in Loop: Header=BB187_4 Depth=1
	s_wait_dscnt 0x0
	s_barrier_signal -1
	s_barrier_wait -1
	s_wait_xcnt 0x0
	s_and_saveexec_b32 s92, s7
	s_cbranch_execnz .LBB187_76
; %bb.26:                               ;   in Loop: Header=BB187_4 Depth=1
	s_or_b32 exec_lo, exec_lo, s92
	s_and_saveexec_b32 s92, s8
	s_cbranch_execnz .LBB187_77
.LBB187_27:                             ;   in Loop: Header=BB187_4 Depth=1
	s_or_b32 exec_lo, exec_lo, s92
	s_and_saveexec_b32 s92, s9
	s_cbranch_execnz .LBB187_78
.LBB187_28:                             ;   in Loop: Header=BB187_4 Depth=1
	s_or_b32 exec_lo, exec_lo, s92
	s_and_saveexec_b32 s92, s10
	s_cbranch_execz .LBB187_30
.LBB187_29:                             ;   in Loop: Header=BB187_4 Depth=1
	ds_load_b64 v[2:3], v104 offset:528
	s_wait_dscnt 0x0
	ds_store_b64 v91, v[2:3] offset:24
.LBB187_30:                             ;   in Loop: Header=BB187_4 Depth=1
	s_or_b32 exec_lo, exec_lo, s92
	s_wait_dscnt 0x0
	s_barrier_signal -1
	s_barrier_wait -1
	ds_load_b64 v[14:15], v103
	ds_load_b128 v[2:5], v92
	ds_load_2addr_b64 v[6:9], v104 offset1:33
	ds_load_b128 v[10:13], v92 offset:16
	ds_load_b64 v[18:19], v104 offset:528
	v_mov_b64_e32 v[50:51], 0
	s_wait_dscnt 0x0
	s_barrier_signal -1
	s_barrier_wait -1
	v_pk_mul_f32 v[20:21], v[2:3], v[14:15] op_sel:[1,1] op_sel_hi:[0,1]
	v_dual_mov_b32 v22, v5 :: v_dual_mov_b32 v23, v4
	v_pk_mul_f32 v[24:25], v[10:11], v[8:9] op_sel:[1,1] op_sel_hi:[0,1]
	v_dual_mov_b32 v28, v13 :: v_dual_mov_b32 v29, v12
	s_delay_alu instid0(VALU_DEP_4) | instskip(NEXT) | instid1(VALU_DEP_4)
	v_pk_fma_f32 v[26:27], v[2:3], v[14:15], v[20:21] op_sel_hi:[1,0,1]
	v_pk_mul_f32 v[22:23], v[22:23], v[6:7] op_sel:[0,1]
	v_pk_fma_f32 v[2:3], v[2:3], v[14:15], v[20:21] neg_lo:[0,0,1] neg_hi:[0,0,1]
	v_pk_fma_f32 v[20:21], v[10:11], v[8:9], v[24:25] op_sel_hi:[1,0,1]
	s_delay_alu instid0(VALU_DEP_3)
	v_pk_fma_f32 v[14:15], v[4:5], v[6:7], v[22:23] op_sel_hi:[1,0,1]
	v_mov_b32_e32 v3, v27
	v_pk_fma_f32 v[4:5], v[4:5], v[6:7], v[22:23] neg_lo:[0,0,1] neg_hi:[0,0,1]
	v_pk_mul_f32 v[26:27], v[28:29], v[18:19] op_sel:[0,1]
	v_pk_fma_f32 v[6:7], v[10:11], v[8:9], v[24:25] neg_lo:[0,0,1] neg_hi:[0,0,1]
	v_mov_b32_e32 v5, v15
	v_pk_add_f32 v[2:3], v[2:3], 0 op_sel_hi:[1,0]
	s_delay_alu instid0(VALU_DEP_4) | instskip(SKIP_1) | instid1(VALU_DEP_3)
	v_pk_fma_f32 v[8:9], v[12:13], v[18:19], v[26:27] op_sel_hi:[1,0,1]
	v_mov_b32_e32 v7, v21
	v_pk_add_f32 v[2:3], v[2:3], v[4:5]
	v_pk_fma_f32 v[4:5], v[12:13], v[18:19], v[26:27] neg_lo:[0,0,1] neg_hi:[0,0,1]
	s_delay_alu instid0(VALU_DEP_4) | instskip(NEXT) | instid1(VALU_DEP_3)
	v_mov_b32_e32 v5, v9
	v_pk_add_f32 v[2:3], v[2:3], v[6:7]
	s_delay_alu instid0(VALU_DEP_1)
	v_pk_add_f32 v[2:3], v[2:3], v[4:5]
	ds_store_b64 v93, v[2:3]
	s_wait_dscnt 0x0
	s_barrier_signal -1
	s_barrier_wait -1
	s_and_saveexec_b32 s96, s11
	s_cbranch_execz .LBB187_32
; %bb.31:                               ;   in Loop: Header=BB187_4 Depth=1
	ds_load_2addr_b64 v[2:5], v90 offset1:7
	ds_load_2addr_b64 v[6:9], v90 offset0:1 offset1:2
	ds_load_2addr_b64 v[10:13], v90 offset0:3 offset1:4
	ds_load_2addr_b64 v[18:21], v90 offset0:5 offset1:6
	s_wait_dscnt 0x2
	v_dual_add_f32 v2, v6, v2 :: v_dual_add_f32 v3, v7, v3
	s_delay_alu instid0(VALU_DEP_1) | instskip(SKIP_1) | instid1(VALU_DEP_1)
	v_dual_add_f32 v2, v8, v2 :: v_dual_add_f32 v3, v9, v3
	s_wait_dscnt 0x1
	v_dual_add_f32 v2, v2, v10 :: v_dual_add_f32 v3, v3, v11
	s_delay_alu instid0(VALU_DEP_1) | instskip(SKIP_1) | instid1(VALU_DEP_1)
	v_dual_add_f32 v2, v2, v12 :: v_dual_add_f32 v3, v3, v13
	s_wait_dscnt 0x0
	v_dual_add_f32 v2, v2, v18 :: v_dual_add_f32 v3, v3, v19
	s_delay_alu instid0(VALU_DEP_1) | instskip(NEXT) | instid1(VALU_DEP_1)
	v_dual_add_f32 v2, v2, v20 :: v_dual_add_f32 v3, v3, v21
	v_pk_add_f32 v[50:51], v[2:3], v[4:5]
.LBB187_32:                             ;   in Loop: Header=BB187_4 Depth=1
	s_or_b32 exec_lo, exec_lo, s96
	v_lshl_add_u64 v[2:3], s[46:47], 3, v[0:1]
	s_and_not1_b32 vcc_lo, exec_lo, s101
	s_mov_b32 s96, -1
	s_barrier_signal -1
	s_barrier_wait -1
	s_cbranch_vccnz .LBB187_34
; %bb.33:                               ;   in Loop: Header=BB187_4 Depth=1
	v_lshl_add_u64 v[0:1], s[40:41], 3, v[2:3]
	s_mov_b32 s96, 0
	s_delay_alu instid0(VALU_DEP_1) | instskip(NEXT) | instid1(VALU_DEP_1)
	v_add_nc_u64_e32 v[4:5], s[54:55], v[0:1]
	v_add_nc_u64_e32 v[6:7], s[54:55], v[4:5]
	s_clause 0x3
	flat_load_b64 v[8:9], v[2:3] offset:256
	flat_load_b64 v[0:1], v[0:1] offset:256
	;; [unrolled: 1-line block ×4, first 2 shown]
	s_wait_loadcnt_dscnt 0x303
	ds_store_b64 v102, v[8:9]
	s_wait_loadcnt_dscnt 0x203
	ds_store_b64 v102, v[0:1] offset:2112
	s_wait_loadcnt_dscnt 0x103
	ds_store_b64 v102, v[4:5] offset:4224
	;; [unrolled: 2-line block ×3, first 2 shown]
.LBB187_34:                             ;   in Loop: Header=BB187_4 Depth=1
	s_wait_xcnt 0x2
	v_add_nc_u64_e32 v[0:1], 0x100, v[2:3]
	s_and_not1_b32 vcc_lo, exec_lo, s96
	s_cbranch_vccnz .LBB187_44
; %bb.35:                               ;   in Loop: Header=BB187_4 Depth=1
	v_lshl_add_u64 v[2:3], v[42:43], 3, v[2:3]
	s_wait_xcnt 0x0
	v_dual_mov_b32 v6, 0 :: v_dual_mov_b32 v4, 0
	v_mov_b32_e32 v5, 0
	s_delay_alu instid0(VALU_DEP_3) | instskip(NEXT) | instid1(VALU_DEP_1)
	v_lshl_add_u64 v[2:3], s[30:31], 3, v[2:3]
	v_add_nc_u64_e32 v[2:3], -8, v[2:3]
	s_delay_alu instid0(VALU_DEP_1)
	v_dual_cndmask_b32 v3, v3, v1, s12 :: v_dual_cndmask_b32 v2, v2, v0, s12
	s_and_saveexec_b32 s96, s13
	s_cbranch_execz .LBB187_37
; %bb.36:                               ;   in Loop: Header=BB187_4 Depth=1
	flat_load_b64 v[4:5], v[2:3]
.LBB187_37:                             ;   in Loop: Header=BB187_4 Depth=1
	s_wait_xcnt 0x0
	s_or_b32 exec_lo, exec_lo, s96
	v_mov_b32_e32 v7, 0
	s_wait_loadcnt_dscnt 0x0
	ds_store_b64 v102, v[4:5]
	s_and_saveexec_b32 s96, s14
	s_cbranch_execz .LBB187_39
; %bb.38:                               ;   in Loop: Header=BB187_4 Depth=1
	v_lshl_add_u64 v[4:5], s[40:41], 3, v[2:3]
	flat_load_b64 v[6:7], v[4:5]
.LBB187_39:                             ;   in Loop: Header=BB187_4 Depth=1
	s_wait_xcnt 0x0
	s_or_b32 exec_lo, exec_lo, s96
	v_dual_mov_b32 v4, 0 :: v_dual_mov_b32 v8, 0
	v_mov_b32_e32 v9, 0
	s_wait_loadcnt_dscnt 0x0
	ds_store_b64 v102, v[6:7] offset:2112
	s_and_saveexec_b32 s96, s15
	s_cbranch_execz .LBB187_41
; %bb.40:                               ;   in Loop: Header=BB187_4 Depth=1
	v_lshl_add_u64 v[6:7], s[42:43], 3, v[2:3]
	flat_load_b64 v[8:9], v[6:7]
.LBB187_41:                             ;   in Loop: Header=BB187_4 Depth=1
	s_wait_xcnt 0x0
	s_or_b32 exec_lo, exec_lo, s96
	v_mov_b32_e32 v5, 0
	s_wait_loadcnt_dscnt 0x0
	ds_store_b64 v102, v[8:9] offset:4224
	s_and_saveexec_b32 s96, s16
	s_cbranch_execz .LBB187_43
; %bb.42:                               ;   in Loop: Header=BB187_4 Depth=1
	v_lshl_add_u64 v[4:5], s[44:45], 3, v[2:3]
	flat_load_b64 v[4:5], v[4:5]
.LBB187_43:                             ;   in Loop: Header=BB187_4 Depth=1
	s_wait_xcnt 0x0
	s_or_b32 exec_lo, exec_lo, s96
	v_add_nc_u64_e32 v[2:3], v[2:3], v[34:35]
	s_wait_loadcnt_dscnt 0x0
	ds_store_b64 v102, v[4:5] offset:6336
	v_lshl_add_u64 v[2:3], s[56:57], 3, v[2:3]
	s_delay_alu instid0(VALU_DEP_1) | instskip(NEXT) | instid1(VALU_DEP_1)
	v_add_nc_u64_e32 v[2:3], 0x108, v[2:3]
	v_dual_cndmask_b32 v1, v3, v1, s12 :: v_dual_cndmask_b32 v0, v2, v0, s12
.LBB187_44:                             ;   in Loop: Header=BB187_4 Depth=1
	s_wait_dscnt 0x0
	s_barrier_signal -1
	s_barrier_wait -1
	s_wait_xcnt 0x0
	s_and_saveexec_b32 s92, s7
	s_cbranch_execnz .LBB187_79
; %bb.45:                               ;   in Loop: Header=BB187_4 Depth=1
	s_or_b32 exec_lo, exec_lo, s92
	s_and_saveexec_b32 s92, s8
	s_cbranch_execnz .LBB187_80
.LBB187_46:                             ;   in Loop: Header=BB187_4 Depth=1
	s_or_b32 exec_lo, exec_lo, s92
	s_and_saveexec_b32 s92, s9
	s_cbranch_execnz .LBB187_81
.LBB187_47:                             ;   in Loop: Header=BB187_4 Depth=1
	s_or_b32 exec_lo, exec_lo, s92
	s_and_saveexec_b32 s92, s10
	s_cbranch_execz .LBB187_49
.LBB187_48:                             ;   in Loop: Header=BB187_4 Depth=1
	ds_load_b64 v[2:3], v104 offset:528
	s_wait_dscnt 0x0
	ds_store_b64 v91, v[2:3] offset:24
.LBB187_49:                             ;   in Loop: Header=BB187_4 Depth=1
	s_or_b32 exec_lo, exec_lo, s92
	s_wait_dscnt 0x0
	s_barrier_signal -1
	s_barrier_wait -1
	ds_load_b64 v[14:15], v103
	ds_load_b128 v[2:5], v92 offset:256
	ds_load_2addr_b64 v[6:9], v104 offset1:33
	ds_load_b128 v[10:13], v92 offset:272
	ds_load_b64 v[18:19], v104 offset:528
	s_wait_dscnt 0x0
	s_barrier_signal -1
	s_barrier_wait -1
	v_pk_mul_f32 v[20:21], v[2:3], v[14:15] op_sel:[1,1] op_sel_hi:[0,1]
	v_dual_mov_b32 v22, v5 :: v_dual_mov_b32 v23, v4
	v_pk_mul_f32 v[24:25], v[10:11], v[8:9] op_sel:[1,1] op_sel_hi:[0,1]
	v_dual_mov_b32 v28, v13 :: v_dual_mov_b32 v29, v12
	s_delay_alu instid0(VALU_DEP_4) | instskip(NEXT) | instid1(VALU_DEP_4)
	v_pk_fma_f32 v[26:27], v[2:3], v[14:15], v[20:21] op_sel_hi:[1,0,1]
	v_pk_mul_f32 v[22:23], v[22:23], v[6:7] op_sel:[0,1]
	v_pk_fma_f32 v[2:3], v[2:3], v[14:15], v[20:21] neg_lo:[0,0,1] neg_hi:[0,0,1]
	v_pk_fma_f32 v[20:21], v[10:11], v[8:9], v[24:25] op_sel_hi:[1,0,1]
	s_delay_alu instid0(VALU_DEP_3)
	v_pk_fma_f32 v[14:15], v[4:5], v[6:7], v[22:23] op_sel_hi:[1,0,1]
	v_mov_b32_e32 v3, v27
	v_pk_fma_f32 v[4:5], v[4:5], v[6:7], v[22:23] neg_lo:[0,0,1] neg_hi:[0,0,1]
	v_pk_mul_f32 v[26:27], v[28:29], v[18:19] op_sel:[0,1]
	v_pk_fma_f32 v[6:7], v[10:11], v[8:9], v[24:25] neg_lo:[0,0,1] neg_hi:[0,0,1]
	v_mov_b32_e32 v5, v15
	v_pk_add_f32 v[2:3], v[2:3], 0 op_sel_hi:[1,0]
	s_delay_alu instid0(VALU_DEP_4) | instskip(SKIP_1) | instid1(VALU_DEP_3)
	v_pk_fma_f32 v[8:9], v[12:13], v[18:19], v[26:27] op_sel_hi:[1,0,1]
	v_mov_b32_e32 v7, v21
	v_pk_add_f32 v[2:3], v[2:3], v[4:5]
	v_pk_fma_f32 v[4:5], v[12:13], v[18:19], v[26:27] neg_lo:[0,0,1] neg_hi:[0,0,1]
	s_delay_alu instid0(VALU_DEP_4) | instskip(NEXT) | instid1(VALU_DEP_3)
	v_mov_b32_e32 v5, v9
	v_pk_add_f32 v[2:3], v[2:3], v[6:7]
	s_delay_alu instid0(VALU_DEP_1)
	v_pk_add_f32 v[2:3], v[2:3], v[4:5]
	ds_store_b64 v93, v[2:3]
	s_wait_dscnt 0x0
	s_barrier_signal -1
	s_barrier_wait -1
	s_and_saveexec_b32 s96, s17
	s_cbranch_execz .LBB187_51
; %bb.50:                               ;   in Loop: Header=BB187_4 Depth=1
	ds_load_2addr_b64 v[2:5], v90 offset1:7
	ds_load_2addr_b64 v[6:9], v90 offset0:1 offset1:2
	ds_load_2addr_b64 v[10:13], v90 offset0:3 offset1:4
	;; [unrolled: 1-line block ×3, first 2 shown]
	s_wait_dscnt 0x2
	v_dual_add_f32 v2, v6, v2 :: v_dual_add_f32 v3, v7, v3
	s_delay_alu instid0(VALU_DEP_1) | instskip(SKIP_1) | instid1(VALU_DEP_1)
	v_dual_add_f32 v2, v8, v2 :: v_dual_add_f32 v3, v9, v3
	s_wait_dscnt 0x1
	v_dual_add_f32 v2, v2, v10 :: v_dual_add_f32 v3, v3, v11
	s_delay_alu instid0(VALU_DEP_1) | instskip(SKIP_1) | instid1(VALU_DEP_1)
	v_dual_add_f32 v2, v2, v12 :: v_dual_add_f32 v3, v3, v13
	s_wait_dscnt 0x0
	v_dual_add_f32 v2, v2, v18 :: v_dual_add_f32 v3, v3, v19
	s_delay_alu instid0(VALU_DEP_1) | instskip(NEXT) | instid1(VALU_DEP_1)
	v_pk_add_f32 v[2:3], v[2:3], v[20:21]
	v_pk_add_f32 v[50:51], v[2:3], v[4:5]
.LBB187_51:                             ;   in Loop: Header=BB187_4 Depth=1
	s_or_b32 exec_lo, exec_lo, s96
	v_lshl_add_u64 v[18:19], s[48:49], 3, v[0:1]
	s_and_not1_b32 vcc_lo, exec_lo, s101
	s_mov_b32 s96, -1
	s_barrier_signal -1
	s_barrier_wait -1
	s_cbranch_vccnz .LBB187_53
; %bb.52:                               ;   in Loop: Header=BB187_4 Depth=1
	v_lshl_add_u64 v[0:1], s[40:41], 3, v[18:19]
	s_mov_b32 s96, 0
	s_delay_alu instid0(VALU_DEP_1) | instskip(NEXT) | instid1(VALU_DEP_1)
	v_add_nc_u64_e32 v[2:3], s[54:55], v[0:1]
	v_add_nc_u64_e32 v[4:5], s[54:55], v[2:3]
	s_clause 0x3
	flat_load_b64 v[6:7], v[18:19]
	flat_load_b64 v[0:1], v[0:1]
	;; [unrolled: 1-line block ×4, first 2 shown]
	s_wait_loadcnt_dscnt 0x303
	ds_store_b64 v102, v[6:7]
	s_wait_loadcnt_dscnt 0x203
	ds_store_b64 v102, v[0:1] offset:2112
	s_wait_loadcnt_dscnt 0x103
	ds_store_b64 v102, v[2:3] offset:4224
	;; [unrolled: 2-line block ×3, first 2 shown]
.LBB187_53:                             ;   in Loop: Header=BB187_4 Depth=1
	s_and_not1_b32 vcc_lo, exec_lo, s96
	s_cbranch_vccnz .LBB187_63
; %bb.54:                               ;   in Loop: Header=BB187_4 Depth=1
	s_wait_xcnt 0x2
	v_lshl_add_u64 v[0:1], v[42:43], 3, v[18:19]
	s_wait_xcnt 0x0
	v_dual_mov_b32 v4, 0 :: v_dual_mov_b32 v2, 0
	v_mov_b32_e32 v3, 0
	s_delay_alu instid0(VALU_DEP_3) | instskip(NEXT) | instid1(VALU_DEP_1)
	v_lshl_add_u64 v[0:1], s[30:31], 3, v[0:1]
	v_add_nc_u64_e32 v[0:1], s[90:91], v[0:1]
	s_delay_alu instid0(VALU_DEP_1)
	v_dual_cndmask_b32 v1, v1, v19, s12 :: v_dual_cndmask_b32 v0, v0, v18, s12
	s_and_saveexec_b32 s96, s3
	s_cbranch_execz .LBB187_56
; %bb.55:                               ;   in Loop: Header=BB187_4 Depth=1
	flat_load_b64 v[2:3], v[0:1]
.LBB187_56:                             ;   in Loop: Header=BB187_4 Depth=1
	s_wait_xcnt 0x0
	s_or_b32 exec_lo, exec_lo, s96
	v_mov_b32_e32 v5, 0
	s_wait_loadcnt_dscnt 0x0
	ds_store_b64 v102, v[2:3]
	s_and_saveexec_b32 s96, s4
	s_cbranch_execz .LBB187_58
; %bb.57:                               ;   in Loop: Header=BB187_4 Depth=1
	v_lshl_add_u64 v[2:3], s[40:41], 3, v[0:1]
	flat_load_b64 v[4:5], v[2:3]
.LBB187_58:                             ;   in Loop: Header=BB187_4 Depth=1
	s_wait_xcnt 0x0
	s_or_b32 exec_lo, exec_lo, s96
	v_dual_mov_b32 v2, 0 :: v_dual_mov_b32 v6, 0
	v_mov_b32_e32 v7, 0
	s_wait_loadcnt_dscnt 0x0
	ds_store_b64 v102, v[4:5] offset:2112
	s_and_saveexec_b32 s96, s5
	s_cbranch_execz .LBB187_60
; %bb.59:                               ;   in Loop: Header=BB187_4 Depth=1
	v_lshl_add_u64 v[4:5], s[42:43], 3, v[0:1]
	flat_load_b64 v[6:7], v[4:5]
.LBB187_60:                             ;   in Loop: Header=BB187_4 Depth=1
	s_wait_xcnt 0x0
	s_or_b32 exec_lo, exec_lo, s96
	v_mov_b32_e32 v3, 0
	s_wait_loadcnt_dscnt 0x0
	ds_store_b64 v102, v[6:7] offset:4224
	s_and_saveexec_b32 s96, s6
	s_cbranch_execz .LBB187_62
; %bb.61:                               ;   in Loop: Header=BB187_4 Depth=1
	v_lshl_add_u64 v[2:3], s[44:45], 3, v[0:1]
	flat_load_b64 v[2:3], v[2:3]
.LBB187_62:                             ;   in Loop: Header=BB187_4 Depth=1
	s_wait_xcnt 0x0
	s_or_b32 exec_lo, exec_lo, s96
	v_add_nc_u64_e32 v[0:1], v[0:1], v[34:35]
	s_wait_loadcnt_dscnt 0x0
	ds_store_b64 v102, v[2:3] offset:6336
	v_lshl_add_u64 v[0:1], s[56:57], 3, v[0:1]
	s_delay_alu instid0(VALU_DEP_1) | instskip(NEXT) | instid1(VALU_DEP_1)
	v_add_nc_u64_e32 v[0:1], 0x108, v[0:1]
	v_dual_cndmask_b32 v19, v1, v19, s12 :: v_dual_cndmask_b32 v18, v0, v18, s12
.LBB187_63:                             ;   in Loop: Header=BB187_4 Depth=1
	s_wait_dscnt 0x0
	s_barrier_signal -1
	s_barrier_wait -1
	ds_load_b64 v[8:9], v102
	ds_load_b64 v[10:11], v105
	ds_load_2addr_b64 v[20:23], v101 offset0:8 offset1:16
	ds_load_b64 v[12:13], v102 offset:2112
	ds_load_b64 v[24:25], v102 offset:4224
	;; [unrolled: 1-line block ×4, first 2 shown]
	s_wait_xcnt 0x0
	ds_load_2addr_b64 v[4:7], v94 offset1:1
	ds_load_2addr_b64 v[0:3], v94 offset0:2 offset1:3
	s_wait_dscnt 0x7
	v_pk_mul_f32 v[14:15], v[10:11], v[8:9] op_sel:[1,1] op_sel_hi:[0,1]
	s_wait_dscnt 0x5
	v_pk_mul_f32 v[30:31], v[20:21], v[12:13] op_sel:[1,1] op_sel_hi:[0,1]
	s_wait_dscnt 0x4
	v_pk_mul_f32 v[54:55], v[22:23], v[24:25] op_sel:[1,1] op_sel_hi:[0,1]
	v_pk_fma_f32 v[52:53], v[10:11], v[8:9], v[14:15] op_sel_hi:[1,0,1]
	v_pk_fma_f32 v[8:9], v[10:11], v[8:9], v[14:15] neg_lo:[0,0,1] neg_hi:[0,0,1]
	v_pk_fma_f32 v[10:11], v[20:21], v[12:13], v[30:31] op_sel_hi:[1,0,1]
	v_pk_fma_f32 v[20:21], v[20:21], v[12:13], v[30:31] neg_lo:[0,0,1] neg_hi:[0,0,1]
	v_pk_fma_f32 v[30:31], v[22:23], v[24:25], v[54:55] op_sel_hi:[1,0,1]
	v_mov_b32_e32 v9, v53
	s_wait_dscnt 0x2
	v_pk_mul_f32 v[52:53], v[28:29], v[26:27] op_sel:[1,1] op_sel_hi:[0,1]
	v_mov_b32_e32 v21, v11
	v_pk_fma_f32 v[22:23], v[22:23], v[24:25], v[54:55] neg_lo:[0,0,1] neg_hi:[0,0,1]
	v_pk_add_f32 v[56:57], v[8:9], 0 op_sel_hi:[1,0]
	ds_load_b128 v[12:15], v92 offset:256
	ds_load_b128 v[8:11], v92 offset:272
	v_pk_fma_f32 v[24:25], v[28:29], v[26:27], v[52:53] op_sel_hi:[1,0,1]
	v_mov_b32_e32 v23, v31
	v_pk_fma_f32 v[26:27], v[28:29], v[26:27], v[52:53] neg_lo:[0,0,1] neg_hi:[0,0,1]
	v_pk_add_f32 v[20:21], v[56:57], v[20:21]
	s_wait_dscnt 0x0
	v_mov_b32_e32 v27, v25
	s_barrier_signal -1
	s_barrier_wait -1
	v_pk_add_f32 v[20:21], v[20:21], v[22:23]
	s_delay_alu instid0(VALU_DEP_1)
	v_pk_add_f32 v[20:21], v[20:21], v[26:27]
	ds_store_b64 v93, v[20:21]
	s_wait_dscnt 0x0
	s_barrier_signal -1
	s_barrier_wait -1
	s_and_saveexec_b32 s96, s17
	s_cbranch_execz .LBB187_65
; %bb.64:                               ;   in Loop: Header=BB187_4 Depth=1
	ds_load_2addr_b64 v[20:23], v90 offset1:1
	ds_load_2addr_b64 v[24:27], v90 offset0:2 offset1:3
	ds_load_2addr_b64 v[28:31], v90 offset0:4 offset1:5
	s_wait_dscnt 0x2
	v_pk_add_f32 v[20:21], v[50:51], v[20:21]
	s_delay_alu instid0(VALU_DEP_1) | instskip(SKIP_1) | instid1(VALU_DEP_1)
	v_pk_add_f32 v[20:21], v[20:21], v[22:23]
	s_wait_dscnt 0x1
	v_pk_add_f32 v[24:25], v[20:21], v[24:25]
	ds_load_2addr_b64 v[20:23], v90 offset0:6 offset1:7
	v_pk_add_f32 v[24:25], v[24:25], v[26:27]
	s_wait_dscnt 0x1
	s_delay_alu instid0(VALU_DEP_1) | instskip(NEXT) | instid1(VALU_DEP_1)
	v_pk_add_f32 v[24:25], v[24:25], v[28:29]
	v_pk_add_f32 v[24:25], v[24:25], v[30:31]
	s_wait_dscnt 0x0
	s_delay_alu instid0(VALU_DEP_1) | instskip(NEXT) | instid1(VALU_DEP_1)
	v_pk_add_f32 v[20:21], v[24:25], v[20:21]
	v_pk_add_f32 v[50:51], v[20:21], v[22:23]
.LBB187_65:                             ;   in Loop: Header=BB187_4 Depth=1
	s_or_b32 exec_lo, exec_lo, s96
	v_pk_mul_f32 v[20:21], v[12:13], v[4:5] op_sel:[1,1] op_sel_hi:[0,1]
	v_dual_mov_b32 v22, v15 :: v_dual_mov_b32 v23, v14
	v_dual_mov_b32 v24, v7 :: v_dual_mov_b32 v30, v11
	s_delay_alu instid0(VALU_DEP_3) | instskip(SKIP_2) | instid1(VALU_DEP_4)
	v_pk_fma_f32 v[28:29], v[12:13], v[4:5], v[20:21] op_sel_hi:[1,0,1]
	v_pk_fma_f32 v[4:5], v[12:13], v[4:5], v[20:21] neg_lo:[0,0,1] neg_hi:[0,0,1]
	v_pk_mul_f32 v[26:27], v[8:9], v[0:1] op_sel:[1,1] op_sel_hi:[0,1]
	v_pk_mul_f32 v[22:23], v[22:23], v[24:25] op_sel_hi:[1,0]
	s_delay_alu instid0(VALU_DEP_4) | instskip(NEXT) | instid1(VALU_DEP_3)
	v_dual_mov_b32 v31, v10 :: v_dual_mov_b32 v5, v29
	v_pk_fma_f32 v[24:25], v[8:9], v[0:1], v[26:27] op_sel_hi:[1,0,1]
	s_delay_alu instid0(VALU_DEP_3)
	v_pk_fma_f32 v[20:21], v[14:15], v[6:7], v[22:23] op_sel_hi:[1,0,1]
	v_mov_b32_e32 v12, v3
	v_pk_fma_f32 v[6:7], v[14:15], v[6:7], v[22:23] neg_lo:[0,0,1] neg_hi:[0,0,1]
	v_pk_add_f32 v[4:5], v[4:5], 0 op_sel_hi:[1,0]
	v_pk_fma_f32 v[0:1], v[8:9], v[0:1], v[26:27] neg_lo:[0,0,1] neg_hi:[0,0,1]
	v_mov_b32_e32 v7, v21
	v_pk_mul_f32 v[12:13], v[30:31], v[12:13] op_sel_hi:[1,0]
	s_barrier_signal -1
	s_barrier_wait -1
	s_delay_alu instid0(VALU_DEP_2) | instskip(NEXT) | instid1(VALU_DEP_2)
	v_pk_add_f32 v[4:5], v[4:5], v[6:7]
	v_pk_fma_f32 v[8:9], v[10:11], v[2:3], v[12:13] op_sel_hi:[1,0,1]
	v_mov_b32_e32 v1, v25
	v_pk_fma_f32 v[2:3], v[10:11], v[2:3], v[12:13] neg_lo:[0,0,1] neg_hi:[0,0,1]
	s_delay_alu instid0(VALU_DEP_3) | instskip(NEXT) | instid1(VALU_DEP_3)
	v_mov_b32_e32 v3, v9
	v_pk_add_f32 v[0:1], v[4:5], v[0:1]
	s_delay_alu instid0(VALU_DEP_1)
	v_pk_add_f32 v[0:1], v[0:1], v[2:3]
	ds_store_b64 v93, v[0:1]
	s_wait_dscnt 0x0
	s_barrier_signal -1
	s_barrier_wait -1
	s_and_saveexec_b32 s96, s11
	s_cbranch_execz .LBB187_67
; %bb.66:                               ;   in Loop: Header=BB187_4 Depth=1
	ds_load_2addr_b64 v[0:3], v90 offset1:1
	ds_load_2addr_b64 v[4:7], v90 offset0:2 offset1:3
	ds_load_2addr_b64 v[8:11], v90 offset0:4 offset1:5
	s_wait_dscnt 0x2
	v_pk_add_f32 v[0:1], v[50:51], v[0:1]
	s_delay_alu instid0(VALU_DEP_1) | instskip(SKIP_1) | instid1(VALU_DEP_1)
	v_pk_add_f32 v[0:1], v[0:1], v[2:3]
	s_wait_dscnt 0x1
	v_pk_add_f32 v[4:5], v[0:1], v[4:5]
	ds_load_2addr_b64 v[0:3], v90 offset0:6 offset1:7
	v_pk_add_f32 v[4:5], v[4:5], v[6:7]
	s_wait_dscnt 0x1
	s_delay_alu instid0(VALU_DEP_1) | instskip(NEXT) | instid1(VALU_DEP_1)
	v_pk_add_f32 v[4:5], v[4:5], v[8:9]
	v_pk_add_f32 v[4:5], v[4:5], v[10:11]
	s_wait_dscnt 0x0
	s_delay_alu instid0(VALU_DEP_1) | instskip(NEXT) | instid1(VALU_DEP_1)
	v_pk_add_f32 v[0:1], v[4:5], v[0:1]
	v_pk_add_f32 v[50:51], v[0:1], v[2:3]
.LBB187_67:                             ;   in Loop: Header=BB187_4 Depth=1
	s_or_b32 exec_lo, exec_lo, s96
	s_mul_u64 s[92:93], s[34:35], s[28:29]
	s_and_not1_b32 vcc_lo, exec_lo, s102
	s_lshl_b64 s[92:93], s[92:93], 3
	s_delay_alu instid0(SALU_CYCLE_1)
	s_add_nc_u64 s[96:97], s[36:37], s[92:93]
	s_barrier_signal -1
	s_barrier_wait -1
	s_cbranch_vccnz .LBB187_74
; %bb.68:                               ;   in Loop: Header=BB187_4 Depth=1
	v_sub_nc_u64_e32 v[0:1], 0, v[40:41]
	v_lshl_add_u64 v[2:3], s[52:53], 3, v[18:19]
	s_mov_b64 s[92:93], 0xffffffffffffff00
	v_lshl_add_u64 v[52:53], s[50:51], 3, v[16:17]
	v_mov_b32_e32 v107, v32
	s_mov_b32 s98, 0
	s_mov_b32 vcc_lo, s33
	v_lshl_add_u64 v[0:1], v[0:1], 3, v[2:3]
	s_delay_alu instid0(VALU_DEP_1) | instskip(NEXT) | instid1(VALU_DEP_1)
	v_lshl_add_u64 v[0:1], v[44:45], 3, v[0:1]
	v_lshl_add_u64 v[2:3], v[46:47], 3, v[0:1]
	v_add_nc_u64_e32 v[0:1], s[92:93], v[0:1]
	s_delay_alu instid0(VALU_DEP_2) | instskip(NEXT) | instid1(VALU_DEP_1)
	v_lshl_add_u64 v[2:3], s[30:31], 3, v[2:3]
	v_add_nc_u64_e32 v[2:3], s[90:91], v[2:3]
	s_delay_alu instid0(VALU_DEP_1)
	v_dual_cndmask_b32 v55, v1, v3, s1 :: v_dual_cndmask_b32 v54, v0, v2, s1
	s_branch .LBB187_70
.LBB187_69:                             ;   in Loop: Header=BB187_70 Depth=2
	s_wait_xcnt 0x0
	s_or_b32 exec_lo, exec_lo, s99
	v_dual_mul_f32 v108, v5, v61 :: v_dual_mul_f32 v5, v5, v60
	v_dual_mul_f32 v109, v7, v63 :: v_dual_mul_f32 v7, v7, v62
	s_delay_alu instid0(VALU_DEP_2) | instskip(NEXT) | instid1(VALU_DEP_3)
	v_dual_mul_f32 v110, v1, v59 :: v_dual_fma_f32 v60, v4, v60, -v108
	v_dual_mul_f32 v1, v1, v58 :: v_dual_fmac_f32 v5, v4, v61
	s_delay_alu instid0(VALU_DEP_3) | instskip(NEXT) | instid1(VALU_DEP_3)
	v_dual_mul_f32 v4, v3, v57 :: v_dual_fma_f32 v61, v6, v62, -v109
	v_add_f32_e32 v50, v50, v60
	v_dual_fmac_f32 v7, v6, v63 :: v_dual_mul_f32 v3, v3, v56
	s_delay_alu instid0(VALU_DEP_4) | instskip(NEXT) | instid1(VALU_DEP_3)
	v_dual_add_f32 v5, v51, v5 :: v_dual_fma_f32 v6, v0, v58, -v110
	v_dual_add_f32 v50, v50, v61 :: v_dual_fmac_f32 v1, v0, v59
	s_delay_alu instid0(VALU_DEP_2) | instskip(NEXT) | instid1(VALU_DEP_2)
	v_dual_fma_f32 v4, v2, v56, -v4 :: v_dual_add_f32 v0, v5, v7
	v_dual_mul_f32 v5, v9, v73 :: v_dual_add_f32 v6, v50, v6
	v_dual_fmac_f32 v3, v2, v57 :: v_dual_mul_f32 v2, v9, v72
	s_delay_alu instid0(VALU_DEP_3) | instskip(NEXT) | instid1(VALU_DEP_3)
	v_dual_add_f32 v0, v0, v1 :: v_dual_mul_f32 v1, v11, v71
	v_add_f32_e32 v4, v6, v4
	s_delay_alu instid0(VALU_DEP_4) | instskip(NEXT) | instid1(VALU_DEP_3)
	v_dual_fma_f32 v5, v8, v72, -v5 :: v_dual_mul_f32 v6, v11, v70
	v_dual_add_f32 v0, v0, v3 :: v_dual_fma_f32 v1, v10, v70, -v1
	v_fmac_f32_e32 v2, v8, v73
	s_delay_alu instid0(VALU_DEP_3) | instskip(SKIP_2) | instid1(VALU_DEP_3)
	v_dual_add_f32 v3, v4, v5 :: v_dual_fmac_f32 v6, v10, v71
	v_mul_f32_e32 v4, v13, v67
	v_add_nc_u64_e32 v[54:55], s[62:63], v[54:55]
	v_dual_add_f32 v7, v0, v2 :: v_dual_add_f32 v0, v3, v1
	s_delay_alu instid0(VALU_DEP_3) | instskip(SKIP_1) | instid1(VALU_DEP_2)
	v_dual_mul_f32 v3, v13, v66 :: v_dual_fma_f32 v2, v12, v66, -v4
	v_dual_mul_f32 v4, v15, v65 :: v_dual_mul_f32 v5, v15, v64
	v_dual_add_f32 v1, v7, v6 :: v_dual_fmac_f32 v3, v12, v67
	s_delay_alu instid0(VALU_DEP_2) | instskip(NEXT) | instid1(VALU_DEP_3)
	v_dual_mov_b32 v6, v79 :: v_dual_fma_f32 v4, v14, v64, -v4
	v_dual_fmac_f32 v5, v14, v65 :: v_dual_mov_b32 v8, v77
	s_delay_alu instid0(VALU_DEP_3) | instskip(NEXT) | instid1(VALU_DEP_3)
	v_pk_add_f32 v[0:1], v[0:1], v[2:3]
	v_pk_mul_f32 v[2:3], v[28:29], v[6:7] op_sel:[1,0] op_sel_hi:[0,0]
	v_dual_mov_b32 v6, v31 :: v_dual_mov_b32 v7, v30
	v_mov_b32_e32 v13, v26
	s_delay_alu instid0(VALU_DEP_4) | instskip(NEXT) | instid1(VALU_DEP_4)
	v_pk_add_f32 v[0:1], v[0:1], v[4:5]
	v_pk_fma_f32 v[10:11], v[28:29], v[78:79], v[2:3] op_sel_hi:[1,0,1]
	v_pk_fma_f32 v[2:3], v[28:29], v[78:79], v[2:3] neg_lo:[0,0,1] neg_hi:[0,0,1]
	v_pk_mul_f32 v[4:5], v[6:7], v[8:9] op_sel_hi:[1,0]
	v_dual_mov_b32 v6, v75 :: v_dual_add_nc_u32 v107, 64, v107
	s_delay_alu instid0(VALU_DEP_4) | instskip(SKIP_1) | instid1(VALU_DEP_3)
	v_mov_b32_e32 v3, v11
	s_add_co_i32 vcc_lo, vcc_lo, -1
	v_pk_fma_f32 v[8:9], v[30:31], v[76:77], v[4:5] op_sel_hi:[1,0,1]
	s_delay_alu instid0(VALU_DEP_3)
	v_pk_mul_f32 v[6:7], v[16:17], v[6:7] op_sel:[1,0] op_sel_hi:[0,0]
	v_mov_b32_e32 v8, v19
	v_pk_add_f32 v[0:1], v[0:1], v[2:3]
	v_pk_fma_f32 v[2:3], v[30:31], v[76:77], v[4:5] neg_lo:[0,0,1] neg_hi:[0,0,1]
	v_mov_b32_e32 v3, v9
	v_pk_fma_f32 v[4:5], v[16:17], v[74:75], v[6:7] op_sel_hi:[1,0,1]
	v_dual_mov_b32 v9, v18 :: v_dual_mov_b32 v4, v69
	s_add_co_i32 s98, s98, s103
	s_delay_alu instid0(VALU_DEP_3)
	v_pk_add_f32 v[0:1], v[0:1], v[2:3]
	v_pk_fma_f32 v[2:3], v[16:17], v[74:75], v[6:7] neg_lo:[0,0,1] neg_hi:[0,0,1]
	v_mov_b32_e32 v3, v5
	v_pk_mul_f32 v[4:5], v[8:9], v[4:5] op_sel_hi:[1,0]
	v_dual_mov_b32 v6, v23 :: v_dual_mov_b32 v7, v22
	s_cmp_eq_u32 vcc_lo, 0
	s_delay_alu instid0(VALU_DEP_3) | instskip(NEXT) | instid1(VALU_DEP_3)
	v_pk_add_f32 v[0:1], v[0:1], v[2:3]
	v_pk_fma_f32 v[2:3], v[18:19], v[68:69], v[4:5] op_sel_hi:[1,0,1]
	v_mov_b32_e32 v2, v87
	v_pk_fma_f32 v[4:5], v[18:19], v[68:69], v[4:5] neg_lo:[0,0,1] neg_hi:[0,0,1]
	v_dual_mov_b32 v8, v85 :: v_dual_mov_b32 v12, v27
	s_delay_alu instid0(VALU_DEP_4) | instskip(NEXT) | instid1(VALU_DEP_4)
	v_mov_b32_e32 v5, v3
	v_pk_mul_f32 v[2:3], v[20:21], v[2:3] op_sel:[1,0] op_sel_hi:[0,0]
	s_wait_storecnt 0x0
	s_delay_alu instid0(VALU_DEP_3)
	v_pk_mul_f32 v[6:7], v[6:7], v[8:9] op_sel_hi:[1,0]
	v_mov_b32_e32 v8, v83
	v_pk_add_f32 v[0:1], v[0:1], v[4:5]
	v_pk_fma_f32 v[4:5], v[20:21], v[86:87], v[2:3] neg_lo:[0,0,1] neg_hi:[0,0,1]
	v_pk_fma_f32 v[2:3], v[20:21], v[86:87], v[2:3] op_sel_hi:[1,0,1]
	v_pk_fma_f32 v[10:11], v[22:23], v[84:85], v[6:7] op_sel_hi:[1,0,1]
	v_pk_mul_f32 v[8:9], v[24:25], v[8:9] op_sel:[1,0] op_sel_hi:[0,0]
	v_mov_b32_e32 v2, v81
	v_pk_fma_f32 v[6:7], v[22:23], v[84:85], v[6:7] neg_lo:[0,0,1] neg_hi:[0,0,1]
	s_delay_alu instid0(VALU_DEP_4) | instskip(NEXT) | instid1(VALU_DEP_4)
	v_dual_mov_b32 v5, v3 :: v_dual_mov_b32 v7, v11
	v_pk_fma_f32 v[10:11], v[24:25], v[82:83], v[8:9] op_sel_hi:[1,0,1]
	s_delay_alu instid0(VALU_DEP_4) | instskip(SKIP_1) | instid1(VALU_DEP_3)
	v_pk_mul_f32 v[2:3], v[12:13], v[2:3] op_sel_hi:[1,0]
	s_barrier_signal -1
	v_pk_add_f32 v[0:1], v[0:1], v[4:5]
	v_pk_fma_f32 v[4:5], v[24:25], v[82:83], v[8:9] neg_lo:[0,0,1] neg_hi:[0,0,1]
	s_barrier_wait -1
	v_pk_fma_f32 v[8:9], v[26:27], v[80:81], v[2:3] op_sel_hi:[1,0,1]
	v_mov_b32_e32 v5, v11
	v_pk_add_f32 v[0:1], v[0:1], v[6:7]
	v_pk_fma_f32 v[2:3], v[26:27], v[80:81], v[2:3] neg_lo:[0,0,1] neg_hi:[0,0,1]
	s_delay_alu instid0(VALU_DEP_4) | instskip(NEXT) | instid1(VALU_DEP_3)
	v_mov_b32_e32 v3, v9
	v_pk_add_f32 v[0:1], v[0:1], v[4:5]
	s_delay_alu instid0(VALU_DEP_1)
	v_pk_add_f32 v[50:51], v[0:1], v[2:3]
	s_cbranch_scc1 .LBB187_74
.LBB187_70:                             ;   Parent Loop BB187_4 Depth=1
                                        ; =>  This Inner Loop Header: Depth=2
	s_and_saveexec_b32 s92, s0
	s_cbranch_execz .LBB187_72
; %bb.71:                               ;   in Loop: Header=BB187_70 Depth=2
	s_ashr_i32 s99, s98, 31
	s_delay_alu instid0(SALU_CYCLE_1)
	v_lshl_add_u64 v[0:1], s[98:99], 3, v[52:53]
	flat_load_b64 v[0:1], v[0:1]
	s_wait_loadcnt_dscnt 0x0
	ds_store_b64 v33, v[0:1]
.LBB187_72:                             ;   in Loop: Header=BB187_70 Depth=2
	s_wait_xcnt 0x0
	s_or_b32 exec_lo, exec_lo, s92
	v_add_nc_u64_e32 v[0:1], s[58:59], v[54:55]
	v_add_nc_u64_e32 v[2:3], s[60:61], v[54:55]
	;; [unrolled: 1-line block ×3, first 2 shown]
	s_wait_dscnt 0x0
	s_barrier_signal -1
	s_barrier_wait -1
	s_clause 0x3
	flat_load_b64 v[60:61], v[54:55]
	flat_load_b64 v[62:63], v[0:1]
	;; [unrolled: 1-line block ×4, first 2 shown]
	ds_load_b64 v[8:9], v89
	s_wait_xcnt 0x0
	ds_load_b128 v[4:7], v95
	v_add_nc_u64_e32 v[12:13], s[66:67], v[54:55]
	v_add_nc_u64_e32 v[24:25], s[68:69], v[54:55]
	;; [unrolled: 1-line block ×3, first 2 shown]
	ds_load_b128 v[0:3], v95 offset:16
	v_add_nc_u64_e32 v[28:29], s[72:73], v[54:55]
	v_add_nc_u64_e32 v[30:31], s[86:87], v[54:55]
	;; [unrolled: 1-line block ×4, first 2 shown]
	s_wait_loadcnt_dscnt 0x202
	v_dual_mul_f32 v14, v9, v63 :: v_dual_mul_f32 v15, v9, v62
	v_dual_mul_f32 v10, v9, v61 :: v_dual_mul_f32 v11, v9, v60
	s_wait_loadcnt 0x1
	v_dual_mul_f32 v16, v9, v59 :: v_dual_mul_f32 v17, v9, v58
	s_wait_loadcnt 0x0
	v_dual_mul_f32 v18, v9, v57 :: v_dual_mul_f32 v19, v8, v57
	v_dual_fma_f32 v10, v8, v60, -v10 :: v_dual_fmac_f32 v11, v8, v61
	v_dual_fma_f32 v14, v8, v62, -v14 :: v_dual_fmac_f32 v15, v8, v63
	;; [unrolled: 1-line block ×3, first 2 shown]
	s_delay_alu instid0(VALU_DEP_4)
	v_dual_fma_f32 v18, v8, v56, -v18 :: v_dual_fmac_f32 v19, v9, v56
	v_add_nc_u64_e32 v[8:9], s[88:89], v[54:55]
	ds_store_2addr_b64 v96, v[10:11], v[14:15] offset1:67
	ds_store_2addr_b64 v96, v[16:17], v[18:19] offset0:134 offset1:201
	s_wait_dscnt 0x0
	s_barrier_signal -1
	s_barrier_wait -1
	ds_load_2addr_b64 v[16:19], v97 offset1:1
	ds_load_2addr_b64 v[20:23], v97 offset0:2 offset1:3
	s_wait_dscnt 0x0
	s_barrier_signal -1
	s_barrier_wait -1
	s_clause 0x3
	flat_load_b64 v[72:73], v[12:13]
	flat_load_b64 v[70:71], v[8:9]
	;; [unrolled: 1-line block ×4, first 2 shown]
	s_wait_xcnt 0x3
	ds_load_b64 v[12:13], v89
	s_wait_xcnt 0x2
	ds_load_b128 v[8:11], v95 offset:128
	v_pk_add_f32 v[16:17], v[16:17], 0 op_sel_hi:[1,0]
	s_delay_alu instid0(VALU_DEP_1) | instskip(NEXT) | instid1(VALU_DEP_1)
	v_pk_add_f32 v[16:17], v[16:17], v[18:19]
	v_pk_add_f32 v[16:17], v[16:17], v[20:21]
	s_delay_alu instid0(VALU_DEP_1)
	v_pk_add_f32 v[120:121], v[16:17], v[22:23]
	s_wait_loadcnt_dscnt 0x301
	s_wait_xcnt 0x1
	v_dual_mul_f32 v14, v13, v73 :: v_dual_mul_f32 v25, v13, v72
	s_wait_loadcnt 0x2
	s_wait_xcnt 0x0
	v_dual_mul_f32 v15, v13, v71 :: v_dual_mul_f32 v27, v13, v70
	s_wait_loadcnt 0x1
	v_dual_mul_f32 v68, v13, v67 :: v_dual_mul_f32 v69, v13, v66
	s_wait_loadcnt 0x0
	v_dual_mul_f32 v74, v13, v65 :: v_dual_mul_f32 v75, v12, v65
	v_dual_fma_f32 v24, v12, v72, -v14 :: v_dual_fmac_f32 v25, v12, v73
	s_delay_alu instid0(VALU_DEP_3) | instskip(SKIP_1) | instid1(VALU_DEP_4)
	v_dual_fma_f32 v26, v12, v70, -v15 :: v_dual_fmac_f32 v69, v12, v67
	v_dual_fmac_f32 v27, v12, v71 :: v_dual_fma_f32 v68, v12, v66, -v68
	v_dual_fma_f32 v74, v12, v64, -v74 :: v_dual_fmac_f32 v75, v13, v64
	ds_load_b128 v[12:15], v95 offset:144
	ds_store_2addr_b64 v96, v[24:25], v[26:27] offset1:67
	ds_store_2addr_b64 v96, v[68:69], v[74:75] offset0:134 offset1:201
	s_wait_dscnt 0x0
	s_barrier_signal -1
	s_barrier_wait -1
	ds_load_2addr_b64 v[24:27], v97 offset1:1
	ds_load_2addr_b64 v[80:83], v97 offset0:2 offset1:3
	s_wait_dscnt 0x0
	s_barrier_signal -1
	s_barrier_wait -1
	s_clause 0x3
	flat_load_b64 v[78:79], v[28:29]
	flat_load_b64 v[76:77], v[30:31]
	;; [unrolled: 1-line block ×4, first 2 shown]
	s_wait_xcnt 0x1
	ds_load_b64 v[84:85], v89
	ds_load_b128 v[28:31], v95 offset:256
	s_wait_xcnt 0x0
	v_add_nc_u64_e32 v[86:87], s[78:79], v[54:55]
	v_pk_add_f32 v[16:17], v[24:25], 0 op_sel_hi:[1,0]
	s_delay_alu instid0(VALU_DEP_1)
	v_pk_add_f32 v[26:27], v[16:17], v[26:27]
	s_wait_loadcnt_dscnt 0x301
	v_dual_mul_f32 v18, v85, v79 :: v_dual_mul_f32 v21, v85, v78
	s_wait_loadcnt 0x2
	v_dual_mul_f32 v19, v85, v77 :: v_dual_mul_f32 v23, v85, v76
	s_wait_loadcnt 0x1
	;; [unrolled: 2-line block ×3, first 2 shown]
	v_dual_fma_f32 v20, v84, v78, -v18 :: v_dual_mul_f32 v18, v85, v69
	v_dual_mul_f32 v109, v84, v69 :: v_dual_fmac_f32 v21, v84, v79
	s_delay_alu instid0(VALU_DEP_3) | instskip(SKIP_1) | instid1(VALU_DEP_3)
	v_dual_fma_f32 v22, v84, v76, -v19 :: v_dual_fma_f32 v24, v84, v74, -v24
	v_dual_fmac_f32 v23, v84, v77 :: v_dual_fmac_f32 v25, v84, v75
	v_dual_fma_f32 v108, v84, v68, -v18 :: v_dual_fmac_f32 v109, v85, v68
	ds_load_b128 v[16:19], v95 offset:272
	ds_store_2addr_b64 v96, v[20:21], v[22:23] offset1:67
	ds_store_2addr_b64 v96, v[24:25], v[108:109] offset0:134 offset1:201
	s_wait_dscnt 0x0
	s_barrier_signal -1
	s_barrier_wait -1
	ds_load_2addr_b64 v[20:23], v97 offset1:1
	ds_load_2addr_b64 v[108:111], v97 offset0:2 offset1:3
	v_add_nc_u64_e32 v[84:85], s[84:85], v[54:55]
	s_wait_dscnt 0x0
	s_barrier_signal -1
	s_barrier_wait -1
	s_clause 0x1
	flat_load_b64 v[86:87], v[86:87]
	flat_load_b64 v[84:85], v[84:85]
	v_pk_add_f32 v[24:25], v[26:27], v[80:81]
	s_delay_alu instid0(VALU_DEP_1) | instskip(SKIP_2) | instid1(VALU_DEP_1)
	v_pk_add_f32 v[122:123], v[24:25], v[82:83]
	v_add_nc_u64_e32 v[24:25], s[80:81], v[54:55]
	v_pk_add_f32 v[20:21], v[20:21], 0 op_sel_hi:[1,0]
	v_pk_add_f32 v[124:125], v[20:21], v[22:23]
	v_add_nc_u64_e32 v[20:21], s[82:83], v[54:55]
	s_clause 0x1
	flat_load_b64 v[82:83], v[24:25]
	flat_load_b64 v[80:81], v[20:21]
	s_wait_xcnt 0x1
	ds_load_b64 v[24:25], v89
	s_wait_xcnt 0x0
	ds_load_b128 v[20:23], v95 offset:384
	v_pk_add_f32 v[108:109], v[124:125], v[108:109]
	s_delay_alu instid0(VALU_DEP_1) | instskip(SKIP_4) | instid1(VALU_DEP_2)
	v_pk_add_f32 v[108:109], v[108:109], v[110:111]
	s_wait_loadcnt_dscnt 0x301
	v_dual_mul_f32 v26, v25, v87 :: v_dual_mul_f32 v27, v25, v86
	s_wait_loadcnt 0x2
	v_dual_mul_f32 v112, v25, v85 :: v_dual_mul_f32 v113, v25, v84
	v_dual_fma_f32 v26, v24, v86, -v26 :: v_dual_fmac_f32 v27, v24, v87
	s_delay_alu instid0(VALU_DEP_2)
	v_dual_fma_f32 v112, v24, v84, -v112 :: v_dual_fmac_f32 v113, v24, v85
	ds_store_2addr_b64 v96, v[26:27], v[112:113] offset1:67
	s_wait_loadcnt 0x1
	v_dual_mul_f32 v26, v25, v83 :: v_dual_mul_f32 v27, v25, v82
	s_wait_loadcnt 0x0
	v_dual_mul_f32 v112, v25, v81 :: v_dual_mul_f32 v113, v24, v81
	s_delay_alu instid0(VALU_DEP_2) | instskip(NEXT) | instid1(VALU_DEP_2)
	v_dual_fma_f32 v26, v24, v82, -v26 :: v_dual_fmac_f32 v27, v24, v83
	v_dual_fma_f32 v112, v24, v80, -v112 :: v_dual_fmac_f32 v113, v25, v80
	ds_store_2addr_b64 v96, v[26:27], v[112:113] offset0:134 offset1:201
	ds_load_b128 v[24:27], v95 offset:400
	s_wait_dscnt 0x0
	s_barrier_signal -1
	s_barrier_wait -1
	ds_load_2addr_b64 v[112:115], v97 offset1:1
	ds_load_2addr_b64 v[116:119], v97 offset0:2 offset1:3
	s_wait_dscnt 0x0
	s_barrier_signal -1
	s_barrier_wait -1
	v_pk_add_f32 v[112:113], v[112:113], 0 op_sel_hi:[1,0]
	s_delay_alu instid0(VALU_DEP_1) | instskip(NEXT) | instid1(VALU_DEP_1)
	v_pk_add_f32 v[112:113], v[112:113], v[114:115]
	v_pk_add_f32 v[110:111], v[112:113], v[116:117]
	s_delay_alu instid0(VALU_DEP_1)
	v_pk_add_f32 v[110:111], v[110:111], v[118:119]
	ds_store_2addr_b64 v106, v[120:121], v[122:123] offset1:16
	ds_store_2addr_b64 v106, v[108:109], v[110:111] offset0:32 offset1:48
	s_wait_dscnt 0x0
	s_barrier_signal -1
	s_barrier_wait -1
	s_and_saveexec_b32 s99, s18
	s_cbranch_execz .LBB187_69
; %bb.73:                               ;   in Loop: Header=BB187_70 Depth=2
	ds_load_b64 v[120:121], v98
	ds_load_2addr_b64 v[108:111], v98 offset0:1 offset1:2
	ds_load_2addr_b64 v[112:115], v98 offset0:3 offset1:4
	;; [unrolled: 1-line block ×3, first 2 shown]
	s_wait_dscnt 0x2
	v_dual_add_f32 v108, v108, v120 :: v_dual_add_f32 v109, v109, v121
	s_delay_alu instid0(VALU_DEP_1) | instskip(SKIP_3) | instid1(VALU_DEP_1)
	v_dual_add_f32 v120, v110, v108 :: v_dual_add_f32 v121, v111, v109
	ds_load_2addr_b64 v[108:111], v98 offset0:7 offset1:8
	s_wait_dscnt 0x2
	v_dual_add_f32 v112, v120, v112 :: v_dual_add_f32 v113, v121, v113
	v_dual_add_f32 v120, v112, v114 :: v_dual_add_f32 v121, v113, v115
	ds_load_2addr_b64 v[112:115], v98 offset0:9 offset1:10
	s_wait_dscnt 0x2
	v_pk_add_f32 v[116:117], v[120:121], v[116:117]
	s_delay_alu instid0(VALU_DEP_1) | instskip(SKIP_3) | instid1(VALU_DEP_1)
	v_pk_add_f32 v[120:121], v[116:117], v[118:119]
	ds_load_2addr_b64 v[116:119], v98 offset0:11 offset1:12
	s_wait_dscnt 0x2
	v_pk_add_f32 v[108:109], v[120:121], v[108:109]
	v_pk_add_f32 v[108:109], v[108:109], v[110:111]
	s_wait_dscnt 0x1
	s_delay_alu instid0(VALU_DEP_1)
	v_pk_add_f32 v[112:113], v[108:109], v[112:113]
	ds_load_2addr_b64 v[108:111], v98 offset0:13 offset1:14
	v_pk_add_f32 v[112:113], v[112:113], v[114:115]
	ds_load_b64 v[114:115], v99
	s_wait_dscnt 0x2
	v_pk_add_f32 v[112:113], v[112:113], v[116:117]
	s_delay_alu instid0(VALU_DEP_1) | instskip(SKIP_1) | instid1(VALU_DEP_1)
	v_pk_add_f32 v[112:113], v[112:113], v[118:119]
	s_wait_dscnt 0x1
	v_pk_add_f32 v[108:109], v[112:113], v[108:109]
	s_delay_alu instid0(VALU_DEP_1) | instskip(SKIP_1) | instid1(VALU_DEP_1)
	v_pk_add_f32 v[108:109], v[108:109], v[110:111]
	s_wait_dscnt 0x0
	v_pk_add_f32 v[108:109], v[108:109], v[114:115]
	global_store_b64 v107, v[108:109], s[96:97] scale_offset
	s_branch .LBB187_69
.LBB187_74:                             ;   in Loop: Header=BB187_4 Depth=1
	ds_store_b64 v100, v[50:51]
	s_wait_dscnt 0x0
	s_barrier_signal -1
	s_barrier_wait -1
	s_and_saveexec_b32 s98, s104
	s_cbranch_execz .LBB187_2
; %bb.75:                               ;   in Loop: Header=BB187_4 Depth=1
	ds_load_2addr_b64 v[0:3], v88 offset1:67
	ds_load_2addr_b64 v[4:7], v88 offset0:134 offset1:201
	s_wait_dscnt 0x1
	v_pk_add_f32 v[0:1], v[2:3], v[0:1]
	v_lshl_add_u64 v[2:3], v[36:37], 3, s[96:97]
	s_wait_dscnt 0x0
	s_delay_alu instid0(VALU_DEP_2) | instskip(NEXT) | instid1(VALU_DEP_1)
	v_pk_add_f32 v[0:1], v[4:5], v[0:1]
	v_pk_add_f32 v[0:1], v[0:1], v[6:7]
	global_store_b64 v[2:3], v[0:1], off
	s_branch .LBB187_2
.LBB187_76:                             ;   in Loop: Header=BB187_4 Depth=1
	ds_load_b64 v[2:3], v103
	s_wait_dscnt 0x0
	ds_store_b64 v91, v[2:3]
	s_or_b32 exec_lo, exec_lo, s92
	s_and_saveexec_b32 s92, s8
	s_cbranch_execz .LBB187_27
.LBB187_77:                             ;   in Loop: Header=BB187_4 Depth=1
	ds_load_b64 v[2:3], v104
	s_wait_dscnt 0x0
	ds_store_b64 v91, v[2:3] offset:8
	s_or_b32 exec_lo, exec_lo, s92
	s_and_saveexec_b32 s92, s9
	s_cbranch_execz .LBB187_28
.LBB187_78:                             ;   in Loop: Header=BB187_4 Depth=1
	ds_load_b64 v[2:3], v104 offset:264
	s_wait_dscnt 0x0
	ds_store_b64 v91, v[2:3] offset:16
	s_or_b32 exec_lo, exec_lo, s92
	s_and_saveexec_b32 s92, s10
	s_cbranch_execnz .LBB187_29
	s_branch .LBB187_30
.LBB187_79:                             ;   in Loop: Header=BB187_4 Depth=1
	ds_load_b64 v[2:3], v103
	s_wait_dscnt 0x0
	ds_store_b64 v91, v[2:3]
	s_or_b32 exec_lo, exec_lo, s92
	s_and_saveexec_b32 s92, s8
	s_cbranch_execz .LBB187_46
.LBB187_80:                             ;   in Loop: Header=BB187_4 Depth=1
	ds_load_b64 v[2:3], v104
	s_wait_dscnt 0x0
	ds_store_b64 v91, v[2:3] offset:8
	s_or_b32 exec_lo, exec_lo, s92
	s_and_saveexec_b32 s92, s9
	s_cbranch_execz .LBB187_47
.LBB187_81:                             ;   in Loop: Header=BB187_4 Depth=1
	ds_load_b64 v[2:3], v104 offset:264
	s_wait_dscnt 0x0
	ds_store_b64 v91, v[2:3] offset:16
	s_or_b32 exec_lo, exec_lo, s92
	s_and_saveexec_b32 s92, s10
	s_cbranch_execnz .LBB187_48
	s_branch .LBB187_49
.LBB187_82:
	s_sendmsg sendmsg(MSG_DEALLOC_VGPRS)
	s_endpgm
	.section	.rodata,"a",@progbits
	.p2align	6, 0x0
	.amdhsa_kernel _ZL26rocblas_hemvn_kernel_lowerILb0ELi64ELi4ELi33ELi32ELi16Ei19rocblas_complex_numIfEPKPKS1_PS1_EviT6_lT7_lT5_lS8_lS9_lS7_lT8_i
		.amdhsa_group_segment_fixed_size 9600
		.amdhsa_private_segment_fixed_size 0
		.amdhsa_kernarg_size 376
		.amdhsa_user_sgpr_count 2
		.amdhsa_user_sgpr_dispatch_ptr 0
		.amdhsa_user_sgpr_queue_ptr 0
		.amdhsa_user_sgpr_kernarg_segment_ptr 1
		.amdhsa_user_sgpr_dispatch_id 0
		.amdhsa_user_sgpr_kernarg_preload_length 0
		.amdhsa_user_sgpr_kernarg_preload_offset 0
		.amdhsa_user_sgpr_private_segment_size 0
		.amdhsa_wavefront_size32 1
		.amdhsa_uses_dynamic_stack 0
		.amdhsa_enable_private_segment 0
		.amdhsa_system_sgpr_workgroup_id_x 1
		.amdhsa_system_sgpr_workgroup_id_y 0
		.amdhsa_system_sgpr_workgroup_id_z 1
		.amdhsa_system_sgpr_workgroup_info 0
		.amdhsa_system_vgpr_workitem_id 1
		.amdhsa_next_free_vgpr 126
		.amdhsa_next_free_sgpr 105
		.amdhsa_named_barrier_count 0
		.amdhsa_reserve_vcc 1
		.amdhsa_float_round_mode_32 0
		.amdhsa_float_round_mode_16_64 0
		.amdhsa_float_denorm_mode_32 3
		.amdhsa_float_denorm_mode_16_64 3
		.amdhsa_fp16_overflow 0
		.amdhsa_memory_ordered 1
		.amdhsa_forward_progress 1
		.amdhsa_inst_pref_size 58
		.amdhsa_round_robin_scheduling 0
		.amdhsa_exception_fp_ieee_invalid_op 0
		.amdhsa_exception_fp_denorm_src 0
		.amdhsa_exception_fp_ieee_div_zero 0
		.amdhsa_exception_fp_ieee_overflow 0
		.amdhsa_exception_fp_ieee_underflow 0
		.amdhsa_exception_fp_ieee_inexact 0
		.amdhsa_exception_int_div_zero 0
	.end_amdhsa_kernel
	.section	.text._ZL26rocblas_hemvn_kernel_lowerILb0ELi64ELi4ELi33ELi32ELi16Ei19rocblas_complex_numIfEPKPKS1_PS1_EviT6_lT7_lT5_lS8_lS9_lS7_lT8_i,"axG",@progbits,_ZL26rocblas_hemvn_kernel_lowerILb0ELi64ELi4ELi33ELi32ELi16Ei19rocblas_complex_numIfEPKPKS1_PS1_EviT6_lT7_lT5_lS8_lS9_lS7_lT8_i,comdat
.Lfunc_end187:
	.size	_ZL26rocblas_hemvn_kernel_lowerILb0ELi64ELi4ELi33ELi32ELi16Ei19rocblas_complex_numIfEPKPKS1_PS1_EviT6_lT7_lT5_lS8_lS9_lS7_lT8_i, .Lfunc_end187-_ZL26rocblas_hemvn_kernel_lowerILb0ELi64ELi4ELi33ELi32ELi16Ei19rocblas_complex_numIfEPKPKS1_PS1_EviT6_lT7_lT5_lS8_lS9_lS7_lT8_i
                                        ; -- End function
	.set _ZL26rocblas_hemvn_kernel_lowerILb0ELi64ELi4ELi33ELi32ELi16Ei19rocblas_complex_numIfEPKPKS1_PS1_EviT6_lT7_lT5_lS8_lS9_lS7_lT8_i.num_vgpr, 126
	.set _ZL26rocblas_hemvn_kernel_lowerILb0ELi64ELi4ELi33ELi32ELi16Ei19rocblas_complex_numIfEPKPKS1_PS1_EviT6_lT7_lT5_lS8_lS9_lS7_lT8_i.num_agpr, 0
	.set _ZL26rocblas_hemvn_kernel_lowerILb0ELi64ELi4ELi33ELi32ELi16Ei19rocblas_complex_numIfEPKPKS1_PS1_EviT6_lT7_lT5_lS8_lS9_lS7_lT8_i.numbered_sgpr, 105
	.set _ZL26rocblas_hemvn_kernel_lowerILb0ELi64ELi4ELi33ELi32ELi16Ei19rocblas_complex_numIfEPKPKS1_PS1_EviT6_lT7_lT5_lS8_lS9_lS7_lT8_i.num_named_barrier, 0
	.set _ZL26rocblas_hemvn_kernel_lowerILb0ELi64ELi4ELi33ELi32ELi16Ei19rocblas_complex_numIfEPKPKS1_PS1_EviT6_lT7_lT5_lS8_lS9_lS7_lT8_i.private_seg_size, 0
	.set _ZL26rocblas_hemvn_kernel_lowerILb0ELi64ELi4ELi33ELi32ELi16Ei19rocblas_complex_numIfEPKPKS1_PS1_EviT6_lT7_lT5_lS8_lS9_lS7_lT8_i.uses_vcc, 1
	.set _ZL26rocblas_hemvn_kernel_lowerILb0ELi64ELi4ELi33ELi32ELi16Ei19rocblas_complex_numIfEPKPKS1_PS1_EviT6_lT7_lT5_lS8_lS9_lS7_lT8_i.uses_flat_scratch, 1
	.set _ZL26rocblas_hemvn_kernel_lowerILb0ELi64ELi4ELi33ELi32ELi16Ei19rocblas_complex_numIfEPKPKS1_PS1_EviT6_lT7_lT5_lS8_lS9_lS7_lT8_i.has_dyn_sized_stack, 0
	.set _ZL26rocblas_hemvn_kernel_lowerILb0ELi64ELi4ELi33ELi32ELi16Ei19rocblas_complex_numIfEPKPKS1_PS1_EviT6_lT7_lT5_lS8_lS9_lS7_lT8_i.has_recursion, 0
	.set _ZL26rocblas_hemvn_kernel_lowerILb0ELi64ELi4ELi33ELi32ELi16Ei19rocblas_complex_numIfEPKPKS1_PS1_EviT6_lT7_lT5_lS8_lS9_lS7_lT8_i.has_indirect_call, 0
	.section	.AMDGPU.csdata,"",@progbits
; Kernel info:
; codeLenInByte = 7324
; TotalNumSgprs: 107
; NumVgprs: 126
; ScratchSize: 0
; MemoryBound: 1
; FloatMode: 240
; IeeeMode: 1
; LDSByteSize: 9600 bytes/workgroup (compile time only)
; SGPRBlocks: 0
; VGPRBlocks: 7
; NumSGPRsForWavesPerEU: 107
; NumVGPRsForWavesPerEU: 126
; NamedBarCnt: 0
; Occupancy: 8
; WaveLimiterHint : 1
; COMPUTE_PGM_RSRC2:SCRATCH_EN: 0
; COMPUTE_PGM_RSRC2:USER_SGPR: 2
; COMPUTE_PGM_RSRC2:TRAP_HANDLER: 0
; COMPUTE_PGM_RSRC2:TGID_X_EN: 1
; COMPUTE_PGM_RSRC2:TGID_Y_EN: 0
; COMPUTE_PGM_RSRC2:TGID_Z_EN: 1
; COMPUTE_PGM_RSRC2:TIDIG_COMP_CNT: 1
	.section	.text._ZL26rocblas_hemvn_kernel_upperILb0ELi64ELi4ELi33ELi32ELi16ElPK19rocblas_complex_numIdEPKS3_PS1_EviT6_lT7_lT5_lS8_lS9_lS7_lT8_i,"axG",@progbits,_ZL26rocblas_hemvn_kernel_upperILb0ELi64ELi4ELi33ELi32ELi16ElPK19rocblas_complex_numIdEPKS3_PS1_EviT6_lT7_lT5_lS8_lS9_lS7_lT8_i,comdat
	.globl	_ZL26rocblas_hemvn_kernel_upperILb0ELi64ELi4ELi33ELi32ELi16ElPK19rocblas_complex_numIdEPKS3_PS1_EviT6_lT7_lT5_lS8_lS9_lS7_lT8_i ; -- Begin function _ZL26rocblas_hemvn_kernel_upperILb0ELi64ELi4ELi33ELi32ELi16ElPK19rocblas_complex_numIdEPKS3_PS1_EviT6_lT7_lT5_lS8_lS9_lS7_lT8_i
	.p2align	8
	.type	_ZL26rocblas_hemvn_kernel_upperILb0ELi64ELi4ELi33ELi32ELi16ElPK19rocblas_complex_numIdEPKS3_PS1_EviT6_lT7_lT5_lS8_lS9_lS7_lT8_i,@function
_ZL26rocblas_hemvn_kernel_upperILb0ELi64ELi4ELi33ELi32ELi16ElPK19rocblas_complex_numIdEPKS3_PS1_EviT6_lT7_lT5_lS8_lS9_lS7_lT8_i: ; @_ZL26rocblas_hemvn_kernel_upperILb0ELi64ELi4ELi33ELi32ELi16ElPK19rocblas_complex_numIdEPKS3_PS1_EviT6_lT7_lT5_lS8_lS9_lS7_lT8_i
; %bb.0:
	s_clause 0x1
	s_load_b64 s[2:3], s[0:1], 0x84
	s_load_b32 s33, s[0:1], 0x70
	s_bfe_u32 s4, ttmp6, 0x40014
	s_lshr_b32 s5, ttmp7, 16
	s_add_co_i32 s4, s4, 1
	s_bfe_u32 s6, ttmp6, 0x40008
	s_mul_i32 s7, s5, s4
	s_getreg_b32 s4, hwreg(HW_REG_IB_STS2, 6, 4)
	s_add_co_i32 s6, s6, s7
	s_mov_b32 s35, 0
	s_wait_kmcnt 0x0
	s_lshr_b32 s7, s2, 16
	s_and_b32 s2, s2, 0xffff
	s_and_b32 s3, s3, 0xffff
	s_mul_i32 s2, s7, s2
	s_cmp_eq_u32 s4, 0
	s_mul_i32 s2, s2, s3
	s_cselect_b32 s34, s5, s6
	s_cmp_lg_u32 s2, 0x100
	s_cselect_b32 s2, -1, 0
	s_cmp_ge_u32 s34, s33
	s_cselect_b32 s3, -1, 0
	s_delay_alu instid0(SALU_CYCLE_1) | instskip(NEXT) | instid1(SALU_CYCLE_1)
	s_or_b32 s2, s2, s3
	s_and_b32 vcc_lo, exec_lo, s2
	s_cbranch_vccnz .LBB188_156
; %bb.1:
	s_load_b32 s2, s[0:1], 0x0
	s_add_nc_u64 s[6:7], s[0:1], 0x78
	s_load_b256 s[20:27], s[0:1], 0x8
	s_load_b32 s40, s[6:7], 0x0
	s_clause 0x2
	s_load_b64 s[66:67], s[0:1], 0x28
	s_load_b128 s[28:31], s[0:1], 0x38
	s_load_b64 s[8:9], s[0:1], 0x68
	s_bfe_u32 s5, ttmp6, 0x4000c
	s_and_b32 s3, ttmp6, 15
	s_add_co_i32 s5, s5, 1
	v_bfe_u32 v3, v0, 10, 10
	s_mul_i32 s5, ttmp9, s5
	s_set_vgpr_msb 64                       ;  msbs: dst=1 src0=0 src1=0 src2=0
	v_and_b32_e32 v6 /*v262*/, 0x3ff, v0
	s_add_co_i32 s5, s3, s5
	s_set_vgpr_msb 0                        ;  msbs: dst=0 src0=0 src1=0 src2=0
	v_dual_mov_b32 v2, 0 :: v_dual_bitop2_b32 v4, 31, v0 bitop3:0x40
	v_lshlrev_b32_e32 v6, 6, v3
	s_clause 0x1
	s_load_b64 s[46:47], s[0:1], 0x48
	s_load_b128 s[36:39], s[0:1], 0x58
	s_set_vgpr_msb 4                        ;  msbs: dst=0 src0=0 src1=1 src2=0
	v_lshlrev_b32_e32 v190, 4, v6 /*v262*/
	s_set_vgpr_msb 0                        ;  msbs: dst=0 src0=0 src1=0 src2=0
	v_dual_lshlrev_b32 v41, 4, v4 :: v_dual_bitop2_b32 v46, 32, v4 bitop3:0x54
	v_mov_b32_e32 v5, v2
	s_mov_b32 s41, s35
	v_mov_b32_e32 v7, v2
	s_wait_kmcnt 0x0
	s_ashr_i32 s3, s2, 31
	s_cmp_eq_u32 s4, 0
	s_mul_u64 s[48:49], s[40:41], s[2:3]
	s_cselect_b32 s42, ttmp9, s5
	s_lshr_b32 s4, s3, 26
	s_add_co_i32 s5, s40, -1
	s_add_co_i32 s4, s2, s4
	s_lshl_b32 s18, s42, 6
	s_and_not1_b32 s4, s4, 63
	s_set_vgpr_msb 4                        ;  msbs: dst=0 src0=0 src1=1 src2=0
	v_dual_add_nc_u32 v1, v6, v6 /*v262*/ :: v_dual_add_nc_u32 v186, s18, v6 /*v262*/
	s_sub_co_i32 s76, s2, s4
	s_cmp_eq_u32 s42, s5
	v_lshl_or_b32 v8, v4, 9, v41
	s_cselect_b32 s44, s76, 0
	s_set_vgpr_msb 0                        ;  msbs: dst=0 src0=0 src1=0 src2=0
	v_dual_lshrrev_b32 v40, 5, v1 :: v_dual_ashrrev_i32 v187, 31, v186
	s_cmp_lg_u32 s44, 0
	v_add_nc_u64_e32 v[24:25], 0x320, v[6:7]
	s_cselect_b32 s77, -1, 0
	s_cmp_eq_u32 s44, 0
	v_dual_add_nc_u32 v42, 8, v40 :: v_dual_add_nc_u32 v43, 16, v40
	s_cselect_b32 s0, -1, 0
	s_ashr_i32 s43, s42, 31
	v_dual_add_nc_u32 v44, 24, v40 :: v_dual_lshlrev_b32 v12, 2, v40
	s_mul_u64 s[4:5], s[2:3], s[42:43]
	s_sub_co_i32 s16, s44, 32
	s_lshl_b64 s[4:5], s[4:5], 4
	v_cmp_le_i32_e64 s3, s44, v42
	s_add_nc_u64 s[50:51], s[8:9], s[4:5]
	v_cmp_le_i32_e64 s4, s44, v43
	v_lshlrev_b32_e32 v45, 6, v40
	v_dual_mov_b32 v191, v2 :: v_dual_bitop2_b32 v15, 3, v12 bitop3:0x54
	v_cmp_le_i32_e64 s11, s16, v42
	v_cmp_le_i32_e64 s12, s16, v43
	v_dual_lshrrev_b32 v42, 4, v1 :: v_dual_bitop2_b32 v13, 1, v12 bitop3:0x54
	v_and_b32_e32 v43, 48, v0
	v_or_b32_e32 v14, 2, v12
	v_cmp_gt_u32_e64 s6, v12, v4
	s_set_vgpr_msb 64                       ;  msbs: dst=1 src0=0 src1=0 src2=0
	v_dual_add_nc_u32 v8 /*v264*/, v8, v45 :: v_dual_lshlrev_b32 v20 /*v276*/, 2, v3
	s_set_vgpr_msb 0                        ;  msbs: dst=0 src0=0 src1=0 src2=0
	v_add_nc_u64_e32 v[8:9], 0x220, v[6:7]
	v_add_nc_u64_e32 v[10:11], 0x530, v[6:7]
	v_cmp_ge_u32_e64 s7, v12, v4
	v_cmp_gt_u32_e64 s9, v15, v4
	v_add_nc_u64_e32 v[16:17], 0x200, v[6:7]
	v_add_nc_u64_e32 v[18:19], 0x510, v[6:7]
	;; [unrolled: 1-line block ×11, first 2 shown]
	v_cmp_gt_i32_e64 s10, s44, v46
	v_lshlrev_b32_e32 v46, 6, v42
	s_set_vgpr_msb 64                       ;  msbs: dst=1 src0=0 src1=0 src2=0
	v_mad_u32_u24 v9 /*v265*/, 0x210, v13, v41
	s_set_vgpr_msb 0                        ;  msbs: dst=0 src0=0 src1=0 src2=0
	v_add_nc_u64_e32 v[12:13], 0x210, v[6:7]
	v_lshlrev_b32_e32 v43, 4, v43
	v_cmp_gt_u32_e64 s8, v14, v4
	v_add_nc_u64_e32 v[14:15], 0x500, v[6:7]
	v_mul_u64_e32 v[24:25], s[66:67], v[24:25]
	v_mul_u64_e32 v[8:9], s[66:67], v[8:9]
	;; [unrolled: 1-line block ×16, first 2 shown]
	v_mad_nc_u64_u32 v[188:189], s66, v40, v[4:5]
	v_mul_u64_e32 v[226:227], s[46:47], v[186:187]
	s_set_vgpr_msb 64                       ;  msbs: dst=1 src0=0 src1=0 src2=0
	v_add_nc_u32_e32 v11 /*v267*/, 0x4300, v6
	v_mad_u32_u24 v7 /*v263*/, 0x210, v40, v41
	v_mad_u32_u24 v10 /*v266*/, 0x840, v40, v41
	s_set_vgpr_msb 0                        ;  msbs: dst=0 src0=0 src1=0 src2=0
	v_mul_u32_u24_e32 v41, 33, v4
	v_cmp_le_i32_e64 s5, s44, v44
	v_cmp_le_i32_e64 s13, s16, v44
	v_cmp_gt_u32_e64 s14, 32, v1
	v_and_b32_e32 v44, 15, v0
	v_cmp_gt_u32_e64 s15, 64, v1
	v_mad_u32 v189, s67, v40, v189
	s_set_vgpr_msb 4                        ;  msbs: dst=0 src0=0 src1=1 src2=0
	v_cmp_gt_i32_e32 vcc_lo, s44, v6 /*v262*/
	s_set_vgpr_msb 0                        ;  msbs: dst=0 src0=0 src1=0 src2=0
	v_sub_nc_u64_e32 v[222:223], 0, v[4:5]
	s_set_vgpr_msb 64                       ;  msbs: dst=1 src0=0 src1=0 src2=0
	v_mad_u32_u24 v14 /*v270*/, 0x430, v44, v46
	s_ashr_i32 s19, s18, 31
	s_add_co_i32 s41, s42, 1
	s_or_b32 s64, s0, vcc_lo
	v_cmp_eq_u32_e64 s0, 0, v3
	s_xor_b32 s78, s64, -1
	v_cmp_gt_i32_e64 s1, s44, v4
	s_ashr_i32 s45, s44, 31
	s_set_vgpr_msb 0                        ;  msbs: dst=0 src0=0 src1=0 src2=0
	v_lshlrev_b64_e32 v[6:7], 4, v[188:189]
	v_cmp_le_i32_e64 s2, s44, v40
	s_lshl_b64 s[54:55], s[66:67], 7
	s_lshl_b64 s[56:57], s[66:67], 8
	s_set_vgpr_msb 64                       ;  msbs: dst=1 src0=0 src1=0 src2=0
	v_add_nc_u32_e32 v12 /*v268*/, 0x4700, v45
	v_mad_u32_u24 v15 /*v271*/, 0x430, v44, v43
	s_lshl_b64 s[60:61], s[66:67], 5
	s_set_vgpr_msb 0                        ;  msbs: dst=0 src0=0 src1=0 src2=0
	v_sub_nc_u64_e32 v[206:207], v[24:25], v[6:7]
	v_sub_nc_u64_e32 v[0:1], v[8:9], v[6:7]
	;; [unrolled: 1-line block ×16, first 2 shown]
	v_or_b32_e32 v6, 0xf0, v190
	v_mul_i32_i24_e32 v7, 0xffffffd0, v40
	s_set_vgpr_msb 64                       ;  msbs: dst=1 src0=0 src1=0 src2=0
	v_lshlrev_b32_e32 v13 /*v269*/, 4, v41
	s_set_vgpr_msb 0                        ;  msbs: dst=0 src0=0 src1=0 src2=0
	v_or_b32_e32 v206, 8, v206
	v_cmp_le_i32_e64 s16, s16, v40
	s_set_vgpr_msb 64                       ;  msbs: dst=1 src0=0 src1=0 src2=0
	v_mad_u32_u24 v16 /*v272*/, 0x430, v44, v6
	s_set_vgpr_msb 0                        ;  msbs: dst=0 src0=0 src1=0 src2=0
	v_lshlrev_b32_e32 v6, 4, v40
	s_set_vgpr_msb 0x41                     ;  msbs: dst=1 src0=1 src1=0 src2=0
	v_add_nc_u32_e32 v17 /*v273*/, v13 /*v269*/, v45
	v_cmp_eq_u32_e64 s17, 1, v40
	v_mad_u32_u24 v21 /*v277*/, 0x10c0, v3, v190
	v_mad_u32_u24 v22 /*v278*/, 0x430, v3, v190
	v_add_nc_u32_e32 v19 /*v275*/, 0x4700, v6
	v_add_nc_u32_e32 v23 /*v279*/, v17 /*v273*/, v7
	v_add_nc_u32_e32 v18 /*v274*/, v13 /*v269*/, v6
	s_set_vgpr_msb 0                        ;  msbs: dst=0 src0=0 src1=0 src2=0
	v_mul_i32_i24_e32 v6, 0xffffffd0, v42
	v_or_b32_e32 v0, 8, v0
	v_or_b32_e32 v192, 8, v192
	;; [unrolled: 1-line block ×8, first 2 shown]
	s_set_vgpr_msb 0x41                     ;  msbs: dst=1 src0=1 src1=0 src2=0
	v_add_nc_u32_e32 v24 /*v280*/, v14 /*v270*/, v6
	s_set_vgpr_msb 0                        ;  msbs: dst=0 src0=0 src1=0 src2=0
	v_lshlrev_b32_e32 v224, 4, v4
	s_set_vgpr_msb 64                       ;  msbs: dst=1 src0=0 src1=0 src2=0
	v_add_nc_u32_e32 v25 /*v281*/, 0x4700, v190
	s_set_vgpr_msb 0x44                     ;  msbs: dst=1 src0=0 src1=1 src2=0
	v_add_nc_u32_e32 v26 /*v282*/, 0x1080, v7 /*v263*/
	v_add_nc_u32_e32 v27 /*v283*/, 0x2100, v7 /*v263*/
	;; [unrolled: 1-line block ×3, first 2 shown]
	v_dual_add_nc_u32 v29 /*v285*/, 16, v8 /*v264*/ :: v_dual_add_nc_u32 v30 /*v286*/, 32, v8 /*v264*/
	v_add_nc_u32_e32 v31 /*v287*/, 0x210, v9 /*v265*/
	v_dual_add_nc_u32 v32 /*v288*/, 48, v8 /*v264*/ :: v_dual_add_nc_u32 v34 /*v290*/, 16, v17 /*v273*/
	v_add_nc_u32_e32 v33 /*v289*/, 0x420, v9 /*v265*/
	v_dual_add_nc_u32 v35 /*v291*/, 32, v17 /*v273*/ :: v_dual_add_nc_u32 v36 /*v292*/, 48, v17 /*v273*/
	s_set_vgpr_msb 64                       ;  msbs: dst=1 src0=0 src1=0 src2=0
	v_add_nc_u32_e32 v37 /*v293*/, 0x4300, v190
	s_set_vgpr_msb 0x44                     ;  msbs: dst=1 src0=0 src1=1 src2=0
	v_dual_add_nc_u32 v41 /*v297*/, 16, v20 /*v276*/ :: v_dual_bitop2_b32 v38 /*v294*/, 1, v20 /*v276*/ bitop3:0x54
	v_dual_add_nc_u32 v42 /*v298*/, 17, v20 /*v276*/ :: v_dual_bitop2_b32 v39 /*v295*/, 2, v20 /*v276*/ bitop3:0x54
	;; [unrolled: 1-line block ×3, first 2 shown]
	v_dual_add_nc_u32 v44 /*v300*/, 19, v20 /*v276*/ :: v_dual_add_nc_u32 v45 /*v301*/, 32, v20 /*v276*/
	v_dual_add_nc_u32 v46 /*v302*/, 33, v20 /*v276*/ :: v_dual_add_nc_u32 v47 /*v303*/, 34, v20 /*v276*/
	;; [unrolled: 1-line block ×4, first 2 shown]
	v_add_nc_u32_e32 v52 /*v308*/, 51, v20 /*v276*/
	s_mul_u64 s[62:63], s[46:47], s[18:19]
	s_cmp_lt_u32 s41, s40
	s_mul_u64 s[52:53], s[66:67], s[18:19]
	s_mul_u64 s[58:59], s[66:67], 0x180
	s_sub_nc_u64 s[62:63], 0, s[62:63]
	s_cselect_b32 s41, -1, 0
	s_add_co_i32 s43, s40, -2
	s_and_b32 s79, s0, s64
	s_sub_nc_u64 s[64:65], 0, s[44:45]
	s_add_co_i32 s80, s18, 64
	s_lshl_b64 s[66:67], s[66:67], 10
	s_mov_b64 s[68:69], 0xfffffffffffffe00
	s_mov_b64 s[70:71], 0xfffffffffffffdf0
	s_lshl_b64 s[30:31], s[30:31], 4
	s_lshl_b64 s[26:27], s[26:27], 4
	;; [unrolled: 1-line block ×3, first 2 shown]
	s_set_vgpr_msb 0                        ;  msbs: dst=0 src0=0 src1=0 src2=0
	s_branch .LBB188_4
.LBB188_2:                              ;   in Loop: Header=BB188_4 Depth=1
	s_wait_xcnt 0x0
	s_or_b32 exec_lo, exec_lo, s74
.LBB188_3:                              ;   in Loop: Header=BB188_4 Depth=1
	s_add_co_i32 s34, s34, 0x10000
	s_delay_alu instid0(SALU_CYCLE_1)
	s_cmp_lt_u32 s34, s33
	s_cbranch_scc0 .LBB188_156
.LBB188_4:                              ; =>This Loop Header: Depth=1
                                        ;     Child Loop BB188_78 Depth 2
	s_mul_u64 s[18:19], s[22:23], s[34:35]
	s_delay_alu instid0(SALU_CYCLE_1) | instskip(NEXT) | instid1(SALU_CYCLE_1)
	s_lshl_b64 s[18:19], s[18:19], 4
	s_add_nc_u64 s[18:19], s[20:21], s[18:19]
	global_load_b128 v[4:7], v2, s[18:19]
	s_wait_loadcnt 0x0
	v_cmp_neq_f64_e32 vcc_lo, 0, v[4:5]
	s_wait_xcnt 0x0
	v_cmp_neq_f64_e64 s18, 0, v[6:7]
	s_or_b32 s18, vcc_lo, s18
	s_delay_alu instid0(SALU_CYCLE_1)
	s_and_b32 vcc_lo, exec_lo, s18
	s_mov_b32 s18, -1
	s_cbranch_vccz .LBB188_6
; %bb.5:                                ;   in Loop: Header=BB188_4 Depth=1
	s_and_not1_b32 vcc_lo, exec_lo, s18
	s_cbranch_vccnz .LBB188_3
	s_branch .LBB188_7
.LBB188_6:                              ;   in Loop: Header=BB188_4 Depth=1
	s_mul_u64 s[18:19], s[38:39], s[34:35]
	s_delay_alu instid0(SALU_CYCLE_1) | instskip(NEXT) | instid1(SALU_CYCLE_1)
	s_lshl_b64 s[18:19], s[18:19], 4
	s_add_nc_u64 s[18:19], s[36:37], s[18:19]
	global_load_b128 v[4:7], v2, s[18:19]
	s_wait_loadcnt 0x0
	v_cmp_eq_f64_e32 vcc_lo, 1.0, v[4:5]
	s_wait_xcnt 0x0
	v_cmp_eq_f64_e64 s18, 0, v[6:7]
	s_and_b32 s18, vcc_lo, s18
	s_delay_alu instid0(SALU_CYCLE_1)
	s_and_not1_b32 vcc_lo, exec_lo, s18
	s_cbranch_execnz .LBB188_3
.LBB188_7:                              ;   in Loop: Header=BB188_4 Depth=1
	s_lshl_b64 s[18:19], s[34:35], 3
	s_delay_alu instid0(SALU_CYCLE_1)
	s_add_nc_u64 s[74:75], s[28:29], s[18:19]
	s_add_nc_u64 s[18:19], s[24:25], s[18:19]
	s_clause 0x1
	global_load_b64 v[4:5], v2, s[74:75]
	global_load_b64 v[6:7], v2, s[18:19]
	s_wait_loadcnt 0x1
	v_add_nc_u64_e32 v[4:5], s[30:31], v[4:5]
	s_delay_alu instid0(VALU_DEP_1)
	v_lshl_add_u64 v[42:43], v[226:227], 4, v[4:5]
	s_wait_xcnt 0x0
	s_and_saveexec_b32 s18, s0
	s_cbranch_execz .LBB188_12
; %bb.8:                                ;   in Loop: Header=BB188_4 Depth=1
	s_and_saveexec_b32 s19, s78
	s_delay_alu instid0(SALU_CYCLE_1)
	s_xor_b32 s19, exec_lo, s19
; %bb.9:                                ;   in Loop: Header=BB188_4 Depth=1
	v_dual_mov_b32 v3, v2 :: v_dual_mov_b32 v4, v2
	v_mov_b32_e32 v5, v2
	s_set_vgpr_msb 1                        ;  msbs: dst=0 src0=1 src1=0 src2=0
	ds_store_b128 v25 /*v281*/, v[2:5]
; %bb.10:                               ;   in Loop: Header=BB188_4 Depth=1
	s_and_not1_saveexec_b32 s19, s19
	s_set_vgpr_msb 0                        ;  msbs: dst=0 src0=0 src1=0 src2=0
	s_cbranch_execz .LBB188_12
; %bb.11:                               ;   in Loop: Header=BB188_4 Depth=1
	flat_load_b128 v[8:11], v[42:43]
	s_wait_loadcnt_dscnt 0x0
	s_set_vgpr_msb 1                        ;  msbs: dst=0 src0=1 src1=0 src2=0
	ds_store_2addr_b64 v25 /*v281*/, v[8:9], v[10:11] offset1:1
.LBB188_12:                             ;   in Loop: Header=BB188_4 Depth=1
	s_wait_xcnt 0x0
	s_or_b32 exec_lo, exec_lo, s18
	s_wait_loadcnt 0x0
	s_set_vgpr_msb 0                        ;  msbs: dst=0 src0=0 src1=0 src2=0
	v_add_nc_u64_e32 v[4:5], s[26:27], v[6:7]
	s_and_b32 vcc_lo, exec_lo, s77
	s_mov_b32 s18, -1
	s_delay_alu instid0(VALU_DEP_1) | instskip(NEXT) | instid1(VALU_DEP_1)
	v_add_nc_u64_e32 v[4:5], s[72:73], v[4:5]
	v_lshl_add_u64 v[4:5], v[188:189], 4, v[4:5]
	s_delay_alu instid0(VALU_DEP_1)
	v_lshl_add_u64 v[6:7], s[52:53], 4, v[4:5]
                                        ; implicit-def: $vgpr4_vgpr5
	s_cbranch_vccz .LBB188_24
; %bb.13:                               ;   in Loop: Header=BB188_4 Depth=1
	s_and_saveexec_b32 s18, s2
	s_delay_alu instid0(SALU_CYCLE_1)
	s_xor_b32 s18, exec_lo, s18
; %bb.14:                               ;   in Loop: Header=BB188_4 Depth=1
	v_dual_mov_b32 v3, v2 :: v_dual_mov_b32 v4, v2
	v_mov_b32_e32 v5, v2
	s_set_vgpr_msb 1                        ;  msbs: dst=0 src0=1 src1=0 src2=0
	ds_store_b128 v7 /*v263*/, v[2:5]
; %bb.15:                               ;   in Loop: Header=BB188_4 Depth=1
	s_or_saveexec_b32 s18, s18
	s_set_vgpr_msb 0                        ;  msbs: dst=0 src0=0 src1=0 src2=0
	v_lshl_add_u64 v[4:5], v[222:223], 4, v[6:7]
	s_delay_alu instid0(VALU_DEP_1) | instskip(NEXT) | instid1(VALU_DEP_1)
	v_lshl_add_u64 v[4:5], s[44:45], 4, v[4:5]
	v_add_nc_u64_e32 v[4:5], -16, v[4:5]
	s_delay_alu instid0(VALU_DEP_1)
	v_dual_cndmask_b32 v9, v5, v7, s1 :: v_dual_cndmask_b32 v8, v4, v6, s1
	s_xor_b32 exec_lo, exec_lo, s18
	s_cbranch_execnz .LBB188_138
; %bb.16:                               ;   in Loop: Header=BB188_4 Depth=1
	s_or_b32 exec_lo, exec_lo, s18
	s_and_saveexec_b32 s18, s3
	s_delay_alu instid0(SALU_CYCLE_1)
	s_xor_b32 s18, exec_lo, s18
	s_cbranch_execnz .LBB188_139
.LBB188_17:                             ;   in Loop: Header=BB188_4 Depth=1
	s_and_not1_saveexec_b32 s18, s18
	s_cbranch_execnz .LBB188_140
.LBB188_18:                             ;   in Loop: Header=BB188_4 Depth=1
	s_or_b32 exec_lo, exec_lo, s18
	s_and_saveexec_b32 s18, s4
	s_delay_alu instid0(SALU_CYCLE_1)
	s_xor_b32 s18, exec_lo, s18
	s_cbranch_execnz .LBB188_141
.LBB188_19:                             ;   in Loop: Header=BB188_4 Depth=1
	s_and_not1_saveexec_b32 s18, s18
	s_cbranch_execnz .LBB188_142
.LBB188_20:                             ;   in Loop: Header=BB188_4 Depth=1
	s_or_b32 exec_lo, exec_lo, s18
	s_and_saveexec_b32 s18, s5
	s_delay_alu instid0(SALU_CYCLE_1)
	s_xor_b32 s18, exec_lo, s18
	s_cbranch_execnz .LBB188_143
.LBB188_21:                             ;   in Loop: Header=BB188_4 Depth=1
	s_and_not1_saveexec_b32 s18, s18
	s_cbranch_execz .LBB188_23
.LBB188_22:                             ;   in Loop: Header=BB188_4 Depth=1
	v_add_nc_u64_e32 v[4:5], s[58:59], v[8:9]
	flat_load_b128 v[10:13], v[4:5]
	s_wait_loadcnt_dscnt 0x0
	s_set_vgpr_msb 1                        ;  msbs: dst=0 src0=1 src1=0 src2=0
	ds_store_2addr_b64 v28 /*v284*/, v[10:11], v[12:13] offset1:1
.LBB188_23:                             ;   in Loop: Header=BB188_4 Depth=1
	s_wait_xcnt 0x0
	s_or_b32 exec_lo, exec_lo, s18
	s_set_vgpr_msb 0                        ;  msbs: dst=0 src0=0 src1=0 src2=0
	v_mov_b32_e32 v225, v2
	s_mov_b32 s18, 0
	s_delay_alu instid0(VALU_DEP_1) | instskip(NEXT) | instid1(VALU_DEP_1)
	v_add_nc_u64_e32 v[4:5], v[8:9], v[224:225]
	v_lshl_add_u64 v[4:5], s[64:65], 4, v[4:5]
	s_delay_alu instid0(VALU_DEP_1) | instskip(NEXT) | instid1(VALU_DEP_1)
	v_add_nc_u64_e32 v[4:5], 16, v[4:5]
	v_dual_cndmask_b32 v5, v5, v7, s1 :: v_dual_cndmask_b32 v4, v4, v6, s1
.LBB188_24:                             ;   in Loop: Header=BB188_4 Depth=1
	s_and_b32 vcc_lo, exec_lo, s18
	s_cbranch_vccz .LBB188_26
; %bb.25:                               ;   in Loop: Header=BB188_4 Depth=1
	flat_load_b128 v[8:11], v[6:7]
	v_add_nc_u64_e32 v[4:5], s[54:55], v[6:7]
	s_wait_loadcnt_dscnt 0x0
	s_set_vgpr_msb 1                        ;  msbs: dst=0 src0=1 src1=0 src2=0
	ds_store_2addr_b64 v7 /*v263*/, v[8:9], v[10:11] offset1:1
	s_set_vgpr_msb 0                        ;  msbs: dst=0 src0=0 src1=0 src2=0
	flat_load_b128 v[8:11], v[4:5]
	s_wait_xcnt 0x0
	v_add_nc_u64_e32 v[4:5], s[54:55], v[4:5]
	s_wait_loadcnt_dscnt 0x0
	s_set_vgpr_msb 1                        ;  msbs: dst=0 src0=1 src1=0 src2=0
	ds_store_2addr_b64 v26 /*v282*/, v[8:9], v[10:11] offset1:1
	s_set_vgpr_msb 0                        ;  msbs: dst=0 src0=0 src1=0 src2=0
	flat_load_b128 v[8:11], v[4:5]
	s_wait_xcnt 0x0
	v_add_nc_u64_e32 v[4:5], s[54:55], v[4:5]
	s_wait_loadcnt_dscnt 0x0
	s_set_vgpr_msb 1                        ;  msbs: dst=0 src0=1 src1=0 src2=0
	ds_store_2addr_b64 v27 /*v283*/, v[8:9], v[10:11] offset1:1
	s_set_vgpr_msb 0                        ;  msbs: dst=0 src0=0 src1=0 src2=0
	flat_load_b128 v[8:11], v[4:5]
	s_wait_xcnt 0x0
	v_mov_b64_e32 v[4:5], v[6:7]
	s_wait_loadcnt_dscnt 0x0
	s_set_vgpr_msb 1                        ;  msbs: dst=0 src0=1 src1=0 src2=0
	ds_store_2addr_b64 v28 /*v284*/, v[8:9], v[10:11] offset1:1
.LBB188_26:                             ;   in Loop: Header=BB188_4 Depth=1
	s_wait_dscnt 0x0
	s_barrier_signal -1
	s_barrier_wait -1
	s_and_saveexec_b32 s18, s6
	s_set_vgpr_msb 0                        ;  msbs: dst=0 src0=0 src1=0 src2=0
	s_cbranch_execnz .LBB188_132
; %bb.27:                               ;   in Loop: Header=BB188_4 Depth=1
	s_or_b32 exec_lo, exec_lo, s18
	s_and_saveexec_b32 s18, s7
	s_cbranch_execnz .LBB188_133
.LBB188_28:                             ;   in Loop: Header=BB188_4 Depth=1
	s_or_b32 exec_lo, exec_lo, s18
	s_and_saveexec_b32 s18, s8
	s_cbranch_execnz .LBB188_134
.LBB188_29:                             ;   in Loop: Header=BB188_4 Depth=1
	s_or_b32 exec_lo, exec_lo, s18
	s_and_saveexec_b32 s18, s9
	s_cbranch_execz .LBB188_31
.LBB188_30:                             ;   in Loop: Header=BB188_4 Depth=1
	s_set_vgpr_msb 1                        ;  msbs: dst=0 src0=1 src1=0 src2=0
	ds_load_b128 v[6:9], v33 /*v289*/
	s_wait_dscnt 0x0
	ds_store_b128 v32 /*v288*/, v[6:9]
.LBB188_31:                             ;   in Loop: Header=BB188_4 Depth=1
	s_or_b32 exec_lo, exec_lo, s18
	s_wait_dscnt 0x0
	s_barrier_signal -1
	s_barrier_wait -1
	s_set_vgpr_msb 1                        ;  msbs: dst=0 src0=1 src1=0 src2=0
	ds_load_b128 v[6:9], v10 /*v266*/
	ds_load_b128 v[10:13], v12 /*v268*/
	ds_load_b128 v[14:17], v12 /*v268*/ offset:16
	ds_load_b128 v[18:21], v9 /*v265*/
	s_wait_dscnt 0x2
	s_set_vgpr_msb 0                        ;  msbs: dst=0 src0=0 src1=0 src2=0
	v_mul_f64_e32 v[22:23], v[12:13], v[8:9]
	v_mul_f64_e32 v[28:29], v[10:11], v[8:9]
	s_wait_dscnt 0x0
	v_mul_f64_e32 v[30:31], v[16:17], v[20:21]
	v_mul_f64_e32 v[32:33], v[14:15], v[20:21]
	s_delay_alu instid0(VALU_DEP_4) | instskip(NEXT) | instid1(VALU_DEP_4)
	v_fma_f64 v[34:35], v[10:11], v[6:7], -v[22:23]
	v_fmac_f64_e32 v[28:29], v[12:13], v[6:7]
	s_set_vgpr_msb 1                        ;  msbs: dst=0 src0=1 src1=0 src2=0
	ds_load_b128 v[6:9], v31 /*v287*/
	ds_load_b128 v[10:13], v12 /*v268*/ offset:32
	ds_load_b128 v[20:23], v12 /*v268*/ offset:48
	ds_load_b128 v[24:27], v33 /*v289*/
	s_set_vgpr_msb 0                        ;  msbs: dst=0 src0=0 src1=0 src2=0
	v_fma_f64 v[14:15], v[14:15], v[18:19], -v[30:31]
	v_fmac_f64_e32 v[32:33], v[16:17], v[18:19]
	s_wait_dscnt 0x0
	s_barrier_signal -1
	s_barrier_wait -1
	v_mul_f64_e32 v[36:37], v[12:13], v[8:9]
	v_mul_f64_e32 v[8:9], v[10:11], v[8:9]
	v_add_f64_e32 v[16:17], 0, v[34:35]
	v_add_f64_e32 v[18:19], 0, v[28:29]
	v_mul_f64_e32 v[28:29], v[22:23], v[26:27]
	v_mul_f64_e32 v[26:27], v[20:21], v[26:27]
	v_fma_f64 v[10:11], v[10:11], v[6:7], -v[36:37]
	v_fmac_f64_e32 v[8:9], v[12:13], v[6:7]
	v_add_f64_e32 v[6:7], v[16:17], v[14:15]
	v_add_f64_e32 v[12:13], v[18:19], v[32:33]
	v_fma_f64 v[14:15], v[20:21], v[24:25], -v[28:29]
	v_fmac_f64_e32 v[26:27], v[22:23], v[24:25]
	s_delay_alu instid0(VALU_DEP_4) | instskip(NEXT) | instid1(VALU_DEP_4)
	v_add_f64_e32 v[6:7], v[6:7], v[10:11]
	v_add_f64_e32 v[8:9], v[12:13], v[8:9]
	s_delay_alu instid0(VALU_DEP_2) | instskip(NEXT) | instid1(VALU_DEP_2)
	v_add_f64_e32 v[10:11], v[6:7], v[14:15]
	v_add_f64_e32 v[12:13], v[8:9], v[26:27]
	v_mov_b64_e32 v[6:7], 0
	v_mov_b64_e32 v[8:9], 0
	s_set_vgpr_msb 1                        ;  msbs: dst=0 src0=1 src1=0 src2=0
	ds_store_b128 v18 /*v274*/, v[10:13]
	s_wait_dscnt 0x0
	s_barrier_signal -1
	s_barrier_wait -1
	s_and_saveexec_b32 s18, s14
	s_set_vgpr_msb 0                        ;  msbs: dst=0 src0=0 src1=0 src2=0
	s_cbranch_execz .LBB188_33
; %bb.32:                               ;   in Loop: Header=BB188_4 Depth=1
	s_set_vgpr_msb 1                        ;  msbs: dst=0 src0=1 src1=0 src2=0
	ds_load_b128 v[6:9], v13 /*v269*/
	ds_load_b128 v[10:13], v13 /*v269*/ offset:16
	s_wait_dscnt 0x0
	s_set_vgpr_msb 0                        ;  msbs: dst=0 src0=0 src1=0 src2=0
	v_add_f64_e32 v[14:15], v[10:11], v[6:7]
	v_add_f64_e32 v[16:17], v[12:13], v[8:9]
	s_set_vgpr_msb 1                        ;  msbs: dst=0 src0=1 src1=0 src2=0
	ds_load_b128 v[6:9], v13 /*v269*/ offset:32
	ds_load_b128 v[10:13], v13 /*v269*/ offset:48
	s_wait_dscnt 0x1
	s_set_vgpr_msb 0                        ;  msbs: dst=0 src0=0 src1=0 src2=0
	v_add_f64_e32 v[6:7], v[14:15], v[6:7]
	v_add_f64_e32 v[8:9], v[16:17], v[8:9]
	s_wait_dscnt 0x0
	s_delay_alu instid0(VALU_DEP_2) | instskip(NEXT) | instid1(VALU_DEP_2)
	v_add_f64_e32 v[14:15], v[6:7], v[10:11]
	v_add_f64_e32 v[16:17], v[8:9], v[12:13]
	s_set_vgpr_msb 1                        ;  msbs: dst=0 src0=1 src1=0 src2=0
	ds_load_b128 v[6:9], v13 /*v269*/ offset:64
	ds_load_b128 v[10:13], v13 /*v269*/ offset:80
	s_wait_dscnt 0x1
	s_set_vgpr_msb 0                        ;  msbs: dst=0 src0=0 src1=0 src2=0
	v_add_f64_e32 v[6:7], v[14:15], v[6:7]
	v_add_f64_e32 v[8:9], v[16:17], v[8:9]
	s_wait_dscnt 0x0
	s_delay_alu instid0(VALU_DEP_2) | instskip(NEXT) | instid1(VALU_DEP_2)
	;; [unrolled: 11-line block ×3, first 2 shown]
	v_add_f64_e32 v[6:7], v[6:7], v[10:11]
	v_add_f64_e32 v[8:9], v[8:9], v[12:13]
.LBB188_33:                             ;   in Loop: Header=BB188_4 Depth=1
	s_or_b32 exec_lo, exec_lo, s18
	v_lshl_add_u64 v[14:15], s[60:61], 4, v[4:5]
	s_and_b32 vcc_lo, exec_lo, s77
	s_mov_b32 s18, -1
	s_barrier_signal -1
	s_delay_alu instid0(VALU_DEP_1)
	v_add_nc_u64_e32 v[12:13], 0x200, v[14:15]
	s_barrier_wait -1
                                        ; implicit-def: $vgpr10_vgpr11
	s_cbranch_vccz .LBB188_45
; %bb.34:                               ;   in Loop: Header=BB188_4 Depth=1
	s_and_saveexec_b32 s18, s16
	s_delay_alu instid0(SALU_CYCLE_1)
	s_xor_b32 s18, exec_lo, s18
; %bb.35:                               ;   in Loop: Header=BB188_4 Depth=1
	v_dual_mov_b32 v3, v2 :: v_dual_mov_b32 v4, v2
	v_mov_b32_e32 v5, v2
	s_set_vgpr_msb 1                        ;  msbs: dst=0 src0=1 src1=0 src2=0
	ds_store_b128 v7 /*v263*/, v[2:5]
; %bb.36:                               ;   in Loop: Header=BB188_4 Depth=1
	s_or_saveexec_b32 s18, s18
	s_set_vgpr_msb 0                        ;  msbs: dst=0 src0=0 src1=0 src2=0
	v_lshl_add_u64 v[4:5], v[222:223], 4, v[14:15]
	s_delay_alu instid0(VALU_DEP_1) | instskip(NEXT) | instid1(VALU_DEP_1)
	v_lshl_add_u64 v[4:5], s[44:45], 4, v[4:5]
	v_add_nc_u64_e32 v[4:5], -16, v[4:5]
	s_delay_alu instid0(VALU_DEP_1)
	v_dual_cndmask_b32 v11, v5, v13, s10 :: v_dual_cndmask_b32 v10, v4, v12, s10
	s_xor_b32 exec_lo, exec_lo, s18
	s_cbranch_execnz .LBB188_144
; %bb.37:                               ;   in Loop: Header=BB188_4 Depth=1
	s_or_b32 exec_lo, exec_lo, s18
	s_and_saveexec_b32 s18, s11
	s_delay_alu instid0(SALU_CYCLE_1)
	s_xor_b32 s18, exec_lo, s18
	s_cbranch_execnz .LBB188_145
.LBB188_38:                             ;   in Loop: Header=BB188_4 Depth=1
	s_and_not1_saveexec_b32 s18, s18
	s_cbranch_execnz .LBB188_146
.LBB188_39:                             ;   in Loop: Header=BB188_4 Depth=1
	s_or_b32 exec_lo, exec_lo, s18
	s_and_saveexec_b32 s18, s12
	s_delay_alu instid0(SALU_CYCLE_1)
	s_xor_b32 s18, exec_lo, s18
	s_cbranch_execnz .LBB188_147
.LBB188_40:                             ;   in Loop: Header=BB188_4 Depth=1
	s_and_not1_saveexec_b32 s18, s18
	s_cbranch_execnz .LBB188_148
.LBB188_41:                             ;   in Loop: Header=BB188_4 Depth=1
	s_or_b32 exec_lo, exec_lo, s18
	s_and_saveexec_b32 s18, s13
	s_delay_alu instid0(SALU_CYCLE_1)
	s_xor_b32 s18, exec_lo, s18
	s_cbranch_execnz .LBB188_149
.LBB188_42:                             ;   in Loop: Header=BB188_4 Depth=1
	s_and_not1_saveexec_b32 s18, s18
	s_cbranch_execz .LBB188_44
.LBB188_43:                             ;   in Loop: Header=BB188_4 Depth=1
	v_add_nc_u64_e32 v[4:5], s[58:59], v[10:11]
	flat_load_b128 v[16:19], v[4:5]
	s_wait_loadcnt_dscnt 0x0
	s_set_vgpr_msb 1                        ;  msbs: dst=0 src0=1 src1=0 src2=0
	ds_store_2addr_b64 v28 /*v284*/, v[16:17], v[18:19] offset1:1
.LBB188_44:                             ;   in Loop: Header=BB188_4 Depth=1
	s_wait_xcnt 0x0
	s_or_b32 exec_lo, exec_lo, s18
	s_set_vgpr_msb 0                        ;  msbs: dst=0 src0=0 src1=0 src2=0
	v_mov_b32_e32 v225, v2
	s_mov_b32 s18, 0
	s_delay_alu instid0(VALU_DEP_1) | instskip(NEXT) | instid1(VALU_DEP_1)
	v_add_nc_u64_e32 v[4:5], v[10:11], v[224:225]
	v_lshl_add_u64 v[4:5], s[64:65], 4, v[4:5]
	s_delay_alu instid0(VALU_DEP_1) | instskip(NEXT) | instid1(VALU_DEP_1)
	v_add_nc_u64_e32 v[4:5], 0x210, v[4:5]
	v_dual_cndmask_b32 v11, v5, v13, s10 :: v_dual_cndmask_b32 v10, v4, v12, s10
.LBB188_45:                             ;   in Loop: Header=BB188_4 Depth=1
	s_and_b32 vcc_lo, exec_lo, s18
	s_cbranch_vccz .LBB188_47
; %bb.46:                               ;   in Loop: Header=BB188_4 Depth=1
	flat_load_b128 v[16:19], v[12:13]
	v_add_nc_u64_e32 v[4:5], s[54:55], v[14:15]
	v_mov_b64_e32 v[10:11], v[12:13]
	s_wait_loadcnt_dscnt 0x0
	s_set_vgpr_msb 1                        ;  msbs: dst=0 src0=1 src1=0 src2=0
	ds_store_2addr_b64 v7 /*v263*/, v[16:17], v[18:19] offset1:1
	s_set_vgpr_msb 0                        ;  msbs: dst=0 src0=0 src1=0 src2=0
	flat_load_b128 v[14:17], v[4:5] offset:512
	s_wait_xcnt 0x0
	v_add_nc_u64_e32 v[4:5], s[54:55], v[4:5]
	s_wait_loadcnt_dscnt 0x0
	s_set_vgpr_msb 1                        ;  msbs: dst=0 src0=1 src1=0 src2=0
	ds_store_2addr_b64 v26 /*v282*/, v[14:15], v[16:17] offset1:1
	s_set_vgpr_msb 0                        ;  msbs: dst=0 src0=0 src1=0 src2=0
	flat_load_b128 v[14:17], v[4:5] offset:512
	s_wait_xcnt 0x0
	v_add_nc_u64_e32 v[4:5], s[54:55], v[4:5]
	s_wait_loadcnt_dscnt 0x0
	s_set_vgpr_msb 1                        ;  msbs: dst=0 src0=1 src1=0 src2=0
	ds_store_2addr_b64 v27 /*v283*/, v[14:15], v[16:17] offset1:1
	s_set_vgpr_msb 0                        ;  msbs: dst=0 src0=0 src1=0 src2=0
	flat_load_b128 v[14:17], v[4:5] offset:512
	s_wait_loadcnt_dscnt 0x0
	s_set_vgpr_msb 1                        ;  msbs: dst=0 src0=1 src1=0 src2=0
	ds_store_2addr_b64 v28 /*v284*/, v[14:15], v[16:17] offset1:1
.LBB188_47:                             ;   in Loop: Header=BB188_4 Depth=1
	s_wait_dscnt 0x0
	s_barrier_signal -1
	s_barrier_wait -1
	s_wait_xcnt 0x0
	s_and_saveexec_b32 s18, s6
	s_set_vgpr_msb 0                        ;  msbs: dst=0 src0=0 src1=0 src2=0
	s_cbranch_execnz .LBB188_135
; %bb.48:                               ;   in Loop: Header=BB188_4 Depth=1
	s_or_b32 exec_lo, exec_lo, s18
	s_and_saveexec_b32 s18, s7
	s_cbranch_execnz .LBB188_136
.LBB188_49:                             ;   in Loop: Header=BB188_4 Depth=1
	s_or_b32 exec_lo, exec_lo, s18
	s_and_saveexec_b32 s18, s8
	s_cbranch_execnz .LBB188_137
.LBB188_50:                             ;   in Loop: Header=BB188_4 Depth=1
	s_or_b32 exec_lo, exec_lo, s18
	s_and_saveexec_b32 s18, s9
	s_cbranch_execz .LBB188_52
.LBB188_51:                             ;   in Loop: Header=BB188_4 Depth=1
	s_set_vgpr_msb 1                        ;  msbs: dst=0 src0=1 src1=0 src2=0
	ds_load_b128 v[12:15], v33 /*v289*/
	s_wait_dscnt 0x0
	ds_store_b128 v36 /*v292*/, v[12:15]
.LBB188_52:                             ;   in Loop: Header=BB188_4 Depth=1
	s_or_b32 exec_lo, exec_lo, s18
	s_wait_dscnt 0x0
	s_barrier_signal -1
	s_barrier_wait -1
	s_set_vgpr_msb 1                        ;  msbs: dst=0 src0=1 src1=0 src2=0
	ds_load_b128 v[12:15], v10 /*v266*/
	ds_load_b128 v[16:19], v12 /*v268*/ offset:512
	ds_load_b128 v[20:23], v12 /*v268*/ offset:528
	ds_load_b128 v[24:27], v9 /*v265*/
	s_wait_dscnt 0x2
	s_set_vgpr_msb 0                        ;  msbs: dst=0 src0=0 src1=0 src2=0
	v_mul_f64_e32 v[4:5], v[18:19], v[14:15]
	v_mul_f64_e32 v[34:35], v[16:17], v[14:15]
	s_wait_dscnt 0x0
	v_mul_f64_e32 v[36:37], v[22:23], v[26:27]
	v_mul_f64_e32 v[38:39], v[20:21], v[26:27]
	s_delay_alu instid0(VALU_DEP_4) | instskip(NEXT) | instid1(VALU_DEP_4)
	v_fma_f64 v[4:5], v[16:17], v[12:13], -v[4:5]
	v_fmac_f64_e32 v[34:35], v[18:19], v[12:13]
	s_set_vgpr_msb 1                        ;  msbs: dst=0 src0=1 src1=0 src2=0
	ds_load_b128 v[12:15], v31 /*v287*/
	ds_load_b128 v[16:19], v12 /*v268*/ offset:544
	ds_load_b128 v[26:29], v12 /*v268*/ offset:560
	ds_load_b128 v[30:33], v33 /*v289*/
	s_set_vgpr_msb 0                        ;  msbs: dst=0 src0=0 src1=0 src2=0
	v_fma_f64 v[20:21], v[20:21], v[24:25], -v[36:37]
	v_fmac_f64_e32 v[38:39], v[22:23], v[24:25]
	s_wait_dscnt 0x0
	s_barrier_signal -1
	s_barrier_wait -1
	v_mul_f64_e32 v[40:41], v[18:19], v[14:15]
	v_mul_f64_e32 v[14:15], v[16:17], v[14:15]
	;; [unrolled: 1-line block ×4, first 2 shown]
	v_add_f64_e32 v[4:5], 0, v[4:5]
	v_add_f64_e32 v[22:23], 0, v[34:35]
	v_fma_f64 v[16:17], v[16:17], v[12:13], -v[40:41]
	v_fmac_f64_e32 v[14:15], v[18:19], v[12:13]
	v_fma_f64 v[18:19], v[26:27], v[30:31], -v[24:25]
	v_fmac_f64_e32 v[32:33], v[28:29], v[30:31]
	v_add_f64_e32 v[4:5], v[4:5], v[20:21]
	v_add_f64_e32 v[12:13], v[22:23], v[38:39]
	s_delay_alu instid0(VALU_DEP_2) | instskip(NEXT) | instid1(VALU_DEP_2)
	v_add_f64_e32 v[4:5], v[4:5], v[16:17]
	v_add_f64_e32 v[14:15], v[12:13], v[14:15]
	s_delay_alu instid0(VALU_DEP_2) | instskip(NEXT) | instid1(VALU_DEP_2)
	v_add_f64_e32 v[12:13], v[4:5], v[18:19]
	v_add_f64_e32 v[14:15], v[14:15], v[32:33]
	s_set_vgpr_msb 1                        ;  msbs: dst=0 src0=1 src1=0 src2=0
	ds_store_b128 v18 /*v274*/, v[12:15]
	s_wait_dscnt 0x0
	s_barrier_signal -1
	s_barrier_wait -1
	s_and_saveexec_b32 s18, s17
	s_set_vgpr_msb 0                        ;  msbs: dst=0 src0=0 src1=0 src2=0
	s_cbranch_execz .LBB188_54
; %bb.53:                               ;   in Loop: Header=BB188_4 Depth=1
	s_set_vgpr_msb 1                        ;  msbs: dst=0 src0=1 src1=0 src2=0
	ds_load_b128 v[4:7], v13 /*v269*/
	ds_load_b128 v[12:15], v13 /*v269*/ offset:16
	s_wait_dscnt 0x0
	s_set_vgpr_msb 0                        ;  msbs: dst=0 src0=0 src1=0 src2=0
	v_add_f64_e32 v[8:9], v[12:13], v[4:5]
	v_add_f64_e32 v[16:17], v[14:15], v[6:7]
	s_set_vgpr_msb 1                        ;  msbs: dst=0 src0=1 src1=0 src2=0
	ds_load_b128 v[4:7], v13 /*v269*/ offset:32
	ds_load_b128 v[12:15], v13 /*v269*/ offset:48
	s_wait_dscnt 0x1
	s_set_vgpr_msb 0                        ;  msbs: dst=0 src0=0 src1=0 src2=0
	v_add_f64_e32 v[4:5], v[8:9], v[4:5]
	v_add_f64_e32 v[6:7], v[16:17], v[6:7]
	s_wait_dscnt 0x0
	s_delay_alu instid0(VALU_DEP_2) | instskip(NEXT) | instid1(VALU_DEP_2)
	v_add_f64_e32 v[8:9], v[4:5], v[12:13]
	v_add_f64_e32 v[16:17], v[6:7], v[14:15]
	s_set_vgpr_msb 1                        ;  msbs: dst=0 src0=1 src1=0 src2=0
	ds_load_b128 v[4:7], v13 /*v269*/ offset:64
	ds_load_b128 v[12:15], v13 /*v269*/ offset:80
	s_wait_dscnt 0x1
	s_set_vgpr_msb 0                        ;  msbs: dst=0 src0=0 src1=0 src2=0
	v_add_f64_e32 v[4:5], v[8:9], v[4:5]
	v_add_f64_e32 v[6:7], v[16:17], v[6:7]
	s_wait_dscnt 0x0
	s_delay_alu instid0(VALU_DEP_2) | instskip(NEXT) | instid1(VALU_DEP_2)
	;; [unrolled: 11-line block ×3, first 2 shown]
	v_add_f64_e32 v[6:7], v[4:5], v[12:13]
	v_add_f64_e32 v[8:9], v[8:9], v[14:15]
.LBB188_54:                             ;   in Loop: Header=BB188_4 Depth=1
	s_or_b32 exec_lo, exec_lo, s18
	v_add_nc_u64_e32 v[12:13], s[68:69], v[10:11]
	s_and_b32 vcc_lo, exec_lo, s77
	s_mov_b32 s18, -1
	s_barrier_signal -1
	s_barrier_wait -1
                                        ; implicit-def: $vgpr4_vgpr5
	s_cbranch_vccz .LBB188_66
; %bb.55:                               ;   in Loop: Header=BB188_4 Depth=1
	s_and_saveexec_b32 s18, s16
	s_delay_alu instid0(SALU_CYCLE_1)
	s_xor_b32 s18, exec_lo, s18
; %bb.56:                               ;   in Loop: Header=BB188_4 Depth=1
	v_dual_mov_b32 v3, v2 :: v_dual_mov_b32 v4, v2
	v_mov_b32_e32 v5, v2
	s_set_vgpr_msb 1                        ;  msbs: dst=0 src0=1 src1=0 src2=0
	ds_store_b128 v7 /*v263*/, v[2:5]
; %bb.57:                               ;   in Loop: Header=BB188_4 Depth=1
	s_or_saveexec_b32 s18, s18
	s_set_vgpr_msb 0                        ;  msbs: dst=0 src0=0 src1=0 src2=0
	v_lshl_add_u64 v[4:5], v[222:223], 4, v[10:11]
	s_delay_alu instid0(VALU_DEP_1) | instskip(NEXT) | instid1(VALU_DEP_1)
	v_lshl_add_u64 v[4:5], s[44:45], 4, v[4:5]
	v_add_nc_u64_e32 v[4:5], s[70:71], v[4:5]
	s_delay_alu instid0(VALU_DEP_1)
	v_dual_cndmask_b32 v15, v5, v13, s1 :: v_dual_cndmask_b32 v14, v4, v12, s1
	s_xor_b32 exec_lo, exec_lo, s18
	s_cbranch_execnz .LBB188_150
; %bb.58:                               ;   in Loop: Header=BB188_4 Depth=1
	s_or_b32 exec_lo, exec_lo, s18
	s_and_saveexec_b32 s18, s11
	s_delay_alu instid0(SALU_CYCLE_1)
	s_xor_b32 s18, exec_lo, s18
	s_cbranch_execnz .LBB188_151
.LBB188_59:                             ;   in Loop: Header=BB188_4 Depth=1
	s_and_not1_saveexec_b32 s18, s18
	s_cbranch_execnz .LBB188_152
.LBB188_60:                             ;   in Loop: Header=BB188_4 Depth=1
	s_or_b32 exec_lo, exec_lo, s18
	s_and_saveexec_b32 s18, s12
	s_delay_alu instid0(SALU_CYCLE_1)
	s_xor_b32 s18, exec_lo, s18
	s_cbranch_execnz .LBB188_153
.LBB188_61:                             ;   in Loop: Header=BB188_4 Depth=1
	s_and_not1_saveexec_b32 s18, s18
	s_cbranch_execnz .LBB188_154
.LBB188_62:                             ;   in Loop: Header=BB188_4 Depth=1
	s_or_b32 exec_lo, exec_lo, s18
	s_and_saveexec_b32 s18, s13
	s_delay_alu instid0(SALU_CYCLE_1)
	s_xor_b32 s18, exec_lo, s18
	s_cbranch_execnz .LBB188_155
.LBB188_63:                             ;   in Loop: Header=BB188_4 Depth=1
	s_and_not1_saveexec_b32 s18, s18
	s_cbranch_execz .LBB188_65
.LBB188_64:                             ;   in Loop: Header=BB188_4 Depth=1
	v_add_nc_u64_e32 v[4:5], s[58:59], v[14:15]
	flat_load_b128 v[16:19], v[4:5]
	s_wait_loadcnt_dscnt 0x0
	s_set_vgpr_msb 1                        ;  msbs: dst=0 src0=1 src1=0 src2=0
	ds_store_2addr_b64 v28 /*v284*/, v[16:17], v[18:19] offset1:1
.LBB188_65:                             ;   in Loop: Header=BB188_4 Depth=1
	s_wait_xcnt 0x0
	s_or_b32 exec_lo, exec_lo, s18
	s_set_vgpr_msb 0                        ;  msbs: dst=0 src0=0 src1=0 src2=0
	v_mov_b32_e32 v225, v2
	s_mov_b32 s18, 0
	s_delay_alu instid0(VALU_DEP_1) | instskip(NEXT) | instid1(VALU_DEP_1)
	v_add_nc_u64_e32 v[4:5], v[14:15], v[224:225]
	v_lshl_add_u64 v[4:5], s[64:65], 4, v[4:5]
	s_delay_alu instid0(VALU_DEP_1) | instskip(NEXT) | instid1(VALU_DEP_1)
	v_add_nc_u64_e32 v[4:5], 16, v[4:5]
	v_dual_cndmask_b32 v5, v5, v13, s1 :: v_dual_cndmask_b32 v4, v4, v12, s1
.LBB188_66:                             ;   in Loop: Header=BB188_4 Depth=1
	s_and_b32 vcc_lo, exec_lo, s18
	s_cbranch_vccz .LBB188_68
; %bb.67:                               ;   in Loop: Header=BB188_4 Depth=1
	flat_load_b128 v[14:17], v[12:13]
	v_add_nc_u64_e32 v[4:5], s[54:55], v[10:11]
	s_wait_loadcnt_dscnt 0x0
	s_set_vgpr_msb 1                        ;  msbs: dst=0 src0=1 src1=0 src2=0
	ds_store_2addr_b64 v7 /*v263*/, v[14:15], v[16:17] offset1:1
	s_set_vgpr_msb 0                        ;  msbs: dst=0 src0=0 src1=0 src2=0
	flat_load_b128 v[14:17], v[4:5] offset:-512
	s_wait_xcnt 0x0
	v_add_nc_u64_e32 v[4:5], s[54:55], v[4:5]
	s_wait_loadcnt_dscnt 0x0
	s_set_vgpr_msb 1                        ;  msbs: dst=0 src0=1 src1=0 src2=0
	ds_store_2addr_b64 v26 /*v282*/, v[14:15], v[16:17] offset1:1
	s_set_vgpr_msb 0                        ;  msbs: dst=0 src0=0 src1=0 src2=0
	flat_load_b128 v[14:17], v[4:5] offset:-512
	s_wait_xcnt 0x0
	;; [unrolled: 7-line block ×3, first 2 shown]
	v_mov_b64_e32 v[4:5], v[12:13]
	s_wait_loadcnt_dscnt 0x0
	s_set_vgpr_msb 1                        ;  msbs: dst=0 src0=1 src1=0 src2=0
	ds_store_2addr_b64 v28 /*v284*/, v[14:15], v[16:17] offset1:1
.LBB188_68:                             ;   in Loop: Header=BB188_4 Depth=1
	s_wait_dscnt 0x0
	s_barrier_signal -1
	s_barrier_wait -1
	s_set_vgpr_msb 1                        ;  msbs: dst=0 src0=1 src1=0 src2=0
	ds_load_b128 v[10:13], v23 /*v279*/
	ds_load_b128 v[14:17], v19 /*v275*/
	ds_load_b128 v[18:21], v18 /*v274*/ offset:384
	ds_load_b128 v[22:25], v19 /*v275*/ offset:384
	;; [unrolled: 1-line block ×6, first 2 shown]
	s_wait_dscnt 0x6
	s_set_vgpr_msb 0                        ;  msbs: dst=0 src0=0 src1=0 src2=0
	v_mul_f64_e32 v[44:45], v[12:13], v[16:17]
	v_mul_f64_e32 v[16:17], v[10:11], v[16:17]
	s_wait_dscnt 0x2
	v_mul_f64_e32 v[46:47], v[32:33], v[28:29]
	v_mul_f64_e32 v[28:29], v[30:31], v[28:29]
	s_delay_alu instid0(VALU_DEP_4) | instskip(NEXT) | instid1(VALU_DEP_4)
	v_fma_f64 v[10:11], v[10:11], v[14:15], -v[44:45]
	v_fmac_f64_e32 v[16:17], v[12:13], v[14:15]
	s_wait_dscnt 0x0
	v_mul_f64_e32 v[12:13], v[36:37], v[40:41]
	v_mul_f64_e32 v[14:15], v[34:35], v[40:41]
	v_fma_f64 v[30:31], v[30:31], v[26:27], -v[46:47]
	v_fmac_f64_e32 v[28:29], v[32:33], v[26:27]
	v_mul_f64_e32 v[26:27], v[20:21], v[24:25]
	v_mul_f64_e32 v[24:25], v[18:19], v[24:25]
	v_add_f64_e32 v[10:11], 0, v[10:11]
	v_add_f64_e32 v[16:17], 0, v[16:17]
	v_fma_f64 v[12:13], v[34:35], v[38:39], -v[12:13]
	v_fmac_f64_e32 v[14:15], v[36:37], v[38:39]
	v_fma_f64 v[18:19], v[18:19], v[22:23], -v[26:27]
	v_fmac_f64_e32 v[24:25], v[20:21], v[22:23]
	v_add_f64_e32 v[10:11], v[10:11], v[30:31]
	v_add_f64_e32 v[16:17], v[16:17], v[28:29]
	s_delay_alu instid0(VALU_DEP_2) | instskip(NEXT) | instid1(VALU_DEP_2)
	v_add_f64_e32 v[10:11], v[10:11], v[12:13]
	v_add_f64_e32 v[12:13], v[16:17], v[14:15]
	s_delay_alu instid0(VALU_DEP_2) | instskip(NEXT) | instid1(VALU_DEP_2)
	v_add_f64_e32 v[44:45], v[10:11], v[18:19]
	v_add_f64_e32 v[46:47], v[12:13], v[24:25]
	s_set_vgpr_msb 1                        ;  msbs: dst=0 src0=1 src1=0 src2=0
	ds_load_b128 v[34:37], v12 /*v268*/ offset:512
	ds_load_b128 v[26:29], v12 /*v268*/ offset:528
	ds_load_b128 v[14:17], v12 /*v268*/ offset:544
	ds_load_b128 v[10:13], v12 /*v268*/ offset:560
	ds_load_b128 v[38:41], v10 /*v266*/
	ds_load_b128 v[30:33], v9 /*v265*/
	;; [unrolled: 1-line block ×4, first 2 shown]
	s_wait_dscnt 0x0
	s_barrier_signal -1
	s_barrier_wait -1
	ds_store_b128 v18 /*v274*/, v[44:47]
	s_wait_dscnt 0x0
	s_barrier_signal -1
	s_barrier_wait -1
	s_and_saveexec_b32 s18, s17
	s_set_vgpr_msb 0                        ;  msbs: dst=0 src0=0 src1=0 src2=0
	s_cbranch_execz .LBB188_70
; %bb.69:                               ;   in Loop: Header=BB188_4 Depth=1
	s_set_vgpr_msb 1                        ;  msbs: dst=0 src0=1 src1=0 src2=0
	ds_load_b128 v[44:47], v13 /*v269*/
	ds_load_b128 v[48:51], v13 /*v269*/ offset:16
	s_wait_dscnt 0x1
	s_set_vgpr_msb 0                        ;  msbs: dst=0 src0=0 src1=0 src2=0
	v_add_f64_e32 v[6:7], v[6:7], v[44:45]
	v_add_f64_e32 v[8:9], v[8:9], v[46:47]
	s_wait_dscnt 0x0
	s_delay_alu instid0(VALU_DEP_2) | instskip(NEXT) | instid1(VALU_DEP_2)
	v_add_f64_e32 v[48:49], v[6:7], v[48:49]
	v_add_f64_e32 v[50:51], v[8:9], v[50:51]
	s_set_vgpr_msb 1                        ;  msbs: dst=0 src0=1 src1=0 src2=0
	ds_load_b128 v[6:9], v13 /*v269*/ offset:32
	ds_load_b128 v[44:47], v13 /*v269*/ offset:48
	s_wait_dscnt 0x1
	s_set_vgpr_msb 0                        ;  msbs: dst=0 src0=0 src1=0 src2=0
	v_add_f64_e32 v[6:7], v[48:49], v[6:7]
	v_add_f64_e32 v[8:9], v[50:51], v[8:9]
	s_wait_dscnt 0x0
	s_delay_alu instid0(VALU_DEP_2) | instskip(NEXT) | instid1(VALU_DEP_2)
	v_add_f64_e32 v[48:49], v[6:7], v[44:45]
	v_add_f64_e32 v[50:51], v[8:9], v[46:47]
	s_set_vgpr_msb 1                        ;  msbs: dst=0 src0=1 src1=0 src2=0
	ds_load_b128 v[6:9], v13 /*v269*/ offset:64
	;; [unrolled: 11-line block ×3, first 2 shown]
	ds_load_b128 v[44:47], v13 /*v269*/ offset:112
	s_wait_dscnt 0x1
	s_set_vgpr_msb 0                        ;  msbs: dst=0 src0=0 src1=0 src2=0
	v_add_f64_e32 v[6:7], v[48:49], v[6:7]
	v_add_f64_e32 v[8:9], v[50:51], v[8:9]
	s_wait_dscnt 0x0
	s_delay_alu instid0(VALU_DEP_2) | instskip(NEXT) | instid1(VALU_DEP_2)
	v_add_f64_e32 v[6:7], v[6:7], v[44:45]
	v_add_f64_e32 v[8:9], v[8:9], v[46:47]
.LBB188_70:                             ;   in Loop: Header=BB188_4 Depth=1
	s_or_b32 exec_lo, exec_lo, s18
	v_mul_f64_e32 v[44:45], v[36:37], v[40:41]
	v_mul_f64_e32 v[40:41], v[34:35], v[40:41]
	;; [unrolled: 1-line block ×4, first 2 shown]
	s_barrier_signal -1
	s_barrier_wait -1
	s_delay_alu instid0(VALU_DEP_4) | instskip(NEXT) | instid1(VALU_DEP_4)
	v_fma_f64 v[34:35], v[34:35], v[38:39], -v[44:45]
	v_fmac_f64_e32 v[40:41], v[36:37], v[38:39]
	v_mul_f64_e32 v[36:37], v[16:17], v[24:25]
	v_mul_f64_e32 v[24:25], v[14:15], v[24:25]
	v_fma_f64 v[26:27], v[26:27], v[30:31], -v[46:47]
	v_fmac_f64_e32 v[32:33], v[28:29], v[30:31]
	v_add_f64_e32 v[28:29], 0, v[34:35]
	v_add_f64_e32 v[30:31], 0, v[40:41]
	v_mul_f64_e32 v[34:35], v[12:13], v[20:21]
	v_mul_f64_e32 v[20:21], v[10:11], v[20:21]
	v_fma_f64 v[14:15], v[14:15], v[22:23], -v[36:37]
	v_fmac_f64_e32 v[24:25], v[16:17], v[22:23]
	v_add_f64_e32 v[16:17], v[28:29], v[26:27]
	v_add_f64_e32 v[22:23], v[30:31], v[32:33]
	v_fma_f64 v[10:11], v[10:11], v[18:19], -v[34:35]
	v_fmac_f64_e32 v[20:21], v[12:13], v[18:19]
	s_delay_alu instid0(VALU_DEP_4) | instskip(NEXT) | instid1(VALU_DEP_4)
	v_add_f64_e32 v[12:13], v[16:17], v[14:15]
	v_add_f64_e32 v[14:15], v[22:23], v[24:25]
	s_delay_alu instid0(VALU_DEP_2) | instskip(NEXT) | instid1(VALU_DEP_2)
	v_add_f64_e32 v[10:11], v[12:13], v[10:11]
	v_add_f64_e32 v[12:13], v[14:15], v[20:21]
	s_set_vgpr_msb 1                        ;  msbs: dst=0 src0=1 src1=0 src2=0
	ds_store_b128 v18 /*v274*/, v[10:13]
	s_wait_dscnt 0x0
	s_barrier_signal -1
	s_barrier_wait -1
	s_and_saveexec_b32 s18, s14
	s_set_vgpr_msb 0                        ;  msbs: dst=0 src0=0 src1=0 src2=0
	s_cbranch_execz .LBB188_72
; %bb.71:                               ;   in Loop: Header=BB188_4 Depth=1
	s_set_vgpr_msb 1                        ;  msbs: dst=0 src0=1 src1=0 src2=0
	ds_load_b128 v[10:13], v13 /*v269*/
	ds_load_b128 v[14:17], v13 /*v269*/ offset:16
	s_wait_dscnt 0x1
	s_set_vgpr_msb 0                        ;  msbs: dst=0 src0=0 src1=0 src2=0
	v_add_f64_e32 v[6:7], v[6:7], v[10:11]
	v_add_f64_e32 v[8:9], v[8:9], v[12:13]
	s_wait_dscnt 0x0
	s_delay_alu instid0(VALU_DEP_2) | instskip(NEXT) | instid1(VALU_DEP_2)
	v_add_f64_e32 v[14:15], v[6:7], v[14:15]
	v_add_f64_e32 v[16:17], v[8:9], v[16:17]
	s_set_vgpr_msb 1                        ;  msbs: dst=0 src0=1 src1=0 src2=0
	ds_load_b128 v[6:9], v13 /*v269*/ offset:32
	ds_load_b128 v[10:13], v13 /*v269*/ offset:48
	s_wait_dscnt 0x1
	s_set_vgpr_msb 0                        ;  msbs: dst=0 src0=0 src1=0 src2=0
	v_add_f64_e32 v[6:7], v[14:15], v[6:7]
	v_add_f64_e32 v[8:9], v[16:17], v[8:9]
	s_wait_dscnt 0x0
	s_delay_alu instid0(VALU_DEP_2) | instskip(NEXT) | instid1(VALU_DEP_2)
	v_add_f64_e32 v[14:15], v[6:7], v[10:11]
	v_add_f64_e32 v[16:17], v[8:9], v[12:13]
	s_set_vgpr_msb 1                        ;  msbs: dst=0 src0=1 src1=0 src2=0
	ds_load_b128 v[6:9], v13 /*v269*/ offset:64
	;; [unrolled: 11-line block ×3, first 2 shown]
	ds_load_b128 v[10:13], v13 /*v269*/ offset:112
	s_wait_dscnt 0x1
	s_set_vgpr_msb 0                        ;  msbs: dst=0 src0=0 src1=0 src2=0
	v_add_f64_e32 v[6:7], v[14:15], v[6:7]
	v_add_f64_e32 v[8:9], v[16:17], v[8:9]
	s_wait_dscnt 0x0
	s_delay_alu instid0(VALU_DEP_2) | instskip(NEXT) | instid1(VALU_DEP_2)
	v_add_f64_e32 v[6:7], v[6:7], v[10:11]
	v_add_f64_e32 v[8:9], v[8:9], v[12:13]
.LBB188_72:                             ;   in Loop: Header=BB188_4 Depth=1
	s_or_b32 exec_lo, exec_lo, s18
	s_mul_u64 s[18:19], s[48:49], s[34:35]
	s_and_not1_b32 vcc_lo, exec_lo, s41
	s_lshl_b64 s[18:19], s[18:19], 4
	s_delay_alu instid0(SALU_CYCLE_1)
	s_add_nc_u64 s[18:19], s[50:51], s[18:19]
	s_barrier_signal -1
	s_barrier_wait -1
	s_cbranch_vccnz .LBB188_130
; %bb.73:                               ;   in Loop: Header=BB188_4 Depth=1
	v_add_nc_u64_e32 v[228:229], v[4:5], v[0:1]
	v_add_nc_u64_e32 v[230:231], v[4:5], v[192:193]
	;; [unrolled: 1-line block ×14, first 2 shown]
	s_set_vgpr_msb 64                       ;  msbs: dst=1 src0=0 src1=0 src2=0
	v_add_nc_u64_e32 v[0:1] /*v[256:257]*/, v[4:5], v[218:219]
	v_add_nc_u64_e32 v[2:3] /*v[258:259]*/, v[4:5], v[220:221]
	v_lshl_add_u64 v[4:5] /*v[260:261]*/, s[62:63], 4, v[42:43]
	s_mov_b32 s74, s80
	s_mov_b32 s81, s42
	s_delay_alu instid0(SALU_CYCLE_1)
	s_cmp_eq_u32 s43, s81
	s_cselect_b32 s82, s76, 0
	s_and_saveexec_b32 s83, s0
	s_set_vgpr_msb 0                        ;  msbs: dst=0 src0=0 src1=0 src2=0
	s_cbranch_execz .LBB188_78
.LBB188_74:                             ;   in Loop: Header=BB188_4 Depth=1
	s_set_vgpr_msb 4                        ;  msbs: dst=0 src0=0 src1=1 src2=0
	v_cmp_le_i32_e32 vcc_lo, s82, v6 /*v262*/
	s_cmp_lg_u32 s82, 0
	s_cselect_b32 s75, -1, 0
	s_delay_alu instid0(SALU_CYCLE_1) | instskip(NEXT) | instid1(SALU_CYCLE_1)
	s_and_b32 s75, s75, vcc_lo
	s_and_saveexec_b32 s84, s75
	s_delay_alu instid0(SALU_CYCLE_1)
	s_xor_b32 s75, exec_lo, s84
; %bb.75:                               ;   in Loop: Header=BB188_4 Depth=1
	v_dual_mov_b32 v3, v2 :: v_dual_mov_b32 v4, v2
	v_mov_b32_e32 v5, v2
	s_set_vgpr_msb 1                        ;  msbs: dst=0 src0=1 src1=0 src2=0
	ds_store_b128 v37 /*v293*/, v[2:5]
; %bb.76:                               ;   in Loop: Header=BB188_4 Depth=1
	s_and_not1_saveexec_b32 s75, s75
	s_set_vgpr_msb 0                        ;  msbs: dst=0 src0=0 src1=0 src2=0
	s_cbranch_execz .LBB188_78
; %bb.77:                               ;   in Loop: Header=BB188_4 Depth=1
	s_ashr_i32 s75, s74, 31
	s_delay_alu instid0(SALU_CYCLE_1)
	s_mul_u64 s[84:85], s[46:47], s[74:75]
	s_set_vgpr_msb 16                       ;  msbs: dst=0 src0=0 src1=0 src2=1
	v_lshl_add_u64 v[4:5], s[84:85], 4, v[4:5] /*v[260:261]*/
	flat_load_b128 v[10:13], v[4:5]
	s_wait_loadcnt_dscnt 0x0
	s_set_vgpr_msb 1                        ;  msbs: dst=0 src0=1 src1=0 src2=0
	ds_store_2addr_b64 v37 /*v293*/, v[10:11], v[12:13] offset1:1
.LBB188_78:                             ;   Parent Loop BB188_4 Depth=1
                                        ; =>  This Inner Loop Header: Depth=2
	s_wait_xcnt 0x0
	s_or_b32 exec_lo, exec_lo, s83
	s_cmp_eq_u32 s82, 0
	s_set_vgpr_msb 0                        ;  msbs: dst=0 src0=0 src1=0 src2=0
	v_add_nc_u64_e32 v[4:5], v[236:237], v[190:191]
	s_cselect_b32 s75, -1, 0
	s_cmp_lg_u32 s82, 0
	s_wait_dscnt 0x0
	s_cselect_b32 s83, -1, 0
	s_barrier_signal -1
	s_and_b32 vcc_lo, exec_lo, s83
	s_barrier_wait -1
	s_cbranch_vccz .LBB188_86
; %bb.79:                               ;   in Loop: Header=BB188_78 Depth=2
	v_mov_b64_e32 v[10:11], 0
	v_mov_b64_e32 v[14:15], 0
	;; [unrolled: 1-line block ×3, first 2 shown]
	s_mov_b32 s84, exec_lo
	s_set_vgpr_msb 4                        ;  msbs: dst=0 src0=0 src1=1 src2=0
	v_cmpx_gt_i32_e64 s82, v20 /*v276*/
	s_set_vgpr_msb 0                        ;  msbs: dst=0 src0=0 src1=0 src2=0
	s_cbranch_execz .LBB188_81
; %bb.80:                               ;   in Loop: Header=BB188_78 Depth=2
	flat_load_b128 v[14:17], v[4:5]
.LBB188_81:                             ;   in Loop: Header=BB188_78 Depth=2
	s_wait_xcnt 0x0
	s_or_b32 exec_lo, exec_lo, s84
	v_mov_b64_e32 v[12:13], 0
	s_mov_b32 s84, exec_lo
	s_set_vgpr_msb 4                        ;  msbs: dst=0 src0=0 src1=1 src2=0
	v_cmpx_gt_i32_e64 s82, v38 /*v294*/
	s_set_vgpr_msb 0                        ;  msbs: dst=0 src0=0 src1=0 src2=0
	s_cbranch_execz .LBB188_83
; %bb.82:                               ;   in Loop: Header=BB188_78 Depth=2
	v_add_nc_u64_e32 v[10:11], v[232:233], v[190:191]
	flat_load_b128 v[10:13], v[10:11]
.LBB188_83:                             ;   in Loop: Header=BB188_78 Depth=2
	s_wait_xcnt 0x0
	s_or_b32 exec_lo, exec_lo, s84
	v_mov_b64_e32 v[18:19], 0
	v_mov_b64_e32 v[20:21], 0
	s_mov_b32 s84, exec_lo
	s_set_vgpr_msb 4                        ;  msbs: dst=0 src0=0 src1=1 src2=0
	v_cmpx_gt_i32_e64 s82, v39 /*v295*/
	s_set_vgpr_msb 0                        ;  msbs: dst=0 src0=0 src1=0 src2=0
	s_cbranch_execz .LBB188_85
; %bb.84:                               ;   in Loop: Header=BB188_78 Depth=2
	v_add_nc_u64_e32 v[18:19], v[228:229], v[190:191]
	flat_load_b128 v[18:21], v[18:19] offset:-8
.LBB188_85:                             ;   in Loop: Header=BB188_78 Depth=2
	s_wait_xcnt 0x0
	s_or_b32 exec_lo, exec_lo, s84
	s_set_vgpr_msb 4                        ;  msbs: dst=0 src0=0 src1=1 src2=0
	v_cmp_gt_i32_e64 s84, s82, v40 /*v296*/
	s_set_vgpr_msb 0                        ;  msbs: dst=0 src0=0 src1=0 src2=0
	s_branch .LBB188_88
.LBB188_86:                             ;   in Loop: Header=BB188_78 Depth=2
	s_mov_b32 s84, 0
                                        ; implicit-def: $vgpr20_vgpr21
                                        ; implicit-def: $vgpr12_vgpr13
                                        ; implicit-def: $vgpr16_vgpr17
	s_cbranch_execz .LBB188_88
; %bb.87:                               ;   in Loop: Header=BB188_78 Depth=2
	s_wait_loadcnt_dscnt 0x0
	v_add_nc_u64_e32 v[10:11], v[232:233], v[190:191]
	v_add_nc_u64_e32 v[18:19], v[228:229], v[190:191]
	s_or_b32 s84, s84, exec_lo
	flat_load_b128 v[14:17], v[4:5]
	flat_load_b128 v[10:13], v[10:11]
	flat_load_b128 v[18:21], v[18:19] offset:-8
.LBB188_88:                             ;   in Loop: Header=BB188_78 Depth=2
	v_mov_b64_e32 v[22:23], 0
	v_mov_b64_e32 v[24:25], 0
	s_wait_xcnt 0x0
	s_and_saveexec_b32 s85, s84
	s_cbranch_execz .LBB188_90
; %bb.89:                               ;   in Loop: Header=BB188_78 Depth=2
	v_add_nc_u64_e32 v[4:5], v[240:241], v[190:191]
	flat_load_b128 v[22:25], v[4:5]
.LBB188_90:                             ;   in Loop: Header=BB188_78 Depth=2
	s_wait_xcnt 0x0
	s_or_b32 exec_lo, exec_lo, s85
	s_set_vgpr_msb 1                        ;  msbs: dst=0 src0=1 src1=0 src2=0
	ds_load_b128 v[30:33], v25 /*v281*/
	ds_load_b128 v[26:29], v11 /*v267*/
	v_cndmask_b32_e64 v3, 0, 1, s83
	s_and_not1_b32 vcc_lo, exec_lo, s83
	s_wait_loadcnt_dscnt 0x1
	s_set_vgpr_msb 0                        ;  msbs: dst=0 src0=0 src1=0 src2=0
	v_mul_f64_e32 v[4:5], v[16:17], v[32:33]
	v_mul_f64_e32 v[44:45], v[14:15], v[32:33]
	;; [unrolled: 1-line block ×8, first 2 shown]
	v_fma_f64 v[42:43], v[14:15], v[30:31], -v[4:5]
	v_fmac_f64_e32 v[44:45], v[16:17], v[30:31]
	v_fma_f64 v[46:47], v[10:11], v[30:31], -v[34:35]
	v_fmac_f64_e32 v[48:49], v[12:13], v[30:31]
	v_fma_f64 v[50:51], v[18:19], v[30:31], -v[36:37]
	v_fmac_f64_e32 v[52:53], v[20:21], v[30:31]
	v_fma_f64 v[54:55], v[22:23], v[30:31], -v[38:39]
	v_fmac_f64_e32 v[56:57], v[24:25], v[30:31]
	s_set_vgpr_msb 1                        ;  msbs: dst=0 src0=1 src1=0 src2=0
	ds_load_b128 v[38:41], v11 /*v267*/ offset:16
	ds_load_b128 v[34:37], v11 /*v267*/ offset:32
	;; [unrolled: 1-line block ×3, first 2 shown]
	s_set_vgpr_msb 0                        ;  msbs: dst=0 src0=0 src1=0 src2=0
	v_add_nc_u64_e32 v[4:5], v[252:253], v[190:191]
	s_set_vgpr_msb 1                        ;  msbs: dst=0 src0=1 src1=0 src2=0
	ds_store_b128 v21 /*v277*/, v[42:45]
	ds_store_b128 v21 /*v277*/, v[46:49] offset:1072
	ds_store_b128 v21 /*v277*/, v[50:53] offset:2144
	;; [unrolled: 1-line block ×3, first 2 shown]
	s_wait_dscnt 0x0
	s_barrier_signal -1
	s_barrier_wait -1
	ds_load_b128 v[98:101], v14 /*v270*/
	ds_load_b128 v[94:97], v14 /*v270*/ offset:16
	ds_load_b128 v[90:93], v14 /*v270*/ offset:32
	;; [unrolled: 1-line block ×3, first 2 shown]
	s_wait_dscnt 0x0
	s_barrier_signal -1
	s_barrier_wait -1
	s_set_vgpr_msb 0                        ;  msbs: dst=0 src0=0 src1=0 src2=0
	s_cbranch_vccnz .LBB188_98
; %bb.91:                               ;   in Loop: Header=BB188_78 Depth=2
	v_mov_b64_e32 v[42:43], 0
	v_mov_b64_e32 v[46:47], 0
	;; [unrolled: 1-line block ×3, first 2 shown]
	s_mov_b32 s83, exec_lo
	s_set_vgpr_msb 4                        ;  msbs: dst=0 src0=0 src1=1 src2=0
	v_cmpx_gt_i32_e64 s82, v41 /*v297*/
	s_set_vgpr_msb 0                        ;  msbs: dst=0 src0=0 src1=0 src2=0
	s_cbranch_execz .LBB188_93
; %bb.92:                               ;   in Loop: Header=BB188_78 Depth=2
	flat_load_b128 v[46:49], v[4:5]
.LBB188_93:                             ;   in Loop: Header=BB188_78 Depth=2
	s_wait_xcnt 0x0
	s_or_b32 exec_lo, exec_lo, s83
	v_mov_b64_e32 v[44:45], 0
	s_mov_b32 s83, exec_lo
	s_set_vgpr_msb 4                        ;  msbs: dst=0 src0=0 src1=1 src2=0
	v_cmpx_gt_i32_e64 s82, v42 /*v298*/
	s_set_vgpr_msb 0                        ;  msbs: dst=0 src0=0 src1=0 src2=0
	s_cbranch_execz .LBB188_95
; %bb.94:                               ;   in Loop: Header=BB188_78 Depth=2
	v_add_nc_u64_e32 v[42:43], v[248:249], v[190:191]
	flat_load_b128 v[42:45], v[42:43]
.LBB188_95:                             ;   in Loop: Header=BB188_78 Depth=2
	s_wait_xcnt 0x0
	s_or_b32 exec_lo, exec_lo, s83
	v_mov_b64_e32 v[50:51], 0
	v_mov_b64_e32 v[52:53], 0
	s_mov_b32 s83, exec_lo
	s_set_vgpr_msb 4                        ;  msbs: dst=0 src0=0 src1=1 src2=0
	v_cmpx_gt_i32_e64 s82, v43 /*v299*/
	s_set_vgpr_msb 0                        ;  msbs: dst=0 src0=0 src1=0 src2=0
	s_cbranch_execz .LBB188_97
; %bb.96:                               ;   in Loop: Header=BB188_78 Depth=2
	v_add_nc_u64_e32 v[50:51], v[244:245], v[190:191]
	flat_load_b128 v[50:53], v[50:51] offset:-8
.LBB188_97:                             ;   in Loop: Header=BB188_78 Depth=2
	s_wait_xcnt 0x0
	s_or_b32 exec_lo, exec_lo, s83
	s_set_vgpr_msb 4                        ;  msbs: dst=0 src0=0 src1=1 src2=0
	v_cmp_gt_i32_e64 s83, s82, v44 /*v300*/
	s_set_vgpr_msb 0                        ;  msbs: dst=0 src0=0 src1=0 src2=0
	s_branch .LBB188_100
.LBB188_98:                             ;   in Loop: Header=BB188_78 Depth=2
	s_mov_b32 s83, 0
                                        ; implicit-def: $vgpr52_vgpr53
                                        ; implicit-def: $vgpr44_vgpr45
                                        ; implicit-def: $vgpr48_vgpr49
	s_cbranch_execz .LBB188_100
; %bb.99:                               ;   in Loop: Header=BB188_78 Depth=2
	s_wait_loadcnt_dscnt 0x0
	v_add_nc_u64_e32 v[42:43], v[248:249], v[190:191]
	v_add_nc_u64_e32 v[50:51], v[244:245], v[190:191]
	s_or_b32 s83, s83, exec_lo
	flat_load_b128 v[46:49], v[4:5]
	flat_load_b128 v[42:45], v[42:43]
	flat_load_b128 v[50:53], v[50:51] offset:-8
.LBB188_100:                            ;   in Loop: Header=BB188_78 Depth=2
	v_mov_b64_e32 v[54:55], 0
	v_mov_b64_e32 v[56:57], 0
	s_wait_xcnt 0x0
	s_and_saveexec_b32 s84, s83
	s_cbranch_execz .LBB188_102
; %bb.101:                              ;   in Loop: Header=BB188_78 Depth=2
	s_set_vgpr_msb 1                        ;  msbs: dst=0 src0=1 src1=0 src2=0
	v_add_nc_u64_e32 v[4:5], v[0:1] /*v[256:257]*/, v[190:191]
	s_set_vgpr_msb 0                        ;  msbs: dst=0 src0=0 src1=0 src2=0
	flat_load_b128 v[54:57], v[4:5]
.LBB188_102:                            ;   in Loop: Header=BB188_78 Depth=2
	s_wait_xcnt 0x0
	s_or_b32 exec_lo, exec_lo, s84
	s_set_vgpr_msb 1                        ;  msbs: dst=0 src0=1 src1=0 src2=0
	ds_load_b128 v[62:65], v25 /*v281*/
	ds_load_b128 v[58:61], v11 /*v267*/ offset:256
	v_cmp_ne_u32_e32 vcc_lo, 1, v3
	s_and_b32 vcc_lo, exec_lo, vcc_lo
	s_wait_loadcnt_dscnt 0x1
	s_set_vgpr_msb 0                        ;  msbs: dst=0 src0=0 src1=0 src2=0
	v_mul_f64_e32 v[4:5], v[48:49], v[64:65]
	v_mul_f64_e32 v[72:73], v[46:47], v[64:65]
	;; [unrolled: 1-line block ×8, first 2 shown]
	v_fma_f64 v[70:71], v[46:47], v[62:63], -v[4:5]
	v_fmac_f64_e32 v[72:73], v[48:49], v[62:63]
	v_fma_f64 v[78:79], v[42:43], v[62:63], -v[66:67]
	v_fmac_f64_e32 v[80:81], v[44:45], v[62:63]
	;; [unrolled: 2-line block ×4, first 2 shown]
	s_set_vgpr_msb 1                        ;  msbs: dst=0 src0=1 src1=0 src2=0
	ds_load_b128 v[74:77], v11 /*v267*/ offset:272
	ds_load_b128 v[66:69], v11 /*v267*/ offset:288
	;; [unrolled: 1-line block ×3, first 2 shown]
	s_set_vgpr_msb 0                        ;  msbs: dst=0 src0=0 src1=0 src2=0
	v_add_nc_u64_e32 v[4:5], v[250:251], v[190:191]
	s_set_vgpr_msb 1                        ;  msbs: dst=0 src0=1 src1=0 src2=0
	ds_store_b128 v21 /*v277*/, v[70:73]
	ds_store_b128 v21 /*v277*/, v[78:81] offset:1072
	ds_store_b128 v21 /*v277*/, v[82:85] offset:2144
	;; [unrolled: 1-line block ×3, first 2 shown]
	s_wait_dscnt 0x0
	s_barrier_signal -1
	s_barrier_wait -1
	ds_load_b128 v[150:153], v14 /*v270*/
	ds_load_b128 v[146:149], v14 /*v270*/ offset:16
	ds_load_b128 v[138:141], v14 /*v270*/ offset:32
	;; [unrolled: 1-line block ×3, first 2 shown]
	s_wait_dscnt 0x0
	s_barrier_signal -1
	s_barrier_wait -1
	s_set_vgpr_msb 0                        ;  msbs: dst=0 src0=0 src1=0 src2=0
	s_cbranch_vccnz .LBB188_110
; %bb.103:                              ;   in Loop: Header=BB188_78 Depth=2
	v_mov_b64_e32 v[70:71], 0
	v_mov_b64_e32 v[78:79], 0
	;; [unrolled: 1-line block ×3, first 2 shown]
	s_mov_b32 s83, exec_lo
	s_set_vgpr_msb 4                        ;  msbs: dst=0 src0=0 src1=1 src2=0
	v_cmpx_gt_i32_e64 s82, v45 /*v301*/
	s_set_vgpr_msb 0                        ;  msbs: dst=0 src0=0 src1=0 src2=0
	s_cbranch_execz .LBB188_105
; %bb.104:                              ;   in Loop: Header=BB188_78 Depth=2
	flat_load_b128 v[78:81], v[4:5] offset:-8
.LBB188_105:                            ;   in Loop: Header=BB188_78 Depth=2
	s_wait_xcnt 0x0
	s_or_b32 exec_lo, exec_lo, s83
	v_mov_b64_e32 v[72:73], 0
	s_mov_b32 s83, exec_lo
	s_set_vgpr_msb 4                        ;  msbs: dst=0 src0=0 src1=1 src2=0
	v_cmpx_gt_i32_e64 s82, v46 /*v302*/
	s_set_vgpr_msb 0                        ;  msbs: dst=0 src0=0 src1=0 src2=0
	s_cbranch_execz .LBB188_107
; %bb.106:                              ;   in Loop: Header=BB188_78 Depth=2
	v_add_nc_u64_e32 v[70:71], v[254:255], v[190:191]
	flat_load_b128 v[70:73], v[70:71] offset:-8
.LBB188_107:                            ;   in Loop: Header=BB188_78 Depth=2
	s_wait_xcnt 0x0
	s_or_b32 exec_lo, exec_lo, s83
	v_mov_b64_e32 v[82:83], 0
	v_mov_b64_e32 v[84:85], 0
	s_mov_b32 s83, exec_lo
	s_set_vgpr_msb 4                        ;  msbs: dst=0 src0=0 src1=1 src2=0
	v_cmpx_gt_i32_e64 s82, v47 /*v303*/
	s_set_vgpr_msb 0                        ;  msbs: dst=0 src0=0 src1=0 src2=0
	s_cbranch_execz .LBB188_109
; %bb.108:                              ;   in Loop: Header=BB188_78 Depth=2
	s_set_vgpr_msb 1                        ;  msbs: dst=0 src0=1 src1=0 src2=0
	v_add_nc_u64_e32 v[82:83], v[2:3] /*v[258:259]*/, v[190:191]
	s_set_vgpr_msb 0                        ;  msbs: dst=0 src0=0 src1=0 src2=0
	flat_load_b128 v[82:85], v[82:83] offset:-8
.LBB188_109:                            ;   in Loop: Header=BB188_78 Depth=2
	s_wait_xcnt 0x0
	s_or_b32 exec_lo, exec_lo, s83
	s_set_vgpr_msb 4                        ;  msbs: dst=0 src0=0 src1=1 src2=0
	v_cmp_gt_i32_e64 s83, s82, v48 /*v304*/
	s_set_vgpr_msb 0                        ;  msbs: dst=0 src0=0 src1=0 src2=0
	s_branch .LBB188_112
.LBB188_110:                            ;   in Loop: Header=BB188_78 Depth=2
	s_mov_b32 s83, 0
                                        ; implicit-def: $vgpr84_vgpr85
                                        ; implicit-def: $vgpr72_vgpr73
                                        ; implicit-def: $vgpr80_vgpr81
	s_cbranch_execz .LBB188_112
; %bb.111:                              ;   in Loop: Header=BB188_78 Depth=2
	s_wait_loadcnt_dscnt 0x0
	v_add_nc_u64_e32 v[70:71], v[254:255], v[190:191]
	s_set_vgpr_msb 1                        ;  msbs: dst=0 src0=1 src1=0 src2=0
	v_add_nc_u64_e32 v[82:83], v[2:3] /*v[258:259]*/, v[190:191]
	s_or_b32 s83, s83, exec_lo
	s_set_vgpr_msb 0                        ;  msbs: dst=0 src0=0 src1=0 src2=0
	flat_load_b128 v[78:81], v[4:5] offset:-8
	flat_load_b128 v[70:73], v[70:71] offset:-8
	flat_load_b128 v[82:85], v[82:83] offset:-8
.LBB188_112:                            ;   in Loop: Header=BB188_78 Depth=2
	v_mov_b64_e32 v[102:103], 0
	v_mov_b64_e32 v[104:105], 0
	s_wait_xcnt 0x0
	s_and_saveexec_b32 s84, s83
	s_cbranch_execz .LBB188_114
; %bb.113:                              ;   in Loop: Header=BB188_78 Depth=2
	v_add_nc_u64_e32 v[4:5], v[246:247], v[190:191]
	flat_load_b128 v[102:105], v[4:5] offset:-8
.LBB188_114:                            ;   in Loop: Header=BB188_78 Depth=2
	s_wait_xcnt 0x0
	s_or_b32 exec_lo, exec_lo, s84
	s_set_vgpr_msb 1                        ;  msbs: dst=0 src0=1 src1=0 src2=0
	ds_load_b128 v[106:109], v25 /*v281*/
	v_cmp_ne_u32_e32 vcc_lo, 1, v3
	s_and_b32 vcc_lo, exec_lo, vcc_lo
	s_wait_loadcnt_dscnt 0x0
	s_set_vgpr_msb 0                        ;  msbs: dst=0 src0=0 src1=0 src2=0
	v_mul_f64_e32 v[4:5], v[80:81], v[108:109]
	v_mul_f64_e32 v[120:121], v[78:79], v[108:109]
	;; [unrolled: 1-line block ×8, first 2 shown]
	v_fma_f64 v[118:119], v[78:79], v[106:107], -v[4:5]
	v_fmac_f64_e32 v[120:121], v[80:81], v[106:107]
	v_fma_f64 v[126:127], v[70:71], v[106:107], -v[110:111]
	v_fmac_f64_e32 v[128:129], v[72:73], v[106:107]
	;; [unrolled: 2-line block ×4, first 2 shown]
	s_set_vgpr_msb 1                        ;  msbs: dst=0 src0=1 src1=0 src2=0
	ds_load_b128 v[122:125], v11 /*v267*/ offset:512
	ds_load_b128 v[114:117], v11 /*v267*/ offset:528
	;; [unrolled: 1-line block ×4, first 2 shown]
	s_set_vgpr_msb 0                        ;  msbs: dst=0 src0=0 src1=0 src2=0
	v_add_nc_u64_e32 v[4:5], v[234:235], v[190:191]
	s_set_vgpr_msb 1                        ;  msbs: dst=0 src0=1 src1=0 src2=0
	ds_store_b128 v21 /*v277*/, v[118:121]
	ds_store_b128 v21 /*v277*/, v[126:129] offset:1072
	ds_store_b128 v21 /*v277*/, v[130:133] offset:2144
	;; [unrolled: 1-line block ×3, first 2 shown]
	s_wait_dscnt 0x0
	s_barrier_signal -1
	s_barrier_wait -1
	ds_load_b128 v[182:185], v14 /*v270*/
	ds_load_b128 v[178:181], v14 /*v270*/ offset:16
	ds_load_b128 v[174:177], v14 /*v270*/ offset:32
	;; [unrolled: 1-line block ×3, first 2 shown]
	s_wait_dscnt 0x0
	s_barrier_signal -1
	s_barrier_wait -1
	s_set_vgpr_msb 0                        ;  msbs: dst=0 src0=0 src1=0 src2=0
	s_cbranch_vccnz .LBB188_122
; %bb.115:                              ;   in Loop: Header=BB188_78 Depth=2
	v_mov_b64_e32 v[118:119], 0
	v_mov_b64_e32 v[126:127], 0
	;; [unrolled: 1-line block ×3, first 2 shown]
	s_mov_b32 s83, exec_lo
	s_set_vgpr_msb 4                        ;  msbs: dst=0 src0=0 src1=1 src2=0
	v_cmpx_gt_i32_e64 s82, v49 /*v305*/
	s_set_vgpr_msb 0                        ;  msbs: dst=0 src0=0 src1=0 src2=0
	s_cbranch_execz .LBB188_117
; %bb.116:                              ;   in Loop: Header=BB188_78 Depth=2
	flat_load_b128 v[126:129], v[4:5] offset:-8
.LBB188_117:                            ;   in Loop: Header=BB188_78 Depth=2
	s_wait_xcnt 0x0
	s_or_b32 exec_lo, exec_lo, s83
	v_mov_b64_e32 v[120:121], 0
	s_mov_b32 s83, exec_lo
	s_set_vgpr_msb 4                        ;  msbs: dst=0 src0=0 src1=1 src2=0
	v_cmpx_gt_i32_e64 s82, v50 /*v306*/
	s_set_vgpr_msb 0                        ;  msbs: dst=0 src0=0 src1=0 src2=0
	s_cbranch_execz .LBB188_119
; %bb.118:                              ;   in Loop: Header=BB188_78 Depth=2
	v_add_nc_u64_e32 v[118:119], v[238:239], v[190:191]
	flat_load_b128 v[118:121], v[118:119] offset:-8
.LBB188_119:                            ;   in Loop: Header=BB188_78 Depth=2
	s_wait_xcnt 0x0
	s_or_b32 exec_lo, exec_lo, s83
	v_mov_b64_e32 v[130:131], 0
	v_mov_b64_e32 v[132:133], 0
	s_mov_b32 s83, exec_lo
	s_set_vgpr_msb 4                        ;  msbs: dst=0 src0=0 src1=1 src2=0
	v_cmpx_gt_i32_e64 s82, v51 /*v307*/
	s_set_vgpr_msb 0                        ;  msbs: dst=0 src0=0 src1=0 src2=0
	s_cbranch_execz .LBB188_121
; %bb.120:                              ;   in Loop: Header=BB188_78 Depth=2
	v_add_nc_u64_e32 v[130:131], v[242:243], v[190:191]
	flat_load_b128 v[130:133], v[130:131]
.LBB188_121:                            ;   in Loop: Header=BB188_78 Depth=2
	s_wait_xcnt 0x0
	s_or_b32 exec_lo, exec_lo, s83
	s_set_vgpr_msb 4                        ;  msbs: dst=0 src0=0 src1=1 src2=0
	v_cmp_gt_i32_e64 s83, s82, v52 /*v308*/
	s_set_vgpr_msb 0                        ;  msbs: dst=0 src0=0 src1=0 src2=0
	s_branch .LBB188_124
.LBB188_122:                            ;   in Loop: Header=BB188_78 Depth=2
	s_mov_b32 s83, 0
                                        ; implicit-def: $vgpr132_vgpr133
                                        ; implicit-def: $vgpr120_vgpr121
                                        ; implicit-def: $vgpr128_vgpr129
	s_cbranch_execz .LBB188_124
; %bb.123:                              ;   in Loop: Header=BB188_78 Depth=2
	s_wait_loadcnt_dscnt 0x0
	v_add_nc_u64_e32 v[118:119], v[238:239], v[190:191]
	v_add_nc_u64_e32 v[130:131], v[242:243], v[190:191]
	s_or_b32 s83, s83, exec_lo
	flat_load_b128 v[126:129], v[4:5] offset:-8
	flat_load_b128 v[118:121], v[118:119] offset:-8
	flat_load_b128 v[130:133], v[130:131]
.LBB188_124:                            ;   in Loop: Header=BB188_78 Depth=2
	v_mov_b64_e32 v[142:143], 0
	v_mov_b64_e32 v[144:145], 0
	s_wait_xcnt 0x0
	s_and_saveexec_b32 s84, s83
	s_cbranch_execz .LBB188_126
; %bb.125:                              ;   in Loop: Header=BB188_78 Depth=2
	v_add_nc_u64_e32 v[4:5], v[230:231], v[190:191]
	flat_load_b128 v[142:145], v[4:5] offset:-8
.LBB188_126:                            ;   in Loop: Header=BB188_78 Depth=2
	s_wait_xcnt 0x0
	s_or_b32 exec_lo, exec_lo, s84
	s_set_vgpr_msb 1                        ;  msbs: dst=0 src0=1 src1=0 src2=0
	ds_load_b128 v[158:161], v25 /*v281*/
	ds_load_b128 v[154:157], v11 /*v267*/ offset:768
	v_add_f64_e32 v[150:151], 0, v[150:151]
	v_add_f64_e32 v[152:153], 0, v[152:153]
	s_set_vgpr_msb 4                        ;  msbs: dst=0 src0=0 src1=1 src2=0
	v_cmp_gt_i32_e32 vcc_lo, s82, v6 /*v262*/
	s_or_b32 s75, s75, vcc_lo
	s_delay_alu instid0(SALU_CYCLE_1)
	s_and_b32 s82, s15, s75
	s_wait_loadcnt_dscnt 0x1
	s_set_vgpr_msb 0                        ;  msbs: dst=0 src0=0 src1=0 src2=0
	v_mul_f64_e32 v[4:5], v[128:129], v[160:161]
	s_set_vgpr_msb 64                       ;  msbs: dst=1 src0=0 src1=0 src2=0
	v_mul_f64_e32 v[56:57] /*v[312:313]*/, v[126:127], v[160:161]
	s_set_vgpr_msb 0                        ;  msbs: dst=0 src0=0 src1=0 src2=0
	v_mul_f64_e32 v[162:163], v[120:121], v[160:161]
	s_set_vgpr_msb 64                       ;  msbs: dst=1 src0=0 src1=0 src2=0
	v_mul_f64_e32 v[60:61] /*v[316:317]*/, v[118:119], v[160:161]
	;; [unrolled: 4-line block ×4, first 2 shown]
	s_set_vgpr_msb 0                        ;  msbs: dst=0 src0=0 src1=0 src2=0
	v_add_f64_e32 v[146:147], v[150:151], v[146:147]
	v_add_f64_e32 v[148:149], v[152:153], v[148:149]
	s_set_vgpr_msb 64                       ;  msbs: dst=1 src0=0 src1=0 src2=0
	v_fma_f64 v[54:55] /*v[310:311]*/, v[126:127], v[158:159], -v[4:5]
	v_fmac_f64_e32 v[56:57] /*v[312:313]*/, v[128:129], v[158:159]
	v_fma_f64 v[58:59] /*v[314:315]*/, v[118:119], v[158:159], -v[162:163]
	v_fmac_f64_e32 v[60:61] /*v[316:317]*/, v[120:121], v[158:159]
	;; [unrolled: 2-line block ×4, first 2 shown]
	s_set_vgpr_msb 1                        ;  msbs: dst=0 src0=1 src1=0 src2=0
	ds_load_b128 v[166:169], v11 /*v267*/ offset:784
	ds_load_b128 v[162:165], v11 /*v267*/ offset:800
	;; [unrolled: 1-line block ×3, first 2 shown]
	v_add_f64_e32 v[4:5], 0, v[182:183]
	v_add_f64_e32 v[182:183], 0, v[184:185]
	;; [unrolled: 1-line block ×3, first 2 shown]
	s_set_vgpr_msb 5                        ;  msbs: dst=0 src0=1 src1=1 src2=0
	ds_store_b128 v21 /*v277*/, v[54:57] /*v[310:313]*/
	ds_store_b128 v21 /*v277*/, v[58:61] /*v[314:317]*/ offset:1072
	ds_store_b128 v21 /*v277*/, v[62:65] /*v[318:321]*/ offset:2144
	;; [unrolled: 1-line block ×3, first 2 shown]
	s_wait_dscnt 0x0
	s_barrier_signal -1
	s_barrier_wait -1
	s_set_vgpr_msb 0x41                     ;  msbs: dst=1 src0=1 src1=0 src2=0
	ds_load_b128 v[54:57] /*v[310:313]*/, v14 /*v270*/
	v_add_f64_e32 v[58:59] /*v[314:315]*/, 0, v[100:101]
	s_set_vgpr_msb 1                        ;  msbs: dst=0 src0=1 src1=0 src2=0
	ds_load_b128 v[98:101], v14 /*v270*/ offset:16
	s_set_vgpr_msb 0                        ;  msbs: dst=0 src0=0 src1=0 src2=0
	v_add_f64_e32 v[150:151], v[184:185], v[94:95]
	v_add_f64_e32 v[4:5], v[4:5], v[178:179]
	;; [unrolled: 1-line block ×5, first 2 shown]
	s_wait_dscnt 0x1
	s_set_vgpr_msb 0x44                     ;  msbs: dst=1 src0=0 src1=1 src2=0
	v_add_f64_e32 v[54:55] /*v[310:311]*/, 0, v[54:55] /*v[310:311]*/
	v_add_f64_e32 v[56:57] /*v[312:313]*/, 0, v[56:57] /*v[312:313]*/
	s_set_vgpr_msb 1                        ;  msbs: dst=0 src0=1 src1=0 src2=0
	v_add_f64_e32 v[152:153], v[58:59] /*v[314:315]*/, v[96:97]
	ds_load_b128 v[94:97], v14 /*v270*/ offset:32
	s_set_vgpr_msb 0                        ;  msbs: dst=0 src0=0 src1=0 src2=0
	v_add_f64_e32 v[146:147], v[150:151], v[90:91]
	v_add_f64_e32 v[4:5], v[4:5], v[174:175]
	;; [unrolled: 1-line block ×3, first 2 shown]
	s_wait_dscnt 0x1
	s_set_vgpr_msb 1                        ;  msbs: dst=0 src0=1 src1=0 src2=0
	v_add_f64_e32 v[98:99], v[54:55] /*v[310:311]*/, v[98:99]
	v_add_f64_e32 v[100:101], v[56:57] /*v[312:313]*/, v[100:101]
	s_set_vgpr_msb 0                        ;  msbs: dst=0 src0=0 src1=0 src2=0
	v_add_f64_e32 v[148:149], v[152:153], v[92:93]
	s_set_vgpr_msb 1                        ;  msbs: dst=0 src0=1 src1=0 src2=0
	ds_load_b128 v[90:93], v14 /*v270*/ offset:48
	s_set_vgpr_msb 0                        ;  msbs: dst=0 src0=0 src1=0 src2=0
	v_add_f64_e32 v[86:87], v[146:147], v[86:87]
	s_wait_dscnt 0x0
	s_barrier_signal -1
	s_barrier_wait -1
	v_add_f64_e32 v[150:151], v[98:99], v[94:95]
	v_add_f64_e32 v[152:153], v[100:101], v[96:97]
	;; [unrolled: 1-line block ×9, first 2 shown]
	s_set_vgpr_msb 1                        ;  msbs: dst=0 src0=1 src1=0 src2=0
	ds_store_b128 v24 /*v280*/, v[86:89]
	ds_store_b128 v24 /*v280*/, v[98:101] offset:256
	ds_store_b128 v24 /*v280*/, v[94:97] offset:512
	;; [unrolled: 1-line block ×3, first 2 shown]
	s_wait_dscnt 0x0
	s_barrier_signal -1
	s_barrier_wait -1
	s_and_saveexec_b32 s75, s82
	s_set_vgpr_msb 0                        ;  msbs: dst=0 src0=0 src1=0 src2=0
	s_cbranch_execz .LBB188_128
; %bb.127:                              ;   in Loop: Header=BB188_78 Depth=2
	s_set_vgpr_msb 1                        ;  msbs: dst=0 src0=1 src1=0 src2=0
	ds_load_b128 v[86:89], v15 /*v271*/
	ds_load_b128 v[90:93], v15 /*v271*/ offset:16
	s_set_vgpr_msb 4                        ;  msbs: dst=0 src0=0 src1=1 src2=0
	v_add_nc_u32_e32 v3, s74, v6 /*v262*/
	s_wait_dscnt 0x0
	s_set_vgpr_msb 0                        ;  msbs: dst=0 src0=0 src1=0 src2=0
	v_add_f64_e32 v[4:5], v[90:91], v[86:87]
	v_add_f64_e32 v[94:95], v[92:93], v[88:89]
	s_set_vgpr_msb 1                        ;  msbs: dst=0 src0=1 src1=0 src2=0
	ds_load_b128 v[86:89], v15 /*v271*/ offset:32
	ds_load_b128 v[90:93], v15 /*v271*/ offset:48
	s_wait_dscnt 0x1
	s_set_vgpr_msb 0                        ;  msbs: dst=0 src0=0 src1=0 src2=0
	v_add_f64_e32 v[4:5], v[4:5], v[86:87]
	v_add_f64_e32 v[86:87], v[94:95], v[88:89]
	s_wait_dscnt 0x0
	s_delay_alu instid0(VALU_DEP_2) | instskip(NEXT) | instid1(VALU_DEP_2)
	v_add_f64_e32 v[4:5], v[4:5], v[90:91]
	v_add_f64_e32 v[94:95], v[86:87], v[92:93]
	s_set_vgpr_msb 1                        ;  msbs: dst=0 src0=1 src1=0 src2=0
	ds_load_b128 v[86:89], v15 /*v271*/ offset:64
	ds_load_b128 v[90:93], v15 /*v271*/ offset:80
	s_wait_dscnt 0x1
	s_set_vgpr_msb 0                        ;  msbs: dst=0 src0=0 src1=0 src2=0
	v_add_f64_e32 v[4:5], v[4:5], v[86:87]
	v_add_f64_e32 v[86:87], v[94:95], v[88:89]
	s_wait_dscnt 0x0
	s_delay_alu instid0(VALU_DEP_2) | instskip(NEXT) | instid1(VALU_DEP_2)
	;; [unrolled: 11-line block ×6, first 2 shown]
	v_add_f64_e32 v[4:5], v[4:5], v[90:91]
	v_add_f64_e32 v[94:95], v[86:87], v[92:93]
	s_set_vgpr_msb 1                        ;  msbs: dst=0 src0=1 src1=0 src2=0
	ds_load_b128 v[86:89], v15 /*v271*/ offset:224
	ds_load_b128 v[90:93], v16 /*v272*/
	s_wait_dscnt 0x1
	s_set_vgpr_msb 0                        ;  msbs: dst=0 src0=0 src1=0 src2=0
	v_add_f64_e32 v[4:5], v[4:5], v[86:87]
	v_add_f64_e32 v[88:89], v[94:95], v[88:89]
	s_wait_dscnt 0x0
	s_delay_alu instid0(VALU_DEP_2) | instskip(NEXT) | instid1(VALU_DEP_2)
	v_add_f64_e32 v[86:87], v[4:5], v[90:91]
	v_add_f64_e32 v[88:89], v[88:89], v[92:93]
	global_store_b128 v3, v[86:89], s[18:19] scale_offset
.LBB188_128:                            ;   in Loop: Header=BB188_78 Depth=2
	s_wait_xcnt 0x0
	s_or_b32 exec_lo, exec_lo, s75
	v_mul_f64_e32 v[4:5], v[16:17], v[28:29]
	v_mul_f64_e32 v[28:29], v[14:15], v[28:29]
	;; [unrolled: 1-line block ×4, first 2 shown]
	v_add_nc_u64_e32 v[228:229], s[66:67], v[228:229]
	v_add_nc_u64_e32 v[230:231], s[66:67], v[230:231]
	;; [unrolled: 1-line block ×14, first 2 shown]
	s_set_vgpr_msb 0x44                     ;  msbs: dst=1 src0=0 src1=1 src2=0
	v_add_nc_u64_e32 v[0:1] /*v[256:257]*/, s[66:67], v[0:1] /*v[256:257]*/
	v_add_nc_u64_e32 v[2:3] /*v[258:259]*/, s[66:67], v[2:3] /*v[258:259]*/
	s_add_co_i32 s75, s81, 1
	s_add_co_i32 s81, s81, 2
	;; [unrolled: 1-line block ×3, first 2 shown]
	s_cmp_ge_u32 s81, s40
	s_wait_storecnt 0x0
	s_barrier_signal -1
	s_barrier_wait -1
	s_set_vgpr_msb 0                        ;  msbs: dst=0 src0=0 src1=0 src2=0
	v_fma_f64 v[4:5], v[14:15], v[26:27], -v[4:5]
	v_fmac_f64_e32 v[28:29], v[16:17], v[26:27]
	v_mul_f64_e32 v[14:15], v[20:21], v[36:37]
	v_mul_f64_e32 v[16:17], v[18:19], v[36:37]
	v_fma_f64 v[10:11], v[10:11], v[38:39], -v[86:87]
	v_fmac_f64_e32 v[40:41], v[12:13], v[38:39]
	v_mul_f64_e32 v[12:13], v[22:23], v[32:33]
	v_add_f64_e32 v[4:5], v[6:7], v[4:5]
	v_add_f64_e32 v[6:7], v[8:9], v[28:29]
	v_mul_f64_e32 v[8:9], v[24:25], v[32:33]
	v_fma_f64 v[14:15], v[18:19], v[34:35], -v[14:15]
	v_fmac_f64_e32 v[16:17], v[20:21], v[34:35]
	v_mul_f64_e32 v[18:19], v[46:47], v[60:61]
	v_fmac_f64_e32 v[12:13], v[24:25], v[30:31]
	v_add_f64_e32 v[4:5], v[4:5], v[10:11]
	v_add_f64_e32 v[6:7], v[6:7], v[40:41]
	v_mul_f64_e32 v[10:11], v[48:49], v[60:61]
	v_fma_f64 v[8:9], v[22:23], v[30:31], -v[8:9]
	v_fmac_f64_e32 v[18:19], v[48:49], v[58:59]
	v_add_f64_e32 v[4:5], v[4:5], v[14:15]
	v_add_f64_e32 v[6:7], v[6:7], v[16:17]
	v_mul_f64_e32 v[14:15], v[44:45], v[76:77]
	v_mul_f64_e32 v[16:17], v[42:43], v[76:77]
	v_fma_f64 v[10:11], v[46:47], v[58:59], -v[10:11]
	v_add_f64_e32 v[4:5], v[4:5], v[8:9]
	v_add_f64_e32 v[6:7], v[6:7], v[12:13]
	v_mul_f64_e32 v[8:9], v[52:53], v[68:69]
	v_mul_f64_e32 v[12:13], v[50:51], v[68:69]
	v_fma_f64 v[14:15], v[42:43], v[74:75], -v[14:15]
	v_fmac_f64_e32 v[16:17], v[44:45], v[74:75]
	v_add_f64_e32 v[4:5], v[4:5], v[10:11]
	v_add_f64_e32 v[6:7], v[6:7], v[18:19]
	v_mul_f64_e32 v[10:11], v[56:57], v[64:65]
	v_mul_f64_e32 v[18:19], v[54:55], v[64:65]
	v_fma_f64 v[8:9], v[50:51], v[66:67], -v[8:9]
	v_fmac_f64_e32 v[12:13], v[52:53], v[66:67]
	;; [unrolled: 6-line block ×10, first 2 shown]
	v_add_f64_e32 v[4:5], v[4:5], v[10:11]
	v_add_f64_e32 v[6:7], v[6:7], v[18:19]
	v_fma_f64 v[8:9], v[142:143], v[158:159], -v[8:9]
	v_fmac_f64_e32 v[12:13], v[144:145], v[158:159]
	s_delay_alu instid0(VALU_DEP_4) | instskip(NEXT) | instid1(VALU_DEP_4)
	v_add_f64_e32 v[4:5], v[4:5], v[14:15]
	v_add_f64_e32 v[10:11], v[6:7], v[16:17]
	s_delay_alu instid0(VALU_DEP_2) | instskip(NEXT) | instid1(VALU_DEP_2)
	v_add_f64_e32 v[6:7], v[4:5], v[8:9]
	v_add_f64_e32 v[8:9], v[10:11], v[12:13]
	s_cbranch_scc1 .LBB188_130
; %bb.129:                              ;   in Loop: Header=BB188_78 Depth=2
	s_mov_b32 s81, s75
	s_delay_alu instid0(SALU_CYCLE_1)
	s_cmp_eq_u32 s43, s81
	s_cselect_b32 s82, s76, 0
	s_and_saveexec_b32 s83, s0
	s_cbranch_execnz .LBB188_74
	s_branch .LBB188_78
.LBB188_130:                            ;   in Loop: Header=BB188_4 Depth=1
	s_set_vgpr_msb 1                        ;  msbs: dst=0 src0=1 src1=0 src2=0
	ds_store_b128 v22 /*v278*/, v[6:9]
	s_wait_dscnt 0x0
	s_barrier_signal -1
	s_barrier_wait -1
	s_and_saveexec_b32 s74, s79
	s_set_vgpr_msb 0                        ;  msbs: dst=0 src0=0 src1=0 src2=0
	s_cbranch_execz .LBB188_2
; %bb.131:                              ;   in Loop: Header=BB188_4 Depth=1
	ds_load_b128 v[4:7], v190 offset:1072
	ds_load_b128 v[8:11], v190
	s_wait_dscnt 0x0
	v_add_f64_e32 v[12:13], v[4:5], v[8:9]
	v_add_f64_e32 v[14:15], v[6:7], v[10:11]
	ds_load_b128 v[4:7], v190 offset:2144
	ds_load_b128 v[8:11], v190 offset:3216
	s_wait_dscnt 0x1
	v_add_f64_e32 v[4:5], v[12:13], v[4:5]
	v_add_f64_e32 v[6:7], v[14:15], v[6:7]
	s_wait_dscnt 0x0
	s_delay_alu instid0(VALU_DEP_2) | instskip(NEXT) | instid1(VALU_DEP_2)
	v_add_f64_e32 v[4:5], v[4:5], v[8:9]
	v_add_f64_e32 v[6:7], v[6:7], v[10:11]
	v_lshl_add_u64 v[8:9], v[186:187], 4, s[18:19]
	global_store_b128 v[8:9], v[4:7], off
	s_branch .LBB188_2
.LBB188_132:                            ;   in Loop: Header=BB188_4 Depth=1
	s_set_vgpr_msb 1                        ;  msbs: dst=0 src0=1 src1=0 src2=0
	ds_load_b128 v[6:9], v10 /*v266*/
	s_wait_dscnt 0x0
	ds_store_b128 v8 /*v264*/, v[6:9]
	s_or_b32 exec_lo, exec_lo, s18
	s_and_saveexec_b32 s18, s7
	s_set_vgpr_msb 0                        ;  msbs: dst=0 src0=0 src1=0 src2=0
	s_cbranch_execz .LBB188_28
.LBB188_133:                            ;   in Loop: Header=BB188_4 Depth=1
	s_set_vgpr_msb 1                        ;  msbs: dst=0 src0=1 src1=0 src2=0
	ds_load_b128 v[6:9], v9 /*v265*/
	s_wait_dscnt 0x0
	ds_store_b128 v29 /*v285*/, v[6:9]
	s_or_b32 exec_lo, exec_lo, s18
	s_and_saveexec_b32 s18, s8
	s_set_vgpr_msb 0                        ;  msbs: dst=0 src0=0 src1=0 src2=0
	s_cbranch_execz .LBB188_29
.LBB188_134:                            ;   in Loop: Header=BB188_4 Depth=1
	s_set_vgpr_msb 1                        ;  msbs: dst=0 src0=1 src1=0 src2=0
	ds_load_b128 v[6:9], v31 /*v287*/
	s_wait_dscnt 0x0
	ds_store_b128 v30 /*v286*/, v[6:9]
	s_or_b32 exec_lo, exec_lo, s18
	s_and_saveexec_b32 s18, s9
	s_set_vgpr_msb 0                        ;  msbs: dst=0 src0=0 src1=0 src2=0
	s_cbranch_execnz .LBB188_30
	s_branch .LBB188_31
.LBB188_135:                            ;   in Loop: Header=BB188_4 Depth=1
	s_set_vgpr_msb 1                        ;  msbs: dst=0 src0=1 src1=0 src2=0
	ds_load_b128 v[12:15], v10 /*v266*/
	s_wait_dscnt 0x0
	ds_store_b128 v17 /*v273*/, v[12:15]
	s_or_b32 exec_lo, exec_lo, s18
	s_and_saveexec_b32 s18, s7
	s_set_vgpr_msb 0                        ;  msbs: dst=0 src0=0 src1=0 src2=0
	s_cbranch_execz .LBB188_49
.LBB188_136:                            ;   in Loop: Header=BB188_4 Depth=1
	s_set_vgpr_msb 1                        ;  msbs: dst=0 src0=1 src1=0 src2=0
	ds_load_b128 v[12:15], v9 /*v265*/
	s_wait_dscnt 0x0
	ds_store_b128 v34 /*v290*/, v[12:15]
	s_or_b32 exec_lo, exec_lo, s18
	s_and_saveexec_b32 s18, s8
	s_set_vgpr_msb 0                        ;  msbs: dst=0 src0=0 src1=0 src2=0
	s_cbranch_execz .LBB188_50
.LBB188_137:                            ;   in Loop: Header=BB188_4 Depth=1
	s_set_vgpr_msb 1                        ;  msbs: dst=0 src0=1 src1=0 src2=0
	ds_load_b128 v[12:15], v31 /*v287*/
	s_wait_dscnt 0x0
	ds_store_b128 v35 /*v291*/, v[12:15]
	s_or_b32 exec_lo, exec_lo, s18
	s_and_saveexec_b32 s18, s9
	s_set_vgpr_msb 0                        ;  msbs: dst=0 src0=0 src1=0 src2=0
	s_cbranch_execnz .LBB188_51
	s_branch .LBB188_52
.LBB188_138:                            ;   in Loop: Header=BB188_4 Depth=1
	flat_load_b128 v[10:13], v[8:9]
	s_wait_loadcnt_dscnt 0x0
	s_set_vgpr_msb 1                        ;  msbs: dst=0 src0=1 src1=0 src2=0
	ds_store_2addr_b64 v7 /*v263*/, v[10:11], v[12:13] offset1:1
	s_wait_xcnt 0x0
	s_or_b32 exec_lo, exec_lo, s18
	s_and_saveexec_b32 s18, s3
	s_delay_alu instid0(SALU_CYCLE_1)
	s_xor_b32 s18, exec_lo, s18
	s_set_vgpr_msb 0                        ;  msbs: dst=0 src0=0 src1=0 src2=0
	s_cbranch_execz .LBB188_17
.LBB188_139:                            ;   in Loop: Header=BB188_4 Depth=1
	v_dual_mov_b32 v3, v2 :: v_dual_mov_b32 v4, v2
	v_mov_b32_e32 v5, v2
	s_set_vgpr_msb 1                        ;  msbs: dst=0 src0=1 src1=0 src2=0
	ds_store_b128 v26 /*v282*/, v[2:5]
	s_and_not1_saveexec_b32 s18, s18
	s_set_vgpr_msb 0                        ;  msbs: dst=0 src0=0 src1=0 src2=0
	s_cbranch_execz .LBB188_18
.LBB188_140:                            ;   in Loop: Header=BB188_4 Depth=1
	v_add_nc_u64_e32 v[4:5], s[54:55], v[8:9]
	flat_load_b128 v[10:13], v[4:5]
	s_wait_loadcnt_dscnt 0x0
	s_set_vgpr_msb 1                        ;  msbs: dst=0 src0=1 src1=0 src2=0
	ds_store_2addr_b64 v26 /*v282*/, v[10:11], v[12:13] offset1:1
	s_wait_xcnt 0x0
	s_or_b32 exec_lo, exec_lo, s18
	s_and_saveexec_b32 s18, s4
	s_delay_alu instid0(SALU_CYCLE_1)
	s_xor_b32 s18, exec_lo, s18
	s_set_vgpr_msb 0                        ;  msbs: dst=0 src0=0 src1=0 src2=0
	s_cbranch_execz .LBB188_19
.LBB188_141:                            ;   in Loop: Header=BB188_4 Depth=1
	v_dual_mov_b32 v3, v2 :: v_dual_mov_b32 v4, v2
	v_mov_b32_e32 v5, v2
	s_set_vgpr_msb 1                        ;  msbs: dst=0 src0=1 src1=0 src2=0
	ds_store_b128 v27 /*v283*/, v[2:5]
	s_and_not1_saveexec_b32 s18, s18
	s_set_vgpr_msb 0                        ;  msbs: dst=0 src0=0 src1=0 src2=0
	s_cbranch_execz .LBB188_20
.LBB188_142:                            ;   in Loop: Header=BB188_4 Depth=1
	v_add_nc_u64_e32 v[4:5], s[56:57], v[8:9]
	flat_load_b128 v[10:13], v[4:5]
	s_wait_loadcnt_dscnt 0x0
	s_set_vgpr_msb 1                        ;  msbs: dst=0 src0=1 src1=0 src2=0
	ds_store_2addr_b64 v27 /*v283*/, v[10:11], v[12:13] offset1:1
	s_wait_xcnt 0x0
	s_or_b32 exec_lo, exec_lo, s18
	s_and_saveexec_b32 s18, s5
	s_delay_alu instid0(SALU_CYCLE_1)
	s_xor_b32 s18, exec_lo, s18
	s_set_vgpr_msb 0                        ;  msbs: dst=0 src0=0 src1=0 src2=0
	s_cbranch_execz .LBB188_21
.LBB188_143:                            ;   in Loop: Header=BB188_4 Depth=1
	v_dual_mov_b32 v3, v2 :: v_dual_mov_b32 v4, v2
	v_mov_b32_e32 v5, v2
	s_set_vgpr_msb 1                        ;  msbs: dst=0 src0=1 src1=0 src2=0
	ds_store_b128 v28 /*v284*/, v[2:5]
	s_and_not1_saveexec_b32 s18, s18
	s_set_vgpr_msb 0                        ;  msbs: dst=0 src0=0 src1=0 src2=0
	s_cbranch_execnz .LBB188_22
	s_branch .LBB188_23
.LBB188_144:                            ;   in Loop: Header=BB188_4 Depth=1
	flat_load_b128 v[16:19], v[10:11]
	s_wait_loadcnt_dscnt 0x0
	s_set_vgpr_msb 1                        ;  msbs: dst=0 src0=1 src1=0 src2=0
	ds_store_2addr_b64 v7 /*v263*/, v[16:17], v[18:19] offset1:1
	s_wait_xcnt 0x0
	s_or_b32 exec_lo, exec_lo, s18
	s_and_saveexec_b32 s18, s11
	s_delay_alu instid0(SALU_CYCLE_1)
	s_xor_b32 s18, exec_lo, s18
	s_set_vgpr_msb 0                        ;  msbs: dst=0 src0=0 src1=0 src2=0
	s_cbranch_execz .LBB188_38
.LBB188_145:                            ;   in Loop: Header=BB188_4 Depth=1
	v_dual_mov_b32 v3, v2 :: v_dual_mov_b32 v4, v2
	v_mov_b32_e32 v5, v2
	s_set_vgpr_msb 1                        ;  msbs: dst=0 src0=1 src1=0 src2=0
	ds_store_b128 v26 /*v282*/, v[2:5]
	s_and_not1_saveexec_b32 s18, s18
	s_set_vgpr_msb 0                        ;  msbs: dst=0 src0=0 src1=0 src2=0
	s_cbranch_execz .LBB188_39
.LBB188_146:                            ;   in Loop: Header=BB188_4 Depth=1
	v_add_nc_u64_e32 v[4:5], s[54:55], v[10:11]
	flat_load_b128 v[16:19], v[4:5]
	s_wait_loadcnt_dscnt 0x0
	s_set_vgpr_msb 1                        ;  msbs: dst=0 src0=1 src1=0 src2=0
	ds_store_2addr_b64 v26 /*v282*/, v[16:17], v[18:19] offset1:1
	s_wait_xcnt 0x0
	s_or_b32 exec_lo, exec_lo, s18
	s_and_saveexec_b32 s18, s12
	s_delay_alu instid0(SALU_CYCLE_1)
	s_xor_b32 s18, exec_lo, s18
	s_set_vgpr_msb 0                        ;  msbs: dst=0 src0=0 src1=0 src2=0
	s_cbranch_execz .LBB188_40
.LBB188_147:                            ;   in Loop: Header=BB188_4 Depth=1
	v_dual_mov_b32 v3, v2 :: v_dual_mov_b32 v4, v2
	v_mov_b32_e32 v5, v2
	s_set_vgpr_msb 1                        ;  msbs: dst=0 src0=1 src1=0 src2=0
	ds_store_b128 v27 /*v283*/, v[2:5]
	s_and_not1_saveexec_b32 s18, s18
	s_set_vgpr_msb 0                        ;  msbs: dst=0 src0=0 src1=0 src2=0
	s_cbranch_execz .LBB188_41
.LBB188_148:                            ;   in Loop: Header=BB188_4 Depth=1
	v_add_nc_u64_e32 v[4:5], s[56:57], v[10:11]
	flat_load_b128 v[16:19], v[4:5]
	s_wait_loadcnt_dscnt 0x0
	s_set_vgpr_msb 1                        ;  msbs: dst=0 src0=1 src1=0 src2=0
	ds_store_2addr_b64 v27 /*v283*/, v[16:17], v[18:19] offset1:1
	s_wait_xcnt 0x0
	s_or_b32 exec_lo, exec_lo, s18
	s_and_saveexec_b32 s18, s13
	s_delay_alu instid0(SALU_CYCLE_1)
	s_xor_b32 s18, exec_lo, s18
	s_set_vgpr_msb 0                        ;  msbs: dst=0 src0=0 src1=0 src2=0
	s_cbranch_execz .LBB188_42
.LBB188_149:                            ;   in Loop: Header=BB188_4 Depth=1
	v_dual_mov_b32 v3, v2 :: v_dual_mov_b32 v4, v2
	v_mov_b32_e32 v5, v2
	s_set_vgpr_msb 1                        ;  msbs: dst=0 src0=1 src1=0 src2=0
	ds_store_b128 v28 /*v284*/, v[2:5]
	s_and_not1_saveexec_b32 s18, s18
	s_set_vgpr_msb 0                        ;  msbs: dst=0 src0=0 src1=0 src2=0
	s_cbranch_execnz .LBB188_43
	s_branch .LBB188_44
.LBB188_150:                            ;   in Loop: Header=BB188_4 Depth=1
	flat_load_b128 v[16:19], v[14:15]
	s_wait_loadcnt_dscnt 0x0
	s_set_vgpr_msb 1                        ;  msbs: dst=0 src0=1 src1=0 src2=0
	ds_store_2addr_b64 v7 /*v263*/, v[16:17], v[18:19] offset1:1
	s_wait_xcnt 0x0
	s_or_b32 exec_lo, exec_lo, s18
	s_and_saveexec_b32 s18, s11
	s_delay_alu instid0(SALU_CYCLE_1)
	s_xor_b32 s18, exec_lo, s18
	s_set_vgpr_msb 0                        ;  msbs: dst=0 src0=0 src1=0 src2=0
	s_cbranch_execz .LBB188_59
.LBB188_151:                            ;   in Loop: Header=BB188_4 Depth=1
	v_dual_mov_b32 v3, v2 :: v_dual_mov_b32 v4, v2
	v_mov_b32_e32 v5, v2
	s_set_vgpr_msb 1                        ;  msbs: dst=0 src0=1 src1=0 src2=0
	ds_store_b128 v26 /*v282*/, v[2:5]
	s_and_not1_saveexec_b32 s18, s18
	s_set_vgpr_msb 0                        ;  msbs: dst=0 src0=0 src1=0 src2=0
	s_cbranch_execz .LBB188_60
.LBB188_152:                            ;   in Loop: Header=BB188_4 Depth=1
	v_add_nc_u64_e32 v[4:5], s[54:55], v[14:15]
	flat_load_b128 v[16:19], v[4:5]
	s_wait_loadcnt_dscnt 0x0
	s_set_vgpr_msb 1                        ;  msbs: dst=0 src0=1 src1=0 src2=0
	ds_store_2addr_b64 v26 /*v282*/, v[16:17], v[18:19] offset1:1
	s_wait_xcnt 0x0
	s_or_b32 exec_lo, exec_lo, s18
	s_and_saveexec_b32 s18, s12
	s_delay_alu instid0(SALU_CYCLE_1)
	s_xor_b32 s18, exec_lo, s18
	s_set_vgpr_msb 0                        ;  msbs: dst=0 src0=0 src1=0 src2=0
	s_cbranch_execz .LBB188_61
.LBB188_153:                            ;   in Loop: Header=BB188_4 Depth=1
	v_dual_mov_b32 v3, v2 :: v_dual_mov_b32 v4, v2
	v_mov_b32_e32 v5, v2
	s_set_vgpr_msb 1                        ;  msbs: dst=0 src0=1 src1=0 src2=0
	ds_store_b128 v27 /*v283*/, v[2:5]
	s_and_not1_saveexec_b32 s18, s18
	s_set_vgpr_msb 0                        ;  msbs: dst=0 src0=0 src1=0 src2=0
	s_cbranch_execz .LBB188_62
.LBB188_154:                            ;   in Loop: Header=BB188_4 Depth=1
	v_add_nc_u64_e32 v[4:5], s[56:57], v[14:15]
	flat_load_b128 v[16:19], v[4:5]
	s_wait_loadcnt_dscnt 0x0
	s_set_vgpr_msb 1                        ;  msbs: dst=0 src0=1 src1=0 src2=0
	ds_store_2addr_b64 v27 /*v283*/, v[16:17], v[18:19] offset1:1
	s_wait_xcnt 0x0
	s_or_b32 exec_lo, exec_lo, s18
	s_and_saveexec_b32 s18, s13
	s_delay_alu instid0(SALU_CYCLE_1)
	s_xor_b32 s18, exec_lo, s18
	s_set_vgpr_msb 0                        ;  msbs: dst=0 src0=0 src1=0 src2=0
	s_cbranch_execz .LBB188_63
.LBB188_155:                            ;   in Loop: Header=BB188_4 Depth=1
	v_dual_mov_b32 v3, v2 :: v_dual_mov_b32 v4, v2
	v_mov_b32_e32 v5, v2
	s_set_vgpr_msb 1                        ;  msbs: dst=0 src0=1 src1=0 src2=0
	ds_store_b128 v28 /*v284*/, v[2:5]
	s_and_not1_saveexec_b32 s18, s18
	s_set_vgpr_msb 0                        ;  msbs: dst=0 src0=0 src1=0 src2=0
	s_cbranch_execnz .LBB188_64
	s_branch .LBB188_65
.LBB188_156:
	s_sendmsg sendmsg(MSG_DEALLOC_VGPRS)
	s_endpgm
	.section	.rodata,"a",@progbits
	.p2align	6, 0x0
	.amdhsa_kernel _ZL26rocblas_hemvn_kernel_upperILb0ELi64ELi4ELi33ELi32ELi16ElPK19rocblas_complex_numIdEPKS3_PS1_EviT6_lT7_lT5_lS8_lS9_lS7_lT8_i
		.amdhsa_group_segment_fixed_size 19200
		.amdhsa_private_segment_fixed_size 0
		.amdhsa_kernarg_size 376
		.amdhsa_user_sgpr_count 2
		.amdhsa_user_sgpr_dispatch_ptr 0
		.amdhsa_user_sgpr_queue_ptr 0
		.amdhsa_user_sgpr_kernarg_segment_ptr 1
		.amdhsa_user_sgpr_dispatch_id 0
		.amdhsa_user_sgpr_kernarg_preload_length 0
		.amdhsa_user_sgpr_kernarg_preload_offset 0
		.amdhsa_user_sgpr_private_segment_size 0
		.amdhsa_wavefront_size32 1
		.amdhsa_uses_dynamic_stack 0
		.amdhsa_enable_private_segment 0
		.amdhsa_system_sgpr_workgroup_id_x 1
		.amdhsa_system_sgpr_workgroup_id_y 0
		.amdhsa_system_sgpr_workgroup_id_z 1
		.amdhsa_system_sgpr_workgroup_info 0
		.amdhsa_system_vgpr_workitem_id 1
		.amdhsa_next_free_vgpr 326
		.amdhsa_next_free_sgpr 86
		.amdhsa_named_barrier_count 0
		.amdhsa_reserve_vcc 1
		.amdhsa_float_round_mode_32 0
		.amdhsa_float_round_mode_16_64 0
		.amdhsa_float_denorm_mode_32 3
		.amdhsa_float_denorm_mode_16_64 3
		.amdhsa_fp16_overflow 0
		.amdhsa_memory_ordered 1
		.amdhsa_forward_progress 1
		.amdhsa_inst_pref_size 82
		.amdhsa_round_robin_scheduling 0
		.amdhsa_exception_fp_ieee_invalid_op 0
		.amdhsa_exception_fp_denorm_src 0
		.amdhsa_exception_fp_ieee_div_zero 0
		.amdhsa_exception_fp_ieee_overflow 0
		.amdhsa_exception_fp_ieee_underflow 0
		.amdhsa_exception_fp_ieee_inexact 0
		.amdhsa_exception_int_div_zero 0
	.end_amdhsa_kernel
	.section	.text._ZL26rocblas_hemvn_kernel_upperILb0ELi64ELi4ELi33ELi32ELi16ElPK19rocblas_complex_numIdEPKS3_PS1_EviT6_lT7_lT5_lS8_lS9_lS7_lT8_i,"axG",@progbits,_ZL26rocblas_hemvn_kernel_upperILb0ELi64ELi4ELi33ELi32ELi16ElPK19rocblas_complex_numIdEPKS3_PS1_EviT6_lT7_lT5_lS8_lS9_lS7_lT8_i,comdat
.Lfunc_end188:
	.size	_ZL26rocblas_hemvn_kernel_upperILb0ELi64ELi4ELi33ELi32ELi16ElPK19rocblas_complex_numIdEPKS3_PS1_EviT6_lT7_lT5_lS8_lS9_lS7_lT8_i, .Lfunc_end188-_ZL26rocblas_hemvn_kernel_upperILb0ELi64ELi4ELi33ELi32ELi16ElPK19rocblas_complex_numIdEPKS3_PS1_EviT6_lT7_lT5_lS8_lS9_lS7_lT8_i
                                        ; -- End function
	.set _ZL26rocblas_hemvn_kernel_upperILb0ELi64ELi4ELi33ELi32ELi16ElPK19rocblas_complex_numIdEPKS3_PS1_EviT6_lT7_lT5_lS8_lS9_lS7_lT8_i.num_vgpr, 326
	.set _ZL26rocblas_hemvn_kernel_upperILb0ELi64ELi4ELi33ELi32ELi16ElPK19rocblas_complex_numIdEPKS3_PS1_EviT6_lT7_lT5_lS8_lS9_lS7_lT8_i.num_agpr, 0
	.set _ZL26rocblas_hemvn_kernel_upperILb0ELi64ELi4ELi33ELi32ELi16ElPK19rocblas_complex_numIdEPKS3_PS1_EviT6_lT7_lT5_lS8_lS9_lS7_lT8_i.numbered_sgpr, 86
	.set _ZL26rocblas_hemvn_kernel_upperILb0ELi64ELi4ELi33ELi32ELi16ElPK19rocblas_complex_numIdEPKS3_PS1_EviT6_lT7_lT5_lS8_lS9_lS7_lT8_i.num_named_barrier, 0
	.set _ZL26rocblas_hemvn_kernel_upperILb0ELi64ELi4ELi33ELi32ELi16ElPK19rocblas_complex_numIdEPKS3_PS1_EviT6_lT7_lT5_lS8_lS9_lS7_lT8_i.private_seg_size, 0
	.set _ZL26rocblas_hemvn_kernel_upperILb0ELi64ELi4ELi33ELi32ELi16ElPK19rocblas_complex_numIdEPKS3_PS1_EviT6_lT7_lT5_lS8_lS9_lS7_lT8_i.uses_vcc, 1
	.set _ZL26rocblas_hemvn_kernel_upperILb0ELi64ELi4ELi33ELi32ELi16ElPK19rocblas_complex_numIdEPKS3_PS1_EviT6_lT7_lT5_lS8_lS9_lS7_lT8_i.uses_flat_scratch, 0
	.set _ZL26rocblas_hemvn_kernel_upperILb0ELi64ELi4ELi33ELi32ELi16ElPK19rocblas_complex_numIdEPKS3_PS1_EviT6_lT7_lT5_lS8_lS9_lS7_lT8_i.has_dyn_sized_stack, 0
	.set _ZL26rocblas_hemvn_kernel_upperILb0ELi64ELi4ELi33ELi32ELi16ElPK19rocblas_complex_numIdEPKS3_PS1_EviT6_lT7_lT5_lS8_lS9_lS7_lT8_i.has_recursion, 0
	.set _ZL26rocblas_hemvn_kernel_upperILb0ELi64ELi4ELi33ELi32ELi16ElPK19rocblas_complex_numIdEPKS3_PS1_EviT6_lT7_lT5_lS8_lS9_lS7_lT8_i.has_indirect_call, 0
	.section	.AMDGPU.csdata,"",@progbits
; Kernel info:
; codeLenInByte = 10372
; TotalNumSgprs: 88
; NumVgprs: 326
; ScratchSize: 0
; MemoryBound: 1
; FloatMode: 240
; IeeeMode: 1
; LDSByteSize: 19200 bytes/workgroup (compile time only)
; SGPRBlocks: 0
; VGPRBlocks: 20
; NumSGPRsForWavesPerEU: 88
; NumVGPRsForWavesPerEU: 326
; NamedBarCnt: 0
; Occupancy: 3
; WaveLimiterHint : 0
; COMPUTE_PGM_RSRC2:SCRATCH_EN: 0
; COMPUTE_PGM_RSRC2:USER_SGPR: 2
; COMPUTE_PGM_RSRC2:TRAP_HANDLER: 0
; COMPUTE_PGM_RSRC2:TGID_X_EN: 1
; COMPUTE_PGM_RSRC2:TGID_Y_EN: 0
; COMPUTE_PGM_RSRC2:TGID_Z_EN: 1
; COMPUTE_PGM_RSRC2:TIDIG_COMP_CNT: 1
	.section	.text._ZL26rocblas_hemvn_kernel_upperILb0ELi64ELi4ELi33ELi32ELi16EiPK19rocblas_complex_numIdEPKS3_PS1_EviT6_lT7_lT5_lS8_lS9_lS7_lT8_i,"axG",@progbits,_ZL26rocblas_hemvn_kernel_upperILb0ELi64ELi4ELi33ELi32ELi16EiPK19rocblas_complex_numIdEPKS3_PS1_EviT6_lT7_lT5_lS8_lS9_lS7_lT8_i,comdat
	.globl	_ZL26rocblas_hemvn_kernel_upperILb0ELi64ELi4ELi33ELi32ELi16EiPK19rocblas_complex_numIdEPKS3_PS1_EviT6_lT7_lT5_lS8_lS9_lS7_lT8_i ; -- Begin function _ZL26rocblas_hemvn_kernel_upperILb0ELi64ELi4ELi33ELi32ELi16EiPK19rocblas_complex_numIdEPKS3_PS1_EviT6_lT7_lT5_lS8_lS9_lS7_lT8_i
	.p2align	8
	.type	_ZL26rocblas_hemvn_kernel_upperILb0ELi64ELi4ELi33ELi32ELi16EiPK19rocblas_complex_numIdEPKS3_PS1_EviT6_lT7_lT5_lS8_lS9_lS7_lT8_i,@function
_ZL26rocblas_hemvn_kernel_upperILb0ELi64ELi4ELi33ELi32ELi16EiPK19rocblas_complex_numIdEPKS3_PS1_EviT6_lT7_lT5_lS8_lS9_lS7_lT8_i: ; @_ZL26rocblas_hemvn_kernel_upperILb0ELi64ELi4ELi33ELi32ELi16EiPK19rocblas_complex_numIdEPKS3_PS1_EviT6_lT7_lT5_lS8_lS9_lS7_lT8_i
; %bb.0:
	s_clause 0x1
	s_load_b64 s[2:3], s[0:1], 0x84
	s_load_b32 s33, s[0:1], 0x70
	s_bfe_u32 s4, ttmp6, 0x40014
	s_lshr_b32 s5, ttmp7, 16
	s_add_co_i32 s4, s4, 1
	s_bfe_u32 s6, ttmp6, 0x40008
	s_mul_i32 s7, s5, s4
	s_getreg_b32 s4, hwreg(HW_REG_IB_STS2, 6, 4)
	s_add_co_i32 s6, s6, s7
	s_mov_b32 s35, 0
	s_wait_kmcnt 0x0
	s_lshr_b32 s7, s2, 16
	s_and_b32 s2, s2, 0xffff
	s_and_b32 s3, s3, 0xffff
	s_mul_i32 s2, s7, s2
	s_cmp_eq_u32 s4, 0
	s_mul_i32 s2, s2, s3
	s_cselect_b32 s34, s5, s6
	s_cmp_lg_u32 s2, 0x100
	s_cselect_b32 s2, -1, 0
	s_cmp_ge_u32 s34, s33
	s_cselect_b32 s3, -1, 0
	s_delay_alu instid0(SALU_CYCLE_1) | instskip(NEXT) | instid1(SALU_CYCLE_1)
	s_or_b32 s2, s2, s3
	s_and_b32 vcc_lo, exec_lo, s2
	s_cbranch_vccnz .LBB189_156
; %bb.1:
	s_clause 0x1
	s_load_b32 s2, s[0:1], 0x0
	s_load_b32 s66, s[0:1], 0x28
	s_bfe_u32 s5, ttmp6, 0x4000c
	s_add_nc_u64 s[6:7], s[0:1], 0x78
	v_bfe_u32 v3, v0, 10, 10
	s_add_co_i32 s5, s5, 1
	s_load_b32 s40, s[6:7], 0x0
	s_clause 0x3
	s_load_b256 s[20:27], s[0:1], 0x8
	s_load_b128 s[28:31], s[0:1], 0x38
	s_load_b32 s68, s[0:1], 0x48
	s_load_b64 s[8:9], s[0:1], 0x68
	s_and_b32 s3, ttmp6, 15
	s_mul_i32 s5, ttmp9, s5
	s_set_vgpr_msb 64                       ;  msbs: dst=1 src0=0 src1=0 src2=0
	v_and_b32_e32 v6 /*v262*/, 0x3ff, v0
	s_set_vgpr_msb 0                        ;  msbs: dst=0 src0=0 src1=0 src2=0
	v_dual_lshlrev_b32 v1, 6, v3 :: v_dual_bitop2_b32 v4, 31, v0 bitop3:0x40
	s_add_co_i32 s5, s3, s5
	s_load_b128 s[36:39], s[0:1], 0x58
	s_mov_b32 s41, s35
	s_delay_alu instid0(VALU_DEP_1)
	v_mul_u32_u24_e32 v15, 33, v4
	s_set_vgpr_msb 64                       ;  msbs: dst=1 src0=0 src1=0 src2=0
	v_add_nc_u32_e32 v18 /*v274*/, 0x4300, v1
	s_wait_xcnt 0x0
	v_cmp_eq_u32_e64 s0, 0, v3
	s_set_vgpr_msb 0                        ;  msbs: dst=0 src0=0 src1=0 src2=0
	v_dual_mov_b32 v2, 0 :: v_dual_lshlrev_b32 v6, 4, v4
	s_wait_kmcnt 0x0
	s_ashr_i32 s3, s2, 31
	s_ashr_i32 s67, s66, 31
	s_cmp_eq_u32 s4, 0
	s_mul_u64 s[46:47], s[40:41], s[2:3]
	s_cselect_b32 s42, ttmp9, s5
	s_lshr_b32 s4, s3, 26
	s_lshl_b32 s18, s42, 6
	s_set_vgpr_msb 4                        ;  msbs: dst=0 src0=0 src1=1 src2=0
	v_dual_add_nc_u32 v8, v1, v6 /*v262*/ :: v_dual_add_nc_u32 v170, s18, v6 /*v262*/
	s_add_co_i32 s4, s2, s4
	s_add_co_i32 s5, s40, -1
	s_and_not1_b32 s4, s4, 63
	s_set_vgpr_msb 0                        ;  msbs: dst=0 src0=0 src1=0 src2=0
	v_lshrrev_b32_e32 v7, 5, v8
	s_sub_co_i32 s76, s2, s4
	s_cmp_eq_u32 s42, s5
	v_mul_lo_u32 v172, s68, v170
	s_delay_alu instid0(VALU_DEP_2)
	v_dual_mov_b32 v5, v2 :: v_dual_add_nc_u32 v11, 24, v7
	v_lshlrev_b32_e32 v12, 2, v7
	v_lshl_or_b32 v13, v4, 9, v6
	v_lshlrev_b32_e32 v14, 6, v7
	s_cselect_b32 s44, s76, 0
	v_dual_add_nc_u32 v9, 8, v7 :: v_dual_add_nc_u32 v10, 16, v7
	s_cmp_lg_u32 s44, 0
	s_set_vgpr_msb 64                       ;  msbs: dst=1 src0=0 src1=0 src2=0
	v_dual_add_nc_u32 v9 /*v265*/, v13, v14 :: v_dual_lshlrev_b32 v11 /*v267*/, 4, v15
	s_set_vgpr_msb 0                        ;  msbs: dst=0 src0=0 src1=0 src2=0
	v_or_b32_e32 v13, 1, v12
	v_dual_lshlrev_b32 v17, 4, v7 :: v_dual_bitop2_b32 v16, 2, v12 bitop3:0x54
	s_cselect_b32 s77, -1, 0
	s_cmp_eq_u32 s44, 0
	s_set_vgpr_msb 0x41                     ;  msbs: dst=1 src0=1 src1=0 src2=0
	v_mad_u32_u24 v8 /*v264*/, 0x210, v7, v6
	s_cselect_b32 s1, -1, 0
	s_ashr_i32 s43, s42, 31
	s_sub_co_i32 s15, s44, 32
	s_mul_u64 s[4:5], s[2:3], s[42:43]
	v_cmp_le_i32_e64 s3, s44, v9
	v_mad_u32_u24 v10 /*v266*/, 0x840, v7, v6
	v_mad_u32_u24 v12 /*v268*/, 0x210, v13, v6
	v_dual_add_nc_u32 v14 /*v270*/, v11 /*v267*/, v17 :: v_dual_lshlrev_b32 v15 /*v271*/, 2, v3
	v_cmp_le_i32_e64 s13, s15, v9
	s_set_vgpr_msb 0                        ;  msbs: dst=0 src0=0 src1=0 src2=0
	v_dual_lshrrev_b32 v9, 4, v8 :: v_dual_ashrrev_i32 v171, 31, v170
	v_or_b32_e32 v6, 32, v4
	s_lshl_b64 s[4:5], s[4:5], 4
	v_cmp_le_i32_e64 s12, s15, v7
	s_add_nc_u64 s[48:49], s[8:9], s[4:5]
	v_cmp_le_i32_e64 s5, s44, v11
	v_cmp_le_i32_e64 s14, s15, v10
	;; [unrolled: 1-line block ×3, first 2 shown]
	v_lshlrev_b32_e32 v11, 6, v9
	v_cmp_gt_i32_e64 s11, s44, v6
	s_set_vgpr_msb 20                       ;  msbs: dst=0 src0=0 src1=1 src2=1
	v_mad_u32 v6, s66, v15 /*v271*/, v6 /*v262*/
	s_set_vgpr_msb 0                        ;  msbs: dst=0 src0=0 src1=0 src2=0
	v_cmp_gt_u32_e64 s6, v12, v4
	v_cmp_ge_u32_e64 s7, v12, v4
	v_or_b32_e32 v12, 3, v12
	v_mad_u32 v174, s66, v7, v4
	v_cmp_le_i32_e64 s2, s44, v7
	v_cmp_le_i32_e64 s4, s44, v10
	v_cmp_eq_u32_e64 s16, 1, v7
	v_cmp_gt_u32_e64 s9, v12, v4
	v_mul_i32_i24_e32 v12, 0xffffffd0, v7
	v_dual_ashrrev_i32 v7, 31, v6 :: v_dual_bitop2_b32 v10, 15, v0 bitop3:0x40
	v_and_b32_e32 v0, 48, v0
	s_lshl_b32 s58, s66, 5
	s_set_vgpr_msb 0x44                     ;  msbs: dst=1 src0=0 src1=1 src2=0
	v_dual_lshlrev_b32 v7 /*v263*/, 4, v6 /*v262*/ :: v_dual_add_nc_u32 v30 /*v286*/, 16, v9 /*v265*/
	s_ashr_i32 s59, s58, 31
	s_set_vgpr_msb 64                       ;  msbs: dst=1 src0=0 src1=0 src2=0
	v_mad_u32_u24 v20 /*v276*/, 0x430, v10, v11
	s_set_vgpr_msb 0                        ;  msbs: dst=0 src0=0 src1=0 src2=0
	v_lshlrev_b32_e32 v11, 4, v0
	v_add_nc_u64_e32 v[0:1], s[58:59], v[6:7]
	v_mul_i32_i24_e32 v13, 0xffffffd0, v9
	s_set_vgpr_msb 4                        ;  msbs: dst=0 src0=0 src1=1 src2=0
	v_or_b32_e32 v9, 0xf0, v7 /*v263*/
	v_cmp_gt_i32_e32 vcc_lo, s44, v6 /*v262*/
	s_set_vgpr_msb 64                       ;  msbs: dst=1 src0=0 src1=0 src2=0
	v_cmp_gt_u32_e64 s10, 32, v8
	v_cmp_gt_u32_e64 s17, 64, v8
	s_mul_i32 s50, s66, s18
	v_mad_u32_u24 v22 /*v278*/, 0x430, v10, v9
	s_set_vgpr_msb 0                        ;  msbs: dst=0 src0=0 src1=0 src2=0
	v_lshlrev_b64_e32 v[8:9], 4, v[0:1]
	s_or_b32 s62, s1, vcc_lo
	s_lshl_b32 s52, s66, 3
	s_lshl_b32 s54, s66, 4
	s_mul_i32 s56, s66, 24
	s_mul_i32 s60, s68, s18
	s_add_co_i32 s69, s42, 1
	s_xor_b32 s78, s62, -1
	s_ashr_i32 s19, s18, 31
	s_ashr_i32 s51, s50, 31
	;; [unrolled: 1-line block ×7, first 2 shown]
	s_cmp_lt_u32 s69, s40
	s_mul_i32 s74, s66, 3
	s_cselect_b32 s41, -1, 0
	s_ashr_i32 s75, s74, 31
	v_mad_nc_i64_i32 v[0:1], s54, 48, v[8:9]
	v_lshlrev_b64_e32 v[6:7], 4, v[6:7]
	s_lshl_b32 s79, s68, 6
	s_lshl_b32 s70, s66, 1
	s_lshl_b64 s[64:65], s[66:67], 7
	s_lshl_b64 s[72:73], s[66:67], 4
	;; [unrolled: 1-line block ×4, first 2 shown]
	s_mul_i32 s66, s68, s69
	s_lshl_b64 s[68:69], s[74:75], 4
	s_mul_u64 s[74:75], s[54:55], 48
	s_add_nc_u64 s[86:87], s[82:83], s[84:85]
	s_add_nc_u64 s[74:75], s[74:75], s[82:83]
	s_lshl_b64 s[82:83], s[54:55], 4
	s_lshl_b64 s[92:93], s[54:55], 5
	v_dual_ashrrev_i32 v173, 31, v172 :: v_dual_ashrrev_i32 v175, 31, v174
	s_ashr_i32 s71, s70, 31
	s_add_nc_u64 s[94:95], s[86:87], s[82:83]
	s_add_nc_u64 s[96:97], s[92:93], s[84:85]
	s_lshl_b64 s[70:71], s[70:71], 4
	s_add_nc_u64 s[88:89], s[72:73], s[84:85]
	v_add_nc_u64_e32 v[188:189], s[94:95], v[6:7]
	s_add_nc_u64 s[94:95], s[96:97], s[68:69]
	v_add_nc_u64_e32 v[192:193], s[74:75], v[8:9]
	s_add_nc_u64 s[74:75], s[96:97], s[72:73]
	s_set_vgpr_msb 64                       ;  msbs: dst=1 src0=0 src1=0 src2=0
	v_mad_u32_u24 v21 /*v277*/, 0x430, v10, v11
	s_set_vgpr_msb 0                        ;  msbs: dst=0 src0=0 src1=0 src2=0
	v_lshlrev_b64_e32 v[10:11], 4, v[174:175]
	v_add_nc_u64_e32 v[186:187], s[84:85], v[6:7]
	s_add_nc_u64 s[90:91], s[84:85], s[70:71]
	s_add_nc_u64 s[98:99], s[84:85], s[68:69]
	v_add_nc_u64_e32 v[190:191], s[94:95], v[6:7]
	s_add_nc_u64 s[94:95], s[96:97], s[70:71]
	v_add_nc_u64_e32 v[198:199], s[74:75], v[6:7]
	s_add_nc_u64 s[74:75], s[88:89], s[82:83]
	s_add_nc_u64 s[82:83], s[84:85], s[82:83]
	;; [unrolled: 1-line block ×3, first 2 shown]
	v_add_nc_u64_e32 v[176:177], s[86:87], v[6:7]
	v_add_nc_u64_e32 v[178:179], s[68:69], v[0:1]
	;; [unrolled: 1-line block ×3, first 2 shown]
	v_or_b32_e32 v0, 8, v0
	v_add_nc_u64_e32 v[194:195], s[94:95], v[6:7]
	v_add_nc_u64_e32 v[196:197], s[96:97], v[6:7]
	;; [unrolled: 1-line block ×3, first 2 shown]
	s_set_vgpr_msb 0x41                     ;  msbs: dst=1 src0=1 src1=0 src2=0
	v_dual_add_nc_u32 v16 /*v272*/, v11 /*v267*/, v14 :: v_dual_add_nc_u32 v25 /*v281*/, v20 /*v276*/, v13
	s_add_nc_u64 s[70:71], s[82:83], s[70:71]
	s_add_nc_u64 s[68:69], s[82:83], s[68:69]
	s_set_vgpr_msb 0                        ;  msbs: dst=0 src0=0 src1=0 src2=0
	v_sub_nc_u64_e32 v[180:181], 0, v[10:11]
	v_add_nc_u64_e32 v[184:185], s[88:89], v[6:7]
	v_add_nc_u64_e32 v[202:203], s[90:91], v[6:7]
	;; [unrolled: 1-line block ×7, first 2 shown]
	v_sub_nc_u64_e32 v[214:215], 0, v[4:5]
	v_add_nc_u64_e32 v[218:219], s[72:73], v[0:1]
	v_cmp_gt_i32_e64 s1, s44, v4
	v_cmp_gt_u32_e64 s8, v16, v4
	s_set_vgpr_msb 0x50                     ;  msbs: dst=1 src0=0 src1=0 src2=1
	v_add_nc_u32_e32 v13 /*v269*/, 0x4700, v14
	v_add_nc_u32_e32 v17 /*v273*/, 0x4700, v17
	v_mad_u32_u24 v19 /*v275*/, 0x10c0, v3, v7 /*v263*/
	v_mad_u32_u24 v23 /*v279*/, 0x430, v3, v7 /*v263*/
	s_set_vgpr_msb 0                        ;  msbs: dst=0 src0=0 src1=0 src2=0
	v_or_b32_e32 v176, 8, v176
	v_dual_lshlrev_b32 v216, 4, v4 :: v_dual_bitop2_b32 v178, 8, v178 bitop3:0x54
	v_or_b32_e32 v182, 8, v182
	v_or_b32_e32 v188, 8, v188
	v_or_b32_e32 v190, 8, v190
	v_or_b32_e32 v194, 8, v194
	v_or_b32_e32 v196, 8, v196
	v_or_b32_e32 v198, 8, v198
	v_or_b32_e32 v200, 8, v200
	s_set_vgpr_msb 0x41                     ;  msbs: dst=1 src0=1 src1=0 src2=0
	v_dual_add_nc_u32 v24 /*v280*/, v16 /*v272*/, v12 :: v_dual_add_nc_u32 v54 /*v310*/, 64, v170
	s_set_vgpr_msb 0x44                     ;  msbs: dst=1 src0=0 src1=1 src2=0
	v_add_nc_u32_e32 v26 /*v282*/, 0x4700, v7 /*v263*/
	v_add_nc_u32_e32 v27 /*v283*/, 0x1080, v8 /*v264*/
	;; [unrolled: 1-line block ×4, first 2 shown]
	v_dual_add_nc_u32 v31 /*v287*/, 32, v9 /*v265*/ :: v_dual_add_nc_u32 v33 /*v289*/, 48, v9 /*v265*/
	v_add_nc_u32_e32 v32 /*v288*/, 0x210, v12 /*v268*/
	v_add_nc_u32_e32 v34 /*v290*/, 0x420, v12 /*v268*/
	v_dual_add_nc_u32 v35 /*v291*/, 16, v16 /*v272*/ :: v_dual_add_nc_u32 v36 /*v292*/, 32, v16 /*v272*/
	v_dual_add_nc_u32 v37 /*v293*/, 48, v16 /*v272*/ :: v_dual_bitop2_b32 v39 /*v295*/, 1, v15 /*v271*/ bitop3:0x54
	v_add_nc_u32_e32 v38 /*v294*/, 0x4300, v7 /*v263*/
	v_dual_add_nc_u32 v42 /*v298*/, 16, v15 /*v271*/ :: v_dual_bitop2_b32 v40 /*v296*/, 2, v15 /*v271*/ bitop3:0x54
	v_dual_add_nc_u32 v43 /*v299*/, 17, v15 /*v271*/ :: v_dual_bitop2_b32 v41 /*v297*/, 3, v15 /*v271*/ bitop3:0x54
	v_dual_add_nc_u32 v44 /*v300*/, 18, v15 /*v271*/ :: v_dual_add_nc_u32 v45 /*v301*/, 19, v15 /*v271*/
	v_dual_add_nc_u32 v46 /*v302*/, 32, v15 /*v271*/ :: v_dual_add_nc_u32 v47 /*v303*/, 33, v15 /*v271*/
	;; [unrolled: 1-line block ×5, first 2 shown]
	s_sub_nc_u64 s[60:61], 0, s[60:61]
	s_add_co_i32 s43, s40, -2
	s_and_b32 s80, s0, s62
	s_sub_nc_u64 s[62:63], 0, s[44:45]
	s_lshl_b32 s81, s66, 6
	s_lshl_b64 s[66:67], s[54:55], 6
	s_mov_b64 s[68:69], 0xfffffffffffffe00
	s_mov_b64 s[70:71], 0xfffffffffffffdf0
	s_lshl_b64 s[30:31], s[30:31], 4
	s_lshl_b64 s[26:27], s[26:27], 4
	s_lshl_b64 s[72:73], s[18:19], 4
	s_set_vgpr_msb 0                        ;  msbs: dst=0 src0=0 src1=0 src2=0
	s_branch .LBB189_4
.LBB189_2:                              ;   in Loop: Header=BB189_4 Depth=1
	s_wait_xcnt 0x0
	s_or_b32 exec_lo, exec_lo, s74
.LBB189_3:                              ;   in Loop: Header=BB189_4 Depth=1
	s_add_co_i32 s34, s34, 0x10000
	s_delay_alu instid0(SALU_CYCLE_1)
	s_cmp_lt_u32 s34, s33
	s_cbranch_scc0 .LBB189_156
.LBB189_4:                              ; =>This Loop Header: Depth=1
                                        ;     Child Loop BB189_78 Depth 2
	s_mul_u64 s[18:19], s[22:23], s[34:35]
	s_delay_alu instid0(SALU_CYCLE_1) | instskip(NEXT) | instid1(SALU_CYCLE_1)
	s_lshl_b64 s[18:19], s[18:19], 4
	s_add_nc_u64 s[18:19], s[20:21], s[18:19]
	global_load_b128 v[4:7], v2, s[18:19]
	s_wait_loadcnt 0x0
	v_cmp_neq_f64_e32 vcc_lo, 0, v[4:5]
	s_wait_xcnt 0x0
	v_cmp_neq_f64_e64 s18, 0, v[6:7]
	s_or_b32 s18, vcc_lo, s18
	s_delay_alu instid0(SALU_CYCLE_1)
	s_and_b32 vcc_lo, exec_lo, s18
	s_mov_b32 s18, -1
	s_cbranch_vccz .LBB189_6
; %bb.5:                                ;   in Loop: Header=BB189_4 Depth=1
	s_and_not1_b32 vcc_lo, exec_lo, s18
	s_cbranch_vccnz .LBB189_3
	s_branch .LBB189_7
.LBB189_6:                              ;   in Loop: Header=BB189_4 Depth=1
	s_mul_u64 s[18:19], s[38:39], s[34:35]
	s_delay_alu instid0(SALU_CYCLE_1) | instskip(NEXT) | instid1(SALU_CYCLE_1)
	s_lshl_b64 s[18:19], s[18:19], 4
	s_add_nc_u64 s[18:19], s[36:37], s[18:19]
	global_load_b128 v[4:7], v2, s[18:19]
	s_wait_loadcnt 0x0
	v_cmp_eq_f64_e32 vcc_lo, 1.0, v[4:5]
	s_wait_xcnt 0x0
	v_cmp_eq_f64_e64 s18, 0, v[6:7]
	s_and_b32 s18, vcc_lo, s18
	s_delay_alu instid0(SALU_CYCLE_1)
	s_and_not1_b32 vcc_lo, exec_lo, s18
	s_cbranch_execnz .LBB189_3
.LBB189_7:                              ;   in Loop: Header=BB189_4 Depth=1
	s_lshl_b64 s[18:19], s[34:35], 3
	s_delay_alu instid0(SALU_CYCLE_1)
	s_add_nc_u64 s[74:75], s[28:29], s[18:19]
	s_add_nc_u64 s[18:19], s[24:25], s[18:19]
	s_clause 0x1
	global_load_b64 v[4:5], v2, s[74:75]
	global_load_b64 v[6:7], v2, s[18:19]
	s_wait_loadcnt 0x1
	v_add_nc_u64_e32 v[4:5], s[30:31], v[4:5]
	s_delay_alu instid0(VALU_DEP_1)
	v_lshl_add_u64 v[42:43], v[172:173], 4, v[4:5]
	s_wait_xcnt 0x0
	s_and_saveexec_b32 s18, s0
	s_cbranch_execz .LBB189_12
; %bb.8:                                ;   in Loop: Header=BB189_4 Depth=1
	s_and_saveexec_b32 s19, s78
	s_delay_alu instid0(SALU_CYCLE_1)
	s_xor_b32 s19, exec_lo, s19
; %bb.9:                                ;   in Loop: Header=BB189_4 Depth=1
	v_dual_mov_b32 v3, v2 :: v_dual_mov_b32 v4, v2
	v_mov_b32_e32 v5, v2
	s_set_vgpr_msb 1                        ;  msbs: dst=0 src0=1 src1=0 src2=0
	ds_store_b128 v26 /*v282*/, v[2:5]
; %bb.10:                               ;   in Loop: Header=BB189_4 Depth=1
	s_and_not1_saveexec_b32 s19, s19
	s_set_vgpr_msb 0                        ;  msbs: dst=0 src0=0 src1=0 src2=0
	s_cbranch_execz .LBB189_12
; %bb.11:                               ;   in Loop: Header=BB189_4 Depth=1
	flat_load_b128 v[8:11], v[42:43]
	s_wait_loadcnt_dscnt 0x0
	s_set_vgpr_msb 1                        ;  msbs: dst=0 src0=1 src1=0 src2=0
	ds_store_2addr_b64 v26 /*v282*/, v[8:9], v[10:11] offset1:1
.LBB189_12:                             ;   in Loop: Header=BB189_4 Depth=1
	s_wait_xcnt 0x0
	s_or_b32 exec_lo, exec_lo, s18
	s_wait_loadcnt 0x0
	s_set_vgpr_msb 0                        ;  msbs: dst=0 src0=0 src1=0 src2=0
	v_add_nc_u64_e32 v[4:5], s[26:27], v[6:7]
	s_and_b32 vcc_lo, exec_lo, s77
	s_mov_b32 s18, -1
	s_delay_alu instid0(VALU_DEP_1) | instskip(NEXT) | instid1(VALU_DEP_1)
	v_add_nc_u64_e32 v[4:5], s[72:73], v[4:5]
	v_lshl_add_u64 v[4:5], v[174:175], 4, v[4:5]
	s_delay_alu instid0(VALU_DEP_1)
	v_lshl_add_u64 v[6:7], s[50:51], 4, v[4:5]
                                        ; implicit-def: $vgpr4_vgpr5
	s_cbranch_vccz .LBB189_24
; %bb.13:                               ;   in Loop: Header=BB189_4 Depth=1
	s_and_saveexec_b32 s18, s2
	s_delay_alu instid0(SALU_CYCLE_1)
	s_xor_b32 s18, exec_lo, s18
; %bb.14:                               ;   in Loop: Header=BB189_4 Depth=1
	v_dual_mov_b32 v3, v2 :: v_dual_mov_b32 v4, v2
	v_mov_b32_e32 v5, v2
	s_set_vgpr_msb 1                        ;  msbs: dst=0 src0=1 src1=0 src2=0
	ds_store_b128 v8 /*v264*/, v[2:5]
; %bb.15:                               ;   in Loop: Header=BB189_4 Depth=1
	s_or_saveexec_b32 s18, s18
	s_set_vgpr_msb 0                        ;  msbs: dst=0 src0=0 src1=0 src2=0
	v_lshl_add_u64 v[4:5], v[214:215], 4, v[6:7]
	s_delay_alu instid0(VALU_DEP_1) | instskip(NEXT) | instid1(VALU_DEP_1)
	v_lshl_add_u64 v[4:5], s[44:45], 4, v[4:5]
	v_add_nc_u64_e32 v[4:5], -16, v[4:5]
	s_delay_alu instid0(VALU_DEP_1)
	v_dual_cndmask_b32 v9, v5, v7, s1 :: v_dual_cndmask_b32 v8, v4, v6, s1
	s_xor_b32 exec_lo, exec_lo, s18
	s_cbranch_execnz .LBB189_138
; %bb.16:                               ;   in Loop: Header=BB189_4 Depth=1
	s_or_b32 exec_lo, exec_lo, s18
	s_and_saveexec_b32 s18, s3
	s_delay_alu instid0(SALU_CYCLE_1)
	s_xor_b32 s18, exec_lo, s18
	s_cbranch_execnz .LBB189_139
.LBB189_17:                             ;   in Loop: Header=BB189_4 Depth=1
	s_and_not1_saveexec_b32 s18, s18
	s_cbranch_execnz .LBB189_140
.LBB189_18:                             ;   in Loop: Header=BB189_4 Depth=1
	s_or_b32 exec_lo, exec_lo, s18
	s_and_saveexec_b32 s18, s4
	s_delay_alu instid0(SALU_CYCLE_1)
	s_xor_b32 s18, exec_lo, s18
	s_cbranch_execnz .LBB189_141
.LBB189_19:                             ;   in Loop: Header=BB189_4 Depth=1
	s_and_not1_saveexec_b32 s18, s18
	s_cbranch_execnz .LBB189_142
.LBB189_20:                             ;   in Loop: Header=BB189_4 Depth=1
	s_or_b32 exec_lo, exec_lo, s18
	s_and_saveexec_b32 s18, s5
	s_delay_alu instid0(SALU_CYCLE_1)
	s_xor_b32 s18, exec_lo, s18
	s_cbranch_execnz .LBB189_143
.LBB189_21:                             ;   in Loop: Header=BB189_4 Depth=1
	s_and_not1_saveexec_b32 s18, s18
	s_cbranch_execz .LBB189_23
.LBB189_22:                             ;   in Loop: Header=BB189_4 Depth=1
	v_lshl_add_u64 v[4:5], s[56:57], 4, v[8:9]
	flat_load_b128 v[10:13], v[4:5]
	s_wait_loadcnt_dscnt 0x0
	s_set_vgpr_msb 1                        ;  msbs: dst=0 src0=1 src1=0 src2=0
	ds_store_2addr_b64 v29 /*v285*/, v[10:11], v[12:13] offset1:1
.LBB189_23:                             ;   in Loop: Header=BB189_4 Depth=1
	s_wait_xcnt 0x0
	s_or_b32 exec_lo, exec_lo, s18
	s_set_vgpr_msb 0                        ;  msbs: dst=0 src0=0 src1=0 src2=0
	v_mov_b32_e32 v217, v2
	s_mov_b32 s18, 0
	s_delay_alu instid0(VALU_DEP_1) | instskip(NEXT) | instid1(VALU_DEP_1)
	v_add_nc_u64_e32 v[4:5], v[8:9], v[216:217]
	v_lshl_add_u64 v[4:5], s[62:63], 4, v[4:5]
	s_delay_alu instid0(VALU_DEP_1) | instskip(NEXT) | instid1(VALU_DEP_1)
	v_add_nc_u64_e32 v[4:5], 16, v[4:5]
	v_dual_cndmask_b32 v5, v5, v7, s1 :: v_dual_cndmask_b32 v4, v4, v6, s1
.LBB189_24:                             ;   in Loop: Header=BB189_4 Depth=1
	s_and_b32 vcc_lo, exec_lo, s18
	s_cbranch_vccz .LBB189_26
; %bb.25:                               ;   in Loop: Header=BB189_4 Depth=1
	flat_load_b128 v[8:11], v[6:7]
	v_lshl_add_u64 v[4:5], s[52:53], 4, v[6:7]
	s_wait_loadcnt_dscnt 0x0
	s_set_vgpr_msb 1                        ;  msbs: dst=0 src0=1 src1=0 src2=0
	ds_store_2addr_b64 v8 /*v264*/, v[8:9], v[10:11] offset1:1
	s_set_vgpr_msb 0                        ;  msbs: dst=0 src0=0 src1=0 src2=0
	flat_load_b128 v[8:11], v[4:5]
	s_wait_xcnt 0x0
	v_add_nc_u64_e32 v[4:5], s[64:65], v[4:5]
	s_wait_loadcnt_dscnt 0x0
	s_set_vgpr_msb 1                        ;  msbs: dst=0 src0=1 src1=0 src2=0
	ds_store_2addr_b64 v27 /*v283*/, v[8:9], v[10:11] offset1:1
	s_set_vgpr_msb 0                        ;  msbs: dst=0 src0=0 src1=0 src2=0
	flat_load_b128 v[8:11], v[4:5]
	s_wait_xcnt 0x0
	v_add_nc_u64_e32 v[4:5], s[64:65], v[4:5]
	s_wait_loadcnt_dscnt 0x0
	s_set_vgpr_msb 1                        ;  msbs: dst=0 src0=1 src1=0 src2=0
	ds_store_2addr_b64 v28 /*v284*/, v[8:9], v[10:11] offset1:1
	s_set_vgpr_msb 0                        ;  msbs: dst=0 src0=0 src1=0 src2=0
	flat_load_b128 v[8:11], v[4:5]
	s_wait_xcnt 0x0
	v_mov_b64_e32 v[4:5], v[6:7]
	s_wait_loadcnt_dscnt 0x0
	s_set_vgpr_msb 1                        ;  msbs: dst=0 src0=1 src1=0 src2=0
	ds_store_2addr_b64 v29 /*v285*/, v[8:9], v[10:11] offset1:1
.LBB189_26:                             ;   in Loop: Header=BB189_4 Depth=1
	s_wait_dscnt 0x0
	s_barrier_signal -1
	s_barrier_wait -1
	s_and_saveexec_b32 s18, s6
	s_set_vgpr_msb 0                        ;  msbs: dst=0 src0=0 src1=0 src2=0
	s_cbranch_execnz .LBB189_132
; %bb.27:                               ;   in Loop: Header=BB189_4 Depth=1
	s_or_b32 exec_lo, exec_lo, s18
	s_and_saveexec_b32 s18, s7
	s_cbranch_execnz .LBB189_133
.LBB189_28:                             ;   in Loop: Header=BB189_4 Depth=1
	s_or_b32 exec_lo, exec_lo, s18
	s_and_saveexec_b32 s18, s8
	s_cbranch_execnz .LBB189_134
.LBB189_29:                             ;   in Loop: Header=BB189_4 Depth=1
	s_or_b32 exec_lo, exec_lo, s18
	s_and_saveexec_b32 s18, s9
	s_cbranch_execz .LBB189_31
.LBB189_30:                             ;   in Loop: Header=BB189_4 Depth=1
	s_set_vgpr_msb 1                        ;  msbs: dst=0 src0=1 src1=0 src2=0
	ds_load_b128 v[6:9], v34 /*v290*/
	s_wait_dscnt 0x0
	ds_store_b128 v33 /*v289*/, v[6:9]
.LBB189_31:                             ;   in Loop: Header=BB189_4 Depth=1
	s_or_b32 exec_lo, exec_lo, s18
	s_wait_dscnt 0x0
	s_barrier_signal -1
	s_barrier_wait -1
	s_set_vgpr_msb 1                        ;  msbs: dst=0 src0=1 src1=0 src2=0
	ds_load_b128 v[6:9], v10 /*v266*/
	ds_load_b128 v[10:13], v13 /*v269*/
	ds_load_b128 v[14:17], v13 /*v269*/ offset:16
	ds_load_b128 v[18:21], v12 /*v268*/
	s_wait_dscnt 0x2
	s_set_vgpr_msb 0                        ;  msbs: dst=0 src0=0 src1=0 src2=0
	v_mul_f64_e32 v[22:23], v[12:13], v[8:9]
	v_mul_f64_e32 v[28:29], v[10:11], v[8:9]
	s_wait_dscnt 0x0
	v_mul_f64_e32 v[30:31], v[16:17], v[20:21]
	v_mul_f64_e32 v[32:33], v[14:15], v[20:21]
	s_delay_alu instid0(VALU_DEP_4) | instskip(NEXT) | instid1(VALU_DEP_4)
	v_fma_f64 v[34:35], v[10:11], v[6:7], -v[22:23]
	v_fmac_f64_e32 v[28:29], v[12:13], v[6:7]
	s_set_vgpr_msb 1                        ;  msbs: dst=0 src0=1 src1=0 src2=0
	ds_load_b128 v[6:9], v32 /*v288*/
	ds_load_b128 v[10:13], v13 /*v269*/ offset:32
	ds_load_b128 v[20:23], v13 /*v269*/ offset:48
	ds_load_b128 v[24:27], v34 /*v290*/
	s_set_vgpr_msb 0                        ;  msbs: dst=0 src0=0 src1=0 src2=0
	v_fma_f64 v[14:15], v[14:15], v[18:19], -v[30:31]
	v_fmac_f64_e32 v[32:33], v[16:17], v[18:19]
	s_wait_dscnt 0x0
	s_barrier_signal -1
	s_barrier_wait -1
	v_mul_f64_e32 v[36:37], v[12:13], v[8:9]
	v_mul_f64_e32 v[8:9], v[10:11], v[8:9]
	v_add_f64_e32 v[16:17], 0, v[34:35]
	v_add_f64_e32 v[18:19], 0, v[28:29]
	v_mul_f64_e32 v[28:29], v[22:23], v[26:27]
	v_mul_f64_e32 v[26:27], v[20:21], v[26:27]
	v_fma_f64 v[10:11], v[10:11], v[6:7], -v[36:37]
	v_fmac_f64_e32 v[8:9], v[12:13], v[6:7]
	v_add_f64_e32 v[6:7], v[16:17], v[14:15]
	v_add_f64_e32 v[12:13], v[18:19], v[32:33]
	v_fma_f64 v[14:15], v[20:21], v[24:25], -v[28:29]
	v_fmac_f64_e32 v[26:27], v[22:23], v[24:25]
	s_delay_alu instid0(VALU_DEP_4) | instskip(NEXT) | instid1(VALU_DEP_4)
	v_add_f64_e32 v[6:7], v[6:7], v[10:11]
	v_add_f64_e32 v[8:9], v[12:13], v[8:9]
	s_delay_alu instid0(VALU_DEP_2) | instskip(NEXT) | instid1(VALU_DEP_2)
	v_add_f64_e32 v[10:11], v[6:7], v[14:15]
	v_add_f64_e32 v[12:13], v[8:9], v[26:27]
	v_mov_b64_e32 v[6:7], 0
	v_mov_b64_e32 v[8:9], 0
	s_set_vgpr_msb 1                        ;  msbs: dst=0 src0=1 src1=0 src2=0
	ds_store_b128 v14 /*v270*/, v[10:13]
	s_wait_dscnt 0x0
	s_barrier_signal -1
	s_barrier_wait -1
	s_and_saveexec_b32 s18, s10
	s_set_vgpr_msb 0                        ;  msbs: dst=0 src0=0 src1=0 src2=0
	s_cbranch_execz .LBB189_33
; %bb.32:                               ;   in Loop: Header=BB189_4 Depth=1
	s_set_vgpr_msb 1                        ;  msbs: dst=0 src0=1 src1=0 src2=0
	ds_load_b128 v[6:9], v11 /*v267*/
	ds_load_b128 v[10:13], v11 /*v267*/ offset:16
	s_wait_dscnt 0x0
	s_set_vgpr_msb 0                        ;  msbs: dst=0 src0=0 src1=0 src2=0
	v_add_f64_e32 v[14:15], v[10:11], v[6:7]
	v_add_f64_e32 v[16:17], v[12:13], v[8:9]
	s_set_vgpr_msb 1                        ;  msbs: dst=0 src0=1 src1=0 src2=0
	ds_load_b128 v[6:9], v11 /*v267*/ offset:32
	ds_load_b128 v[10:13], v11 /*v267*/ offset:48
	s_wait_dscnt 0x1
	s_set_vgpr_msb 0                        ;  msbs: dst=0 src0=0 src1=0 src2=0
	v_add_f64_e32 v[6:7], v[14:15], v[6:7]
	v_add_f64_e32 v[8:9], v[16:17], v[8:9]
	s_wait_dscnt 0x0
	s_delay_alu instid0(VALU_DEP_2) | instskip(NEXT) | instid1(VALU_DEP_2)
	v_add_f64_e32 v[14:15], v[6:7], v[10:11]
	v_add_f64_e32 v[16:17], v[8:9], v[12:13]
	s_set_vgpr_msb 1                        ;  msbs: dst=0 src0=1 src1=0 src2=0
	ds_load_b128 v[6:9], v11 /*v267*/ offset:64
	ds_load_b128 v[10:13], v11 /*v267*/ offset:80
	s_wait_dscnt 0x1
	s_set_vgpr_msb 0                        ;  msbs: dst=0 src0=0 src1=0 src2=0
	v_add_f64_e32 v[6:7], v[14:15], v[6:7]
	v_add_f64_e32 v[8:9], v[16:17], v[8:9]
	s_wait_dscnt 0x0
	s_delay_alu instid0(VALU_DEP_2) | instskip(NEXT) | instid1(VALU_DEP_2)
	;; [unrolled: 11-line block ×3, first 2 shown]
	v_add_f64_e32 v[6:7], v[6:7], v[10:11]
	v_add_f64_e32 v[8:9], v[8:9], v[12:13]
.LBB189_33:                             ;   in Loop: Header=BB189_4 Depth=1
	s_or_b32 exec_lo, exec_lo, s18
	v_lshl_add_u64 v[14:15], s[58:59], 4, v[4:5]
	s_and_b32 vcc_lo, exec_lo, s77
	s_mov_b32 s18, -1
	s_barrier_signal -1
	s_delay_alu instid0(VALU_DEP_1)
	v_add_nc_u64_e32 v[12:13], 0x200, v[14:15]
	s_barrier_wait -1
                                        ; implicit-def: $vgpr10_vgpr11
	s_cbranch_vccz .LBB189_45
; %bb.34:                               ;   in Loop: Header=BB189_4 Depth=1
	s_and_saveexec_b32 s18, s12
	s_delay_alu instid0(SALU_CYCLE_1)
	s_xor_b32 s18, exec_lo, s18
; %bb.35:                               ;   in Loop: Header=BB189_4 Depth=1
	v_dual_mov_b32 v3, v2 :: v_dual_mov_b32 v4, v2
	v_mov_b32_e32 v5, v2
	s_set_vgpr_msb 1                        ;  msbs: dst=0 src0=1 src1=0 src2=0
	ds_store_b128 v8 /*v264*/, v[2:5]
; %bb.36:                               ;   in Loop: Header=BB189_4 Depth=1
	s_or_saveexec_b32 s18, s18
	s_set_vgpr_msb 0                        ;  msbs: dst=0 src0=0 src1=0 src2=0
	v_lshl_add_u64 v[4:5], v[214:215], 4, v[14:15]
	s_delay_alu instid0(VALU_DEP_1) | instskip(NEXT) | instid1(VALU_DEP_1)
	v_lshl_add_u64 v[4:5], s[44:45], 4, v[4:5]
	v_add_nc_u64_e32 v[4:5], -16, v[4:5]
	s_delay_alu instid0(VALU_DEP_1)
	v_dual_cndmask_b32 v11, v5, v13, s11 :: v_dual_cndmask_b32 v10, v4, v12, s11
	s_xor_b32 exec_lo, exec_lo, s18
	s_cbranch_execnz .LBB189_144
; %bb.37:                               ;   in Loop: Header=BB189_4 Depth=1
	s_or_b32 exec_lo, exec_lo, s18
	s_and_saveexec_b32 s18, s13
	s_delay_alu instid0(SALU_CYCLE_1)
	s_xor_b32 s18, exec_lo, s18
	s_cbranch_execnz .LBB189_145
.LBB189_38:                             ;   in Loop: Header=BB189_4 Depth=1
	s_and_not1_saveexec_b32 s18, s18
	s_cbranch_execnz .LBB189_146
.LBB189_39:                             ;   in Loop: Header=BB189_4 Depth=1
	s_or_b32 exec_lo, exec_lo, s18
	s_and_saveexec_b32 s18, s14
	s_delay_alu instid0(SALU_CYCLE_1)
	s_xor_b32 s18, exec_lo, s18
	s_cbranch_execnz .LBB189_147
.LBB189_40:                             ;   in Loop: Header=BB189_4 Depth=1
	s_and_not1_saveexec_b32 s18, s18
	s_cbranch_execnz .LBB189_148
.LBB189_41:                             ;   in Loop: Header=BB189_4 Depth=1
	s_or_b32 exec_lo, exec_lo, s18
	s_and_saveexec_b32 s18, s15
	s_delay_alu instid0(SALU_CYCLE_1)
	s_xor_b32 s18, exec_lo, s18
	s_cbranch_execnz .LBB189_149
.LBB189_42:                             ;   in Loop: Header=BB189_4 Depth=1
	s_and_not1_saveexec_b32 s18, s18
	s_cbranch_execz .LBB189_44
.LBB189_43:                             ;   in Loop: Header=BB189_4 Depth=1
	v_lshl_add_u64 v[4:5], s[56:57], 4, v[10:11]
	flat_load_b128 v[16:19], v[4:5]
	s_wait_loadcnt_dscnt 0x0
	s_set_vgpr_msb 1                        ;  msbs: dst=0 src0=1 src1=0 src2=0
	ds_store_2addr_b64 v29 /*v285*/, v[16:17], v[18:19] offset1:1
.LBB189_44:                             ;   in Loop: Header=BB189_4 Depth=1
	s_wait_xcnt 0x0
	s_or_b32 exec_lo, exec_lo, s18
	s_set_vgpr_msb 0                        ;  msbs: dst=0 src0=0 src1=0 src2=0
	v_mov_b32_e32 v217, v2
	s_mov_b32 s18, 0
	s_delay_alu instid0(VALU_DEP_1) | instskip(NEXT) | instid1(VALU_DEP_1)
	v_add_nc_u64_e32 v[4:5], v[10:11], v[216:217]
	v_lshl_add_u64 v[4:5], s[62:63], 4, v[4:5]
	s_delay_alu instid0(VALU_DEP_1) | instskip(NEXT) | instid1(VALU_DEP_1)
	v_add_nc_u64_e32 v[4:5], 0x210, v[4:5]
	v_dual_cndmask_b32 v11, v5, v13, s11 :: v_dual_cndmask_b32 v10, v4, v12, s11
.LBB189_45:                             ;   in Loop: Header=BB189_4 Depth=1
	s_and_b32 vcc_lo, exec_lo, s18
	s_cbranch_vccz .LBB189_47
; %bb.46:                               ;   in Loop: Header=BB189_4 Depth=1
	flat_load_b128 v[16:19], v[12:13]
	v_lshl_add_u64 v[4:5], s[52:53], 4, v[14:15]
	v_mov_b64_e32 v[10:11], v[12:13]
	s_wait_loadcnt_dscnt 0x0
	s_set_vgpr_msb 1                        ;  msbs: dst=0 src0=1 src1=0 src2=0
	ds_store_2addr_b64 v8 /*v264*/, v[16:17], v[18:19] offset1:1
	s_set_vgpr_msb 0                        ;  msbs: dst=0 src0=0 src1=0 src2=0
	flat_load_b128 v[14:17], v[4:5] offset:512
	s_wait_xcnt 0x0
	v_add_nc_u64_e32 v[4:5], s[64:65], v[4:5]
	s_wait_loadcnt_dscnt 0x0
	s_set_vgpr_msb 1                        ;  msbs: dst=0 src0=1 src1=0 src2=0
	ds_store_2addr_b64 v27 /*v283*/, v[14:15], v[16:17] offset1:1
	s_set_vgpr_msb 0                        ;  msbs: dst=0 src0=0 src1=0 src2=0
	flat_load_b128 v[14:17], v[4:5] offset:512
	s_wait_xcnt 0x0
	v_add_nc_u64_e32 v[4:5], s[64:65], v[4:5]
	s_wait_loadcnt_dscnt 0x0
	s_set_vgpr_msb 1                        ;  msbs: dst=0 src0=1 src1=0 src2=0
	ds_store_2addr_b64 v28 /*v284*/, v[14:15], v[16:17] offset1:1
	s_set_vgpr_msb 0                        ;  msbs: dst=0 src0=0 src1=0 src2=0
	flat_load_b128 v[14:17], v[4:5] offset:512
	s_wait_loadcnt_dscnt 0x0
	s_set_vgpr_msb 1                        ;  msbs: dst=0 src0=1 src1=0 src2=0
	ds_store_2addr_b64 v29 /*v285*/, v[14:15], v[16:17] offset1:1
.LBB189_47:                             ;   in Loop: Header=BB189_4 Depth=1
	s_wait_dscnt 0x0
	s_barrier_signal -1
	s_barrier_wait -1
	s_wait_xcnt 0x0
	s_and_saveexec_b32 s18, s6
	s_set_vgpr_msb 0                        ;  msbs: dst=0 src0=0 src1=0 src2=0
	s_cbranch_execnz .LBB189_135
; %bb.48:                               ;   in Loop: Header=BB189_4 Depth=1
	s_or_b32 exec_lo, exec_lo, s18
	s_and_saveexec_b32 s18, s7
	s_cbranch_execnz .LBB189_136
.LBB189_49:                             ;   in Loop: Header=BB189_4 Depth=1
	s_or_b32 exec_lo, exec_lo, s18
	s_and_saveexec_b32 s18, s8
	s_cbranch_execnz .LBB189_137
.LBB189_50:                             ;   in Loop: Header=BB189_4 Depth=1
	s_or_b32 exec_lo, exec_lo, s18
	s_and_saveexec_b32 s18, s9
	s_cbranch_execz .LBB189_52
.LBB189_51:                             ;   in Loop: Header=BB189_4 Depth=1
	s_set_vgpr_msb 1                        ;  msbs: dst=0 src0=1 src1=0 src2=0
	ds_load_b128 v[12:15], v34 /*v290*/
	s_wait_dscnt 0x0
	ds_store_b128 v37 /*v293*/, v[12:15]
.LBB189_52:                             ;   in Loop: Header=BB189_4 Depth=1
	s_or_b32 exec_lo, exec_lo, s18
	s_wait_dscnt 0x0
	s_barrier_signal -1
	s_barrier_wait -1
	s_set_vgpr_msb 1                        ;  msbs: dst=0 src0=1 src1=0 src2=0
	ds_load_b128 v[12:15], v10 /*v266*/
	ds_load_b128 v[16:19], v13 /*v269*/ offset:512
	ds_load_b128 v[20:23], v13 /*v269*/ offset:528
	ds_load_b128 v[24:27], v12 /*v268*/
	s_wait_dscnt 0x2
	s_set_vgpr_msb 0                        ;  msbs: dst=0 src0=0 src1=0 src2=0
	v_mul_f64_e32 v[4:5], v[18:19], v[14:15]
	v_mul_f64_e32 v[34:35], v[16:17], v[14:15]
	s_wait_dscnt 0x0
	v_mul_f64_e32 v[36:37], v[22:23], v[26:27]
	v_mul_f64_e32 v[38:39], v[20:21], v[26:27]
	s_delay_alu instid0(VALU_DEP_4) | instskip(NEXT) | instid1(VALU_DEP_4)
	v_fma_f64 v[4:5], v[16:17], v[12:13], -v[4:5]
	v_fmac_f64_e32 v[34:35], v[18:19], v[12:13]
	s_set_vgpr_msb 1                        ;  msbs: dst=0 src0=1 src1=0 src2=0
	ds_load_b128 v[12:15], v32 /*v288*/
	ds_load_b128 v[16:19], v13 /*v269*/ offset:544
	ds_load_b128 v[26:29], v13 /*v269*/ offset:560
	ds_load_b128 v[30:33], v34 /*v290*/
	s_set_vgpr_msb 0                        ;  msbs: dst=0 src0=0 src1=0 src2=0
	v_fma_f64 v[20:21], v[20:21], v[24:25], -v[36:37]
	v_fmac_f64_e32 v[38:39], v[22:23], v[24:25]
	s_wait_dscnt 0x0
	s_barrier_signal -1
	s_barrier_wait -1
	v_mul_f64_e32 v[40:41], v[18:19], v[14:15]
	v_mul_f64_e32 v[14:15], v[16:17], v[14:15]
	;; [unrolled: 1-line block ×4, first 2 shown]
	v_add_f64_e32 v[4:5], 0, v[4:5]
	v_add_f64_e32 v[22:23], 0, v[34:35]
	v_fma_f64 v[16:17], v[16:17], v[12:13], -v[40:41]
	v_fmac_f64_e32 v[14:15], v[18:19], v[12:13]
	v_fma_f64 v[18:19], v[26:27], v[30:31], -v[24:25]
	v_fmac_f64_e32 v[32:33], v[28:29], v[30:31]
	v_add_f64_e32 v[4:5], v[4:5], v[20:21]
	v_add_f64_e32 v[12:13], v[22:23], v[38:39]
	s_delay_alu instid0(VALU_DEP_2) | instskip(NEXT) | instid1(VALU_DEP_2)
	v_add_f64_e32 v[4:5], v[4:5], v[16:17]
	v_add_f64_e32 v[14:15], v[12:13], v[14:15]
	s_delay_alu instid0(VALU_DEP_2) | instskip(NEXT) | instid1(VALU_DEP_2)
	v_add_f64_e32 v[12:13], v[4:5], v[18:19]
	v_add_f64_e32 v[14:15], v[14:15], v[32:33]
	s_set_vgpr_msb 1                        ;  msbs: dst=0 src0=1 src1=0 src2=0
	ds_store_b128 v14 /*v270*/, v[12:15]
	s_wait_dscnt 0x0
	s_barrier_signal -1
	s_barrier_wait -1
	s_and_saveexec_b32 s18, s16
	s_set_vgpr_msb 0                        ;  msbs: dst=0 src0=0 src1=0 src2=0
	s_cbranch_execz .LBB189_54
; %bb.53:                               ;   in Loop: Header=BB189_4 Depth=1
	s_set_vgpr_msb 1                        ;  msbs: dst=0 src0=1 src1=0 src2=0
	ds_load_b128 v[4:7], v11 /*v267*/
	ds_load_b128 v[12:15], v11 /*v267*/ offset:16
	s_wait_dscnt 0x0
	s_set_vgpr_msb 0                        ;  msbs: dst=0 src0=0 src1=0 src2=0
	v_add_f64_e32 v[8:9], v[12:13], v[4:5]
	v_add_f64_e32 v[16:17], v[14:15], v[6:7]
	s_set_vgpr_msb 1                        ;  msbs: dst=0 src0=1 src1=0 src2=0
	ds_load_b128 v[4:7], v11 /*v267*/ offset:32
	ds_load_b128 v[12:15], v11 /*v267*/ offset:48
	s_wait_dscnt 0x1
	s_set_vgpr_msb 0                        ;  msbs: dst=0 src0=0 src1=0 src2=0
	v_add_f64_e32 v[4:5], v[8:9], v[4:5]
	v_add_f64_e32 v[6:7], v[16:17], v[6:7]
	s_wait_dscnt 0x0
	s_delay_alu instid0(VALU_DEP_2) | instskip(NEXT) | instid1(VALU_DEP_2)
	v_add_f64_e32 v[8:9], v[4:5], v[12:13]
	v_add_f64_e32 v[16:17], v[6:7], v[14:15]
	s_set_vgpr_msb 1                        ;  msbs: dst=0 src0=1 src1=0 src2=0
	ds_load_b128 v[4:7], v11 /*v267*/ offset:64
	ds_load_b128 v[12:15], v11 /*v267*/ offset:80
	s_wait_dscnt 0x1
	s_set_vgpr_msb 0                        ;  msbs: dst=0 src0=0 src1=0 src2=0
	v_add_f64_e32 v[4:5], v[8:9], v[4:5]
	v_add_f64_e32 v[6:7], v[16:17], v[6:7]
	s_wait_dscnt 0x0
	s_delay_alu instid0(VALU_DEP_2) | instskip(NEXT) | instid1(VALU_DEP_2)
	;; [unrolled: 11-line block ×3, first 2 shown]
	v_add_f64_e32 v[6:7], v[4:5], v[12:13]
	v_add_f64_e32 v[8:9], v[8:9], v[14:15]
.LBB189_54:                             ;   in Loop: Header=BB189_4 Depth=1
	s_or_b32 exec_lo, exec_lo, s18
	v_add_nc_u64_e32 v[12:13], s[68:69], v[10:11]
	s_and_b32 vcc_lo, exec_lo, s77
	s_mov_b32 s18, -1
	s_barrier_signal -1
	s_barrier_wait -1
                                        ; implicit-def: $vgpr4_vgpr5
	s_cbranch_vccz .LBB189_66
; %bb.55:                               ;   in Loop: Header=BB189_4 Depth=1
	s_and_saveexec_b32 s18, s12
	s_delay_alu instid0(SALU_CYCLE_1)
	s_xor_b32 s18, exec_lo, s18
; %bb.56:                               ;   in Loop: Header=BB189_4 Depth=1
	v_dual_mov_b32 v3, v2 :: v_dual_mov_b32 v4, v2
	v_mov_b32_e32 v5, v2
	s_set_vgpr_msb 1                        ;  msbs: dst=0 src0=1 src1=0 src2=0
	ds_store_b128 v8 /*v264*/, v[2:5]
; %bb.57:                               ;   in Loop: Header=BB189_4 Depth=1
	s_or_saveexec_b32 s18, s18
	s_set_vgpr_msb 0                        ;  msbs: dst=0 src0=0 src1=0 src2=0
	v_lshl_add_u64 v[4:5], v[214:215], 4, v[10:11]
	s_delay_alu instid0(VALU_DEP_1) | instskip(NEXT) | instid1(VALU_DEP_1)
	v_lshl_add_u64 v[4:5], s[44:45], 4, v[4:5]
	v_add_nc_u64_e32 v[4:5], s[70:71], v[4:5]
	s_delay_alu instid0(VALU_DEP_1)
	v_dual_cndmask_b32 v15, v5, v13, s1 :: v_dual_cndmask_b32 v14, v4, v12, s1
	s_xor_b32 exec_lo, exec_lo, s18
	s_cbranch_execnz .LBB189_150
; %bb.58:                               ;   in Loop: Header=BB189_4 Depth=1
	s_or_b32 exec_lo, exec_lo, s18
	s_and_saveexec_b32 s18, s13
	s_delay_alu instid0(SALU_CYCLE_1)
	s_xor_b32 s18, exec_lo, s18
	s_cbranch_execnz .LBB189_151
.LBB189_59:                             ;   in Loop: Header=BB189_4 Depth=1
	s_and_not1_saveexec_b32 s18, s18
	s_cbranch_execnz .LBB189_152
.LBB189_60:                             ;   in Loop: Header=BB189_4 Depth=1
	s_or_b32 exec_lo, exec_lo, s18
	s_and_saveexec_b32 s18, s14
	s_delay_alu instid0(SALU_CYCLE_1)
	s_xor_b32 s18, exec_lo, s18
	s_cbranch_execnz .LBB189_153
.LBB189_61:                             ;   in Loop: Header=BB189_4 Depth=1
	s_and_not1_saveexec_b32 s18, s18
	s_cbranch_execnz .LBB189_154
.LBB189_62:                             ;   in Loop: Header=BB189_4 Depth=1
	s_or_b32 exec_lo, exec_lo, s18
	s_and_saveexec_b32 s18, s15
	s_delay_alu instid0(SALU_CYCLE_1)
	s_xor_b32 s18, exec_lo, s18
	s_cbranch_execnz .LBB189_155
.LBB189_63:                             ;   in Loop: Header=BB189_4 Depth=1
	s_and_not1_saveexec_b32 s18, s18
	s_cbranch_execz .LBB189_65
.LBB189_64:                             ;   in Loop: Header=BB189_4 Depth=1
	v_lshl_add_u64 v[4:5], s[56:57], 4, v[14:15]
	flat_load_b128 v[16:19], v[4:5]
	s_wait_loadcnt_dscnt 0x0
	s_set_vgpr_msb 1                        ;  msbs: dst=0 src0=1 src1=0 src2=0
	ds_store_2addr_b64 v29 /*v285*/, v[16:17], v[18:19] offset1:1
.LBB189_65:                             ;   in Loop: Header=BB189_4 Depth=1
	s_wait_xcnt 0x0
	s_or_b32 exec_lo, exec_lo, s18
	s_set_vgpr_msb 0                        ;  msbs: dst=0 src0=0 src1=0 src2=0
	v_mov_b32_e32 v217, v2
	s_mov_b32 s18, 0
	s_delay_alu instid0(VALU_DEP_1) | instskip(NEXT) | instid1(VALU_DEP_1)
	v_add_nc_u64_e32 v[4:5], v[14:15], v[216:217]
	v_lshl_add_u64 v[4:5], s[62:63], 4, v[4:5]
	s_delay_alu instid0(VALU_DEP_1) | instskip(NEXT) | instid1(VALU_DEP_1)
	v_add_nc_u64_e32 v[4:5], 16, v[4:5]
	v_dual_cndmask_b32 v5, v5, v13, s1 :: v_dual_cndmask_b32 v4, v4, v12, s1
.LBB189_66:                             ;   in Loop: Header=BB189_4 Depth=1
	s_and_b32 vcc_lo, exec_lo, s18
	s_cbranch_vccz .LBB189_68
; %bb.67:                               ;   in Loop: Header=BB189_4 Depth=1
	flat_load_b128 v[14:17], v[12:13]
	v_lshl_add_u64 v[4:5], s[52:53], 4, v[10:11]
	s_wait_loadcnt_dscnt 0x0
	s_set_vgpr_msb 1                        ;  msbs: dst=0 src0=1 src1=0 src2=0
	ds_store_2addr_b64 v8 /*v264*/, v[14:15], v[16:17] offset1:1
	s_set_vgpr_msb 0                        ;  msbs: dst=0 src0=0 src1=0 src2=0
	flat_load_b128 v[14:17], v[4:5] offset:-512
	s_wait_xcnt 0x0
	v_add_nc_u64_e32 v[4:5], s[64:65], v[4:5]
	s_wait_loadcnt_dscnt 0x0
	s_set_vgpr_msb 1                        ;  msbs: dst=0 src0=1 src1=0 src2=0
	ds_store_2addr_b64 v27 /*v283*/, v[14:15], v[16:17] offset1:1
	s_set_vgpr_msb 0                        ;  msbs: dst=0 src0=0 src1=0 src2=0
	flat_load_b128 v[14:17], v[4:5] offset:-512
	s_wait_xcnt 0x0
	v_add_nc_u64_e32 v[4:5], s[64:65], v[4:5]
	s_wait_loadcnt_dscnt 0x0
	s_set_vgpr_msb 1                        ;  msbs: dst=0 src0=1 src1=0 src2=0
	ds_store_2addr_b64 v28 /*v284*/, v[14:15], v[16:17] offset1:1
	s_set_vgpr_msb 0                        ;  msbs: dst=0 src0=0 src1=0 src2=0
	flat_load_b128 v[14:17], v[4:5] offset:-512
	s_wait_xcnt 0x0
	v_mov_b64_e32 v[4:5], v[12:13]
	s_wait_loadcnt_dscnt 0x0
	s_set_vgpr_msb 1                        ;  msbs: dst=0 src0=1 src1=0 src2=0
	ds_store_2addr_b64 v29 /*v285*/, v[14:15], v[16:17] offset1:1
.LBB189_68:                             ;   in Loop: Header=BB189_4 Depth=1
	s_wait_dscnt 0x0
	s_barrier_signal -1
	s_barrier_wait -1
	s_set_vgpr_msb 1                        ;  msbs: dst=0 src0=1 src1=0 src2=0
	ds_load_b128 v[10:13], v24 /*v280*/
	ds_load_b128 v[14:17], v17 /*v273*/
	ds_load_b128 v[18:21], v14 /*v270*/ offset:384
	ds_load_b128 v[22:25], v17 /*v273*/ offset:384
	ds_load_b128 v[26:29], v17 /*v273*/ offset:128
	ds_load_b128 v[30:33], v14 /*v270*/ offset:128
	ds_load_b128 v[34:37], v14 /*v270*/ offset:256
	ds_load_b128 v[38:41], v17 /*v273*/ offset:256
	s_wait_dscnt 0x6
	s_set_vgpr_msb 0                        ;  msbs: dst=0 src0=0 src1=0 src2=0
	v_mul_f64_e32 v[44:45], v[12:13], v[16:17]
	v_mul_f64_e32 v[16:17], v[10:11], v[16:17]
	s_wait_dscnt 0x2
	v_mul_f64_e32 v[46:47], v[32:33], v[28:29]
	v_mul_f64_e32 v[28:29], v[30:31], v[28:29]
	s_delay_alu instid0(VALU_DEP_4) | instskip(NEXT) | instid1(VALU_DEP_4)
	v_fma_f64 v[10:11], v[10:11], v[14:15], -v[44:45]
	v_fmac_f64_e32 v[16:17], v[12:13], v[14:15]
	s_wait_dscnt 0x0
	v_mul_f64_e32 v[12:13], v[36:37], v[40:41]
	v_mul_f64_e32 v[14:15], v[34:35], v[40:41]
	v_fma_f64 v[30:31], v[30:31], v[26:27], -v[46:47]
	v_fmac_f64_e32 v[28:29], v[32:33], v[26:27]
	v_mul_f64_e32 v[26:27], v[20:21], v[24:25]
	v_mul_f64_e32 v[24:25], v[18:19], v[24:25]
	v_add_f64_e32 v[10:11], 0, v[10:11]
	v_add_f64_e32 v[16:17], 0, v[16:17]
	v_fma_f64 v[12:13], v[34:35], v[38:39], -v[12:13]
	v_fmac_f64_e32 v[14:15], v[36:37], v[38:39]
	v_fma_f64 v[18:19], v[18:19], v[22:23], -v[26:27]
	v_fmac_f64_e32 v[24:25], v[20:21], v[22:23]
	v_add_f64_e32 v[10:11], v[10:11], v[30:31]
	v_add_f64_e32 v[16:17], v[16:17], v[28:29]
	s_delay_alu instid0(VALU_DEP_2) | instskip(NEXT) | instid1(VALU_DEP_2)
	v_add_f64_e32 v[10:11], v[10:11], v[12:13]
	v_add_f64_e32 v[12:13], v[16:17], v[14:15]
	s_delay_alu instid0(VALU_DEP_2) | instskip(NEXT) | instid1(VALU_DEP_2)
	v_add_f64_e32 v[44:45], v[10:11], v[18:19]
	v_add_f64_e32 v[46:47], v[12:13], v[24:25]
	s_set_vgpr_msb 1                        ;  msbs: dst=0 src0=1 src1=0 src2=0
	ds_load_b128 v[34:37], v13 /*v269*/ offset:512
	ds_load_b128 v[26:29], v13 /*v269*/ offset:528
	;; [unrolled: 1-line block ×4, first 2 shown]
	ds_load_b128 v[38:41], v10 /*v266*/
	ds_load_b128 v[30:33], v12 /*v268*/
	;; [unrolled: 1-line block ×4, first 2 shown]
	s_wait_dscnt 0x0
	s_barrier_signal -1
	s_barrier_wait -1
	ds_store_b128 v14 /*v270*/, v[44:47]
	s_wait_dscnt 0x0
	s_barrier_signal -1
	s_barrier_wait -1
	s_and_saveexec_b32 s18, s16
	s_set_vgpr_msb 0                        ;  msbs: dst=0 src0=0 src1=0 src2=0
	s_cbranch_execz .LBB189_70
; %bb.69:                               ;   in Loop: Header=BB189_4 Depth=1
	s_set_vgpr_msb 1                        ;  msbs: dst=0 src0=1 src1=0 src2=0
	ds_load_b128 v[44:47], v11 /*v267*/
	ds_load_b128 v[48:51], v11 /*v267*/ offset:16
	s_wait_dscnt 0x1
	s_set_vgpr_msb 0                        ;  msbs: dst=0 src0=0 src1=0 src2=0
	v_add_f64_e32 v[6:7], v[6:7], v[44:45]
	v_add_f64_e32 v[8:9], v[8:9], v[46:47]
	s_wait_dscnt 0x0
	s_delay_alu instid0(VALU_DEP_2) | instskip(NEXT) | instid1(VALU_DEP_2)
	v_add_f64_e32 v[48:49], v[6:7], v[48:49]
	v_add_f64_e32 v[50:51], v[8:9], v[50:51]
	s_set_vgpr_msb 1                        ;  msbs: dst=0 src0=1 src1=0 src2=0
	ds_load_b128 v[6:9], v11 /*v267*/ offset:32
	ds_load_b128 v[44:47], v11 /*v267*/ offset:48
	s_wait_dscnt 0x1
	s_set_vgpr_msb 0                        ;  msbs: dst=0 src0=0 src1=0 src2=0
	v_add_f64_e32 v[6:7], v[48:49], v[6:7]
	v_add_f64_e32 v[8:9], v[50:51], v[8:9]
	s_wait_dscnt 0x0
	s_delay_alu instid0(VALU_DEP_2) | instskip(NEXT) | instid1(VALU_DEP_2)
	v_add_f64_e32 v[48:49], v[6:7], v[44:45]
	v_add_f64_e32 v[50:51], v[8:9], v[46:47]
	s_set_vgpr_msb 1                        ;  msbs: dst=0 src0=1 src1=0 src2=0
	ds_load_b128 v[6:9], v11 /*v267*/ offset:64
	;; [unrolled: 11-line block ×3, first 2 shown]
	ds_load_b128 v[44:47], v11 /*v267*/ offset:112
	s_wait_dscnt 0x1
	s_set_vgpr_msb 0                        ;  msbs: dst=0 src0=0 src1=0 src2=0
	v_add_f64_e32 v[6:7], v[48:49], v[6:7]
	v_add_f64_e32 v[8:9], v[50:51], v[8:9]
	s_wait_dscnt 0x0
	s_delay_alu instid0(VALU_DEP_2) | instskip(NEXT) | instid1(VALU_DEP_2)
	v_add_f64_e32 v[6:7], v[6:7], v[44:45]
	v_add_f64_e32 v[8:9], v[8:9], v[46:47]
.LBB189_70:                             ;   in Loop: Header=BB189_4 Depth=1
	s_or_b32 exec_lo, exec_lo, s18
	v_mul_f64_e32 v[44:45], v[36:37], v[40:41]
	v_mul_f64_e32 v[40:41], v[34:35], v[40:41]
	v_mul_f64_e32 v[46:47], v[28:29], v[32:33]
	v_mul_f64_e32 v[32:33], v[26:27], v[32:33]
	s_barrier_signal -1
	s_barrier_wait -1
	s_delay_alu instid0(VALU_DEP_4) | instskip(NEXT) | instid1(VALU_DEP_4)
	v_fma_f64 v[34:35], v[34:35], v[38:39], -v[44:45]
	v_fmac_f64_e32 v[40:41], v[36:37], v[38:39]
	v_mul_f64_e32 v[36:37], v[16:17], v[24:25]
	v_mul_f64_e32 v[24:25], v[14:15], v[24:25]
	v_fma_f64 v[26:27], v[26:27], v[30:31], -v[46:47]
	v_fmac_f64_e32 v[32:33], v[28:29], v[30:31]
	v_add_f64_e32 v[28:29], 0, v[34:35]
	v_add_f64_e32 v[30:31], 0, v[40:41]
	v_mul_f64_e32 v[34:35], v[12:13], v[20:21]
	v_mul_f64_e32 v[20:21], v[10:11], v[20:21]
	v_fma_f64 v[14:15], v[14:15], v[22:23], -v[36:37]
	v_fmac_f64_e32 v[24:25], v[16:17], v[22:23]
	v_add_f64_e32 v[16:17], v[28:29], v[26:27]
	v_add_f64_e32 v[22:23], v[30:31], v[32:33]
	v_fma_f64 v[10:11], v[10:11], v[18:19], -v[34:35]
	v_fmac_f64_e32 v[20:21], v[12:13], v[18:19]
	s_delay_alu instid0(VALU_DEP_4) | instskip(NEXT) | instid1(VALU_DEP_4)
	v_add_f64_e32 v[12:13], v[16:17], v[14:15]
	v_add_f64_e32 v[14:15], v[22:23], v[24:25]
	s_delay_alu instid0(VALU_DEP_2) | instskip(NEXT) | instid1(VALU_DEP_2)
	v_add_f64_e32 v[10:11], v[12:13], v[10:11]
	v_add_f64_e32 v[12:13], v[14:15], v[20:21]
	s_set_vgpr_msb 1                        ;  msbs: dst=0 src0=1 src1=0 src2=0
	ds_store_b128 v14 /*v270*/, v[10:13]
	s_wait_dscnt 0x0
	s_barrier_signal -1
	s_barrier_wait -1
	s_and_saveexec_b32 s18, s10
	s_set_vgpr_msb 0                        ;  msbs: dst=0 src0=0 src1=0 src2=0
	s_cbranch_execz .LBB189_72
; %bb.71:                               ;   in Loop: Header=BB189_4 Depth=1
	s_set_vgpr_msb 1                        ;  msbs: dst=0 src0=1 src1=0 src2=0
	ds_load_b128 v[10:13], v11 /*v267*/
	ds_load_b128 v[14:17], v11 /*v267*/ offset:16
	s_wait_dscnt 0x1
	s_set_vgpr_msb 0                        ;  msbs: dst=0 src0=0 src1=0 src2=0
	v_add_f64_e32 v[6:7], v[6:7], v[10:11]
	v_add_f64_e32 v[8:9], v[8:9], v[12:13]
	s_wait_dscnt 0x0
	s_delay_alu instid0(VALU_DEP_2) | instskip(NEXT) | instid1(VALU_DEP_2)
	v_add_f64_e32 v[14:15], v[6:7], v[14:15]
	v_add_f64_e32 v[16:17], v[8:9], v[16:17]
	s_set_vgpr_msb 1                        ;  msbs: dst=0 src0=1 src1=0 src2=0
	ds_load_b128 v[6:9], v11 /*v267*/ offset:32
	ds_load_b128 v[10:13], v11 /*v267*/ offset:48
	s_wait_dscnt 0x1
	s_set_vgpr_msb 0                        ;  msbs: dst=0 src0=0 src1=0 src2=0
	v_add_f64_e32 v[6:7], v[14:15], v[6:7]
	v_add_f64_e32 v[8:9], v[16:17], v[8:9]
	s_wait_dscnt 0x0
	s_delay_alu instid0(VALU_DEP_2) | instskip(NEXT) | instid1(VALU_DEP_2)
	v_add_f64_e32 v[14:15], v[6:7], v[10:11]
	v_add_f64_e32 v[16:17], v[8:9], v[12:13]
	s_set_vgpr_msb 1                        ;  msbs: dst=0 src0=1 src1=0 src2=0
	ds_load_b128 v[6:9], v11 /*v267*/ offset:64
	;; [unrolled: 11-line block ×3, first 2 shown]
	ds_load_b128 v[10:13], v11 /*v267*/ offset:112
	s_wait_dscnt 0x1
	s_set_vgpr_msb 0                        ;  msbs: dst=0 src0=0 src1=0 src2=0
	v_add_f64_e32 v[6:7], v[14:15], v[6:7]
	v_add_f64_e32 v[8:9], v[16:17], v[8:9]
	s_wait_dscnt 0x0
	s_delay_alu instid0(VALU_DEP_2) | instskip(NEXT) | instid1(VALU_DEP_2)
	v_add_f64_e32 v[6:7], v[6:7], v[10:11]
	v_add_f64_e32 v[8:9], v[8:9], v[12:13]
.LBB189_72:                             ;   in Loop: Header=BB189_4 Depth=1
	s_or_b32 exec_lo, exec_lo, s18
	s_mul_u64 s[18:19], s[46:47], s[34:35]
	s_and_not1_b32 vcc_lo, exec_lo, s41
	s_lshl_b64 s[18:19], s[18:19], 4
	s_delay_alu instid0(SALU_CYCLE_1)
	s_add_nc_u64 s[18:19], s[48:49], s[18:19]
	s_barrier_signal -1
	s_barrier_wait -1
	s_cbranch_vccnz .LBB189_130
; %bb.73:                               ;   in Loop: Header=BB189_4 Depth=1
	v_add_nc_u64_e32 v[220:221], v[4:5], v[176:177]
	v_add_nc_u64_e32 v[222:223], v[4:5], v[178:179]
	;; [unrolled: 1-line block ×18, first 2 shown]
	s_set_vgpr_msb 64                       ;  msbs: dst=1 src0=0 src1=0 src2=0
	v_add_nc_u64_e32 v[0:1] /*v[256:257]*/, v[4:5], v[212:213]
	v_add_nc_u64_e32 v[2:3] /*v[258:259]*/, v[4:5], v[200:201]
	v_lshl_add_u64 v[4:5] /*v[260:261]*/, s[60:61], 4, v[42:43]
	s_set_vgpr_msb 1                        ;  msbs: dst=0 src0=1 src1=0 src2=0
	v_mov_b32_e32 v217, v54 /*v310*/
	s_mov_b32 s74, s81
	s_mov_b32 s82, s42
	s_delay_alu instid0(SALU_CYCLE_1)
	s_cmp_eq_u32 s43, s82
	s_cselect_b32 s83, s76, 0
	s_and_saveexec_b32 s84, s0
	s_set_vgpr_msb 0                        ;  msbs: dst=0 src0=0 src1=0 src2=0
	s_cbranch_execz .LBB189_78
.LBB189_74:                             ;   in Loop: Header=BB189_4 Depth=1
	s_set_vgpr_msb 4                        ;  msbs: dst=0 src0=0 src1=1 src2=0
	v_cmp_le_i32_e32 vcc_lo, s83, v6 /*v262*/
	s_cmp_lg_u32 s83, 0
	s_cselect_b32 s75, -1, 0
	s_delay_alu instid0(SALU_CYCLE_1) | instskip(NEXT) | instid1(SALU_CYCLE_1)
	s_and_b32 s75, s75, vcc_lo
	s_and_saveexec_b32 s85, s75
	s_delay_alu instid0(SALU_CYCLE_1)
	s_xor_b32 s75, exec_lo, s85
; %bb.75:                               ;   in Loop: Header=BB189_4 Depth=1
	v_dual_mov_b32 v3, v2 :: v_dual_mov_b32 v4, v2
	v_mov_b32_e32 v5, v2
	s_set_vgpr_msb 1                        ;  msbs: dst=0 src0=1 src1=0 src2=0
	ds_store_b128 v38 /*v294*/, v[2:5]
; %bb.76:                               ;   in Loop: Header=BB189_4 Depth=1
	s_and_not1_saveexec_b32 s75, s75
	s_set_vgpr_msb 0                        ;  msbs: dst=0 src0=0 src1=0 src2=0
	s_cbranch_execz .LBB189_78
; %bb.77:                               ;   in Loop: Header=BB189_4 Depth=1
	s_ashr_i32 s75, s74, 31
	s_set_vgpr_msb 16                       ;  msbs: dst=0 src0=0 src1=0 src2=1
	v_lshl_add_u64 v[4:5], s[74:75], 4, v[4:5] /*v[260:261]*/
	flat_load_b128 v[10:13], v[4:5]
	s_wait_loadcnt_dscnt 0x0
	s_set_vgpr_msb 1                        ;  msbs: dst=0 src0=1 src1=0 src2=0
	ds_store_2addr_b64 v38 /*v294*/, v[10:11], v[12:13] offset1:1
.LBB189_78:                             ;   Parent Loop BB189_4 Depth=1
                                        ; =>  This Inner Loop Header: Depth=2
	s_wait_xcnt 0x0
	s_or_b32 exec_lo, exec_lo, s84
	s_cmp_eq_u32 s83, 0
	s_set_vgpr_msb 0                        ;  msbs: dst=0 src0=0 src1=0 src2=0
	v_add_nc_u64_e32 v[4:5], v[228:229], v[180:181]
	s_cselect_b32 s75, -1, 0
	s_cmp_lg_u32 s83, 0
	s_wait_dscnt 0x0
	s_cselect_b32 s84, -1, 0
	s_barrier_signal -1
	s_and_b32 vcc_lo, exec_lo, s84
	s_barrier_wait -1
	s_cbranch_vccz .LBB189_86
; %bb.79:                               ;   in Loop: Header=BB189_78 Depth=2
	v_mov_b64_e32 v[10:11], 0
	v_mov_b64_e32 v[14:15], 0
	;; [unrolled: 1-line block ×3, first 2 shown]
	s_mov_b32 s85, exec_lo
	s_set_vgpr_msb 4                        ;  msbs: dst=0 src0=0 src1=1 src2=0
	v_cmpx_gt_i32_e64 s83, v15 /*v271*/
	s_set_vgpr_msb 0                        ;  msbs: dst=0 src0=0 src1=0 src2=0
	s_cbranch_execz .LBB189_81
; %bb.80:                               ;   in Loop: Header=BB189_78 Depth=2
	flat_load_b128 v[14:17], v[4:5]
.LBB189_81:                             ;   in Loop: Header=BB189_78 Depth=2
	s_wait_xcnt 0x0
	s_or_b32 exec_lo, exec_lo, s85
	v_mov_b64_e32 v[12:13], 0
	s_mov_b32 s85, exec_lo
	s_set_vgpr_msb 4                        ;  msbs: dst=0 src0=0 src1=1 src2=0
	v_cmpx_gt_i32_e64 s83, v39 /*v295*/
	s_set_vgpr_msb 0                        ;  msbs: dst=0 src0=0 src1=0 src2=0
	s_cbranch_execz .LBB189_83
; %bb.82:                               ;   in Loop: Header=BB189_78 Depth=2
	v_add_nc_u64_e32 v[10:11], v[224:225], v[180:181]
	flat_load_b128 v[10:13], v[10:11]
.LBB189_83:                             ;   in Loop: Header=BB189_78 Depth=2
	s_wait_xcnt 0x0
	s_or_b32 exec_lo, exec_lo, s85
	v_mov_b64_e32 v[18:19], 0
	v_mov_b64_e32 v[20:21], 0
	s_mov_b32 s85, exec_lo
	s_set_vgpr_msb 4                        ;  msbs: dst=0 src0=0 src1=1 src2=0
	v_cmpx_gt_i32_e64 s83, v40 /*v296*/
	s_set_vgpr_msb 0                        ;  msbs: dst=0 src0=0 src1=0 src2=0
	s_cbranch_execz .LBB189_85
; %bb.84:                               ;   in Loop: Header=BB189_78 Depth=2
	v_add_nc_u64_e32 v[18:19], v[232:233], v[180:181]
	flat_load_b128 v[18:21], v[18:19]
.LBB189_85:                             ;   in Loop: Header=BB189_78 Depth=2
	s_wait_xcnt 0x0
	s_or_b32 exec_lo, exec_lo, s85
	s_set_vgpr_msb 4                        ;  msbs: dst=0 src0=0 src1=1 src2=0
	v_cmp_gt_i32_e64 s85, s83, v41 /*v297*/
	s_set_vgpr_msb 0                        ;  msbs: dst=0 src0=0 src1=0 src2=0
	s_branch .LBB189_88
.LBB189_86:                             ;   in Loop: Header=BB189_78 Depth=2
	s_mov_b32 s85, 0
                                        ; implicit-def: $vgpr20_vgpr21
                                        ; implicit-def: $vgpr12_vgpr13
                                        ; implicit-def: $vgpr16_vgpr17
	s_cbranch_execz .LBB189_88
; %bb.87:                               ;   in Loop: Header=BB189_78 Depth=2
	s_wait_loadcnt_dscnt 0x0
	v_add_nc_u64_e32 v[10:11], v[224:225], v[180:181]
	v_add_nc_u64_e32 v[18:19], v[220:221], v[180:181]
	s_or_b32 s85, s85, exec_lo
	flat_load_b128 v[14:17], v[4:5]
	flat_load_b128 v[10:13], v[10:11]
	flat_load_b128 v[18:21], v[18:19] offset:-8
.LBB189_88:                             ;   in Loop: Header=BB189_78 Depth=2
	v_mov_b64_e32 v[22:23], 0
	v_mov_b64_e32 v[24:25], 0
	s_wait_xcnt 0x0
	s_and_saveexec_b32 s86, s85
	s_cbranch_execz .LBB189_90
; %bb.89:                               ;   in Loop: Header=BB189_78 Depth=2
	v_add_nc_u64_e32 v[4:5], v[236:237], v[180:181]
	flat_load_b128 v[22:25], v[4:5]
.LBB189_90:                             ;   in Loop: Header=BB189_78 Depth=2
	s_wait_xcnt 0x0
	s_or_b32 exec_lo, exec_lo, s86
	s_set_vgpr_msb 1                        ;  msbs: dst=0 src0=1 src1=0 src2=0
	ds_load_b128 v[30:33], v26 /*v282*/
	ds_load_b128 v[26:29], v18 /*v274*/
	v_cndmask_b32_e64 v3, 0, 1, s84
	s_and_not1_b32 vcc_lo, exec_lo, s84
	s_wait_loadcnt_dscnt 0x1
	s_set_vgpr_msb 0                        ;  msbs: dst=0 src0=0 src1=0 src2=0
	v_mul_f64_e32 v[4:5], v[16:17], v[32:33]
	v_mul_f64_e32 v[44:45], v[14:15], v[32:33]
	;; [unrolled: 1-line block ×8, first 2 shown]
	v_fma_f64 v[42:43], v[14:15], v[30:31], -v[4:5]
	v_fmac_f64_e32 v[44:45], v[16:17], v[30:31]
	v_fma_f64 v[46:47], v[10:11], v[30:31], -v[34:35]
	v_fmac_f64_e32 v[48:49], v[12:13], v[30:31]
	;; [unrolled: 2-line block ×4, first 2 shown]
	s_set_vgpr_msb 1                        ;  msbs: dst=0 src0=1 src1=0 src2=0
	ds_load_b128 v[38:41], v18 /*v274*/ offset:16
	ds_load_b128 v[34:37], v18 /*v274*/ offset:32
	;; [unrolled: 1-line block ×3, first 2 shown]
	s_set_vgpr_msb 0                        ;  msbs: dst=0 src0=0 src1=0 src2=0
	v_add_nc_u64_e32 v[4:5], v[248:249], v[180:181]
	s_set_vgpr_msb 1                        ;  msbs: dst=0 src0=1 src1=0 src2=0
	ds_store_b128 v19 /*v275*/, v[42:45]
	ds_store_b128 v19 /*v275*/, v[46:49] offset:1072
	ds_store_b128 v19 /*v275*/, v[50:53] offset:2144
	;; [unrolled: 1-line block ×3, first 2 shown]
	s_wait_dscnt 0x0
	s_barrier_signal -1
	s_barrier_wait -1
	ds_load_b128 v[130:133], v20 /*v276*/
	ds_load_b128 v[126:129], v20 /*v276*/ offset:16
	ds_load_b128 v[122:125], v20 /*v276*/ offset:32
	;; [unrolled: 1-line block ×3, first 2 shown]
	s_wait_dscnt 0x0
	s_barrier_signal -1
	s_barrier_wait -1
	s_set_vgpr_msb 0                        ;  msbs: dst=0 src0=0 src1=0 src2=0
	s_cbranch_vccnz .LBB189_98
; %bb.91:                               ;   in Loop: Header=BB189_78 Depth=2
	v_mov_b64_e32 v[42:43], 0
	v_mov_b64_e32 v[46:47], 0
	;; [unrolled: 1-line block ×3, first 2 shown]
	s_mov_b32 s84, exec_lo
	s_set_vgpr_msb 4                        ;  msbs: dst=0 src0=0 src1=1 src2=0
	v_cmpx_gt_i32_e64 s83, v42 /*v298*/
	s_set_vgpr_msb 0                        ;  msbs: dst=0 src0=0 src1=0 src2=0
	s_cbranch_execz .LBB189_93
; %bb.92:                               ;   in Loop: Header=BB189_78 Depth=2
	flat_load_b128 v[46:49], v[4:5]
.LBB189_93:                             ;   in Loop: Header=BB189_78 Depth=2
	s_wait_xcnt 0x0
	s_or_b32 exec_lo, exec_lo, s84
	v_mov_b64_e32 v[44:45], 0
	s_mov_b32 s84, exec_lo
	s_set_vgpr_msb 4                        ;  msbs: dst=0 src0=0 src1=1 src2=0
	v_cmpx_gt_i32_e64 s83, v43 /*v299*/
	s_set_vgpr_msb 0                        ;  msbs: dst=0 src0=0 src1=0 src2=0
	s_cbranch_execz .LBB189_95
; %bb.94:                               ;   in Loop: Header=BB189_78 Depth=2
	v_add_nc_u64_e32 v[42:43], v[244:245], v[180:181]
	flat_load_b128 v[42:45], v[42:43]
.LBB189_95:                             ;   in Loop: Header=BB189_78 Depth=2
	s_wait_xcnt 0x0
	s_or_b32 exec_lo, exec_lo, s84
	v_mov_b64_e32 v[50:51], 0
	v_mov_b64_e32 v[52:53], 0
	s_mov_b32 s84, exec_lo
	s_set_vgpr_msb 4                        ;  msbs: dst=0 src0=0 src1=1 src2=0
	v_cmpx_gt_i32_e64 s83, v44 /*v300*/
	s_set_vgpr_msb 0                        ;  msbs: dst=0 src0=0 src1=0 src2=0
	s_cbranch_execz .LBB189_97
; %bb.96:                               ;   in Loop: Header=BB189_78 Depth=2
	v_add_nc_u64_e32 v[50:51], v[252:253], v[180:181]
	flat_load_b128 v[50:53], v[50:51]
.LBB189_97:                             ;   in Loop: Header=BB189_78 Depth=2
	s_wait_xcnt 0x0
	s_or_b32 exec_lo, exec_lo, s84
	s_set_vgpr_msb 4                        ;  msbs: dst=0 src0=0 src1=1 src2=0
	v_cmp_gt_i32_e64 s84, s83, v45 /*v301*/
	s_set_vgpr_msb 0                        ;  msbs: dst=0 src0=0 src1=0 src2=0
	s_branch .LBB189_100
.LBB189_98:                             ;   in Loop: Header=BB189_78 Depth=2
	s_mov_b32 s84, 0
                                        ; implicit-def: $vgpr52_vgpr53
                                        ; implicit-def: $vgpr44_vgpr45
                                        ; implicit-def: $vgpr48_vgpr49
	s_cbranch_execz .LBB189_100
; %bb.99:                               ;   in Loop: Header=BB189_78 Depth=2
	s_wait_loadcnt_dscnt 0x0
	v_add_nc_u64_e32 v[42:43], v[244:245], v[180:181]
	v_add_nc_u64_e32 v[50:51], v[240:241], v[180:181]
	s_or_b32 s84, s84, exec_lo
	flat_load_b128 v[46:49], v[4:5]
	flat_load_b128 v[42:45], v[42:43]
	flat_load_b128 v[50:53], v[50:51] offset:-8
.LBB189_100:                            ;   in Loop: Header=BB189_78 Depth=2
	v_mov_b64_e32 v[54:55], 0
	v_mov_b64_e32 v[56:57], 0
	s_wait_xcnt 0x0
	s_and_saveexec_b32 s85, s84
	s_cbranch_execz .LBB189_102
; %bb.101:                              ;   in Loop: Header=BB189_78 Depth=2
	s_set_vgpr_msb 1                        ;  msbs: dst=0 src0=1 src1=0 src2=0
	v_add_nc_u64_e32 v[4:5], v[0:1] /*v[256:257]*/, v[180:181]
	s_set_vgpr_msb 0                        ;  msbs: dst=0 src0=0 src1=0 src2=0
	flat_load_b128 v[54:57], v[4:5]
.LBB189_102:                            ;   in Loop: Header=BB189_78 Depth=2
	s_wait_xcnt 0x0
	s_or_b32 exec_lo, exec_lo, s85
	s_set_vgpr_msb 1                        ;  msbs: dst=0 src0=1 src1=0 src2=0
	ds_load_b128 v[62:65], v26 /*v282*/
	ds_load_b128 v[58:61], v18 /*v274*/ offset:256
	v_cmp_ne_u32_e32 vcc_lo, 1, v3
	s_and_b32 vcc_lo, exec_lo, vcc_lo
	s_wait_loadcnt_dscnt 0x1
	s_set_vgpr_msb 0                        ;  msbs: dst=0 src0=0 src1=0 src2=0
	v_mul_f64_e32 v[4:5], v[48:49], v[64:65]
	v_mul_f64_e32 v[72:73], v[46:47], v[64:65]
	;; [unrolled: 1-line block ×8, first 2 shown]
	v_fma_f64 v[70:71], v[46:47], v[62:63], -v[4:5]
	v_fmac_f64_e32 v[72:73], v[48:49], v[62:63]
	v_fma_f64 v[78:79], v[42:43], v[62:63], -v[66:67]
	v_fmac_f64_e32 v[80:81], v[44:45], v[62:63]
	;; [unrolled: 2-line block ×4, first 2 shown]
	s_set_vgpr_msb 1                        ;  msbs: dst=0 src0=1 src1=0 src2=0
	ds_load_b128 v[74:77], v18 /*v274*/ offset:272
	ds_load_b128 v[66:69], v18 /*v274*/ offset:288
	;; [unrolled: 1-line block ×3, first 2 shown]
	s_set_vgpr_msb 0                        ;  msbs: dst=0 src0=0 src1=0 src2=0
	v_add_nc_u64_e32 v[4:5], v[250:251], v[180:181]
	s_set_vgpr_msb 1                        ;  msbs: dst=0 src0=1 src1=0 src2=0
	ds_store_b128 v19 /*v275*/, v[70:73]
	ds_store_b128 v19 /*v275*/, v[78:81] offset:1072
	ds_store_b128 v19 /*v275*/, v[82:85] offset:2144
	;; [unrolled: 1-line block ×3, first 2 shown]
	s_wait_dscnt 0x0
	s_barrier_signal -1
	s_barrier_wait -1
	ds_load_b128 v[150:153], v20 /*v276*/
	ds_load_b128 v[146:149], v20 /*v276*/ offset:16
	ds_load_b128 v[142:145], v20 /*v276*/ offset:32
	;; [unrolled: 1-line block ×3, first 2 shown]
	s_wait_dscnt 0x0
	s_barrier_signal -1
	s_barrier_wait -1
	s_set_vgpr_msb 0                        ;  msbs: dst=0 src0=0 src1=0 src2=0
	s_cbranch_vccnz .LBB189_110
; %bb.103:                              ;   in Loop: Header=BB189_78 Depth=2
	v_mov_b64_e32 v[70:71], 0
	v_mov_b64_e32 v[78:79], 0
	;; [unrolled: 1-line block ×3, first 2 shown]
	s_mov_b32 s84, exec_lo
	s_set_vgpr_msb 4                        ;  msbs: dst=0 src0=0 src1=1 src2=0
	v_cmpx_gt_i32_e64 s83, v46 /*v302*/
	s_set_vgpr_msb 0                        ;  msbs: dst=0 src0=0 src1=0 src2=0
	s_cbranch_execz .LBB189_105
; %bb.104:                              ;   in Loop: Header=BB189_78 Depth=2
	flat_load_b128 v[78:81], v[4:5] offset:-8
.LBB189_105:                            ;   in Loop: Header=BB189_78 Depth=2
	s_wait_xcnt 0x0
	s_or_b32 exec_lo, exec_lo, s84
	v_mov_b64_e32 v[72:73], 0
	s_mov_b32 s84, exec_lo
	s_set_vgpr_msb 4                        ;  msbs: dst=0 src0=0 src1=1 src2=0
	v_cmpx_gt_i32_e64 s83, v47 /*v303*/
	s_set_vgpr_msb 0                        ;  msbs: dst=0 src0=0 src1=0 src2=0
	s_cbranch_execz .LBB189_107
; %bb.106:                              ;   in Loop: Header=BB189_78 Depth=2
	v_add_nc_u64_e32 v[70:71], v[254:255], v[180:181]
	flat_load_b128 v[70:73], v[70:71] offset:-8
.LBB189_107:                            ;   in Loop: Header=BB189_78 Depth=2
	s_wait_xcnt 0x0
	s_or_b32 exec_lo, exec_lo, s84
	v_mov_b64_e32 v[82:83], 0
	v_mov_b64_e32 v[84:85], 0
	s_mov_b32 s84, exec_lo
	s_set_vgpr_msb 4                        ;  msbs: dst=0 src0=0 src1=1 src2=0
	v_cmpx_gt_i32_e64 s83, v48 /*v304*/
	s_set_vgpr_msb 0                        ;  msbs: dst=0 src0=0 src1=0 src2=0
	s_cbranch_execz .LBB189_109
; %bb.108:                              ;   in Loop: Header=BB189_78 Depth=2
	v_add_nc_u64_e32 v[82:83], v[246:247], v[180:181]
	flat_load_b128 v[82:85], v[82:83] offset:-8
.LBB189_109:                            ;   in Loop: Header=BB189_78 Depth=2
	s_wait_xcnt 0x0
	s_or_b32 exec_lo, exec_lo, s84
	s_set_vgpr_msb 4                        ;  msbs: dst=0 src0=0 src1=1 src2=0
	v_cmp_gt_i32_e64 s84, s83, v49 /*v305*/
	s_set_vgpr_msb 0                        ;  msbs: dst=0 src0=0 src1=0 src2=0
	s_branch .LBB189_112
.LBB189_110:                            ;   in Loop: Header=BB189_78 Depth=2
	s_mov_b32 s84, 0
                                        ; implicit-def: $vgpr84_vgpr85
                                        ; implicit-def: $vgpr72_vgpr73
                                        ; implicit-def: $vgpr80_vgpr81
	s_cbranch_execz .LBB189_112
; %bb.111:                              ;   in Loop: Header=BB189_78 Depth=2
	s_wait_loadcnt_dscnt 0x0
	v_add_nc_u64_e32 v[70:71], v[254:255], v[180:181]
	s_set_vgpr_msb 1                        ;  msbs: dst=0 src0=1 src1=0 src2=0
	v_add_nc_u64_e32 v[82:83], v[2:3] /*v[258:259]*/, v[180:181]
	s_or_b32 s84, s84, exec_lo
	s_set_vgpr_msb 0                        ;  msbs: dst=0 src0=0 src1=0 src2=0
	flat_load_b128 v[78:81], v[4:5] offset:-8
	flat_load_b128 v[70:73], v[70:71] offset:-8
	;; [unrolled: 1-line block ×3, first 2 shown]
.LBB189_112:                            ;   in Loop: Header=BB189_78 Depth=2
	v_mov_b64_e32 v[86:87], 0
	v_mov_b64_e32 v[88:89], 0
	s_wait_xcnt 0x0
	s_and_saveexec_b32 s85, s84
	s_cbranch_execz .LBB189_114
; %bb.113:                              ;   in Loop: Header=BB189_78 Depth=2
	v_add_nc_u64_e32 v[4:5], v[242:243], v[180:181]
	flat_load_b128 v[86:89], v[4:5] offset:-8
.LBB189_114:                            ;   in Loop: Header=BB189_78 Depth=2
	s_wait_xcnt 0x0
	s_or_b32 exec_lo, exec_lo, s85
	s_set_vgpr_msb 1                        ;  msbs: dst=0 src0=1 src1=0 src2=0
	ds_load_b128 v[94:97], v26 /*v282*/
	ds_load_b128 v[90:93], v18 /*v274*/ offset:512
	v_cmp_ne_u32_e32 vcc_lo, 1, v3
	s_and_b32 vcc_lo, exec_lo, vcc_lo
	s_wait_loadcnt_dscnt 0x1
	s_set_vgpr_msb 0                        ;  msbs: dst=0 src0=0 src1=0 src2=0
	v_mul_f64_e32 v[4:5], v[80:81], v[96:97]
	v_mul_f64_e32 v[108:109], v[78:79], v[96:97]
	;; [unrolled: 1-line block ×8, first 2 shown]
	v_fma_f64 v[106:107], v[78:79], v[94:95], -v[4:5]
	v_fmac_f64_e32 v[108:109], v[80:81], v[94:95]
	v_fma_f64 v[110:111], v[70:71], v[94:95], -v[98:99]
	v_fmac_f64_e32 v[112:113], v[72:73], v[94:95]
	;; [unrolled: 2-line block ×4, first 2 shown]
	s_set_vgpr_msb 1                        ;  msbs: dst=0 src0=1 src1=0 src2=0
	ds_load_b128 v[102:105], v18 /*v274*/ offset:528
	ds_load_b128 v[98:101], v18 /*v274*/ offset:544
	ds_load_b128 v[94:97], v18 /*v274*/ offset:560
	s_set_vgpr_msb 0                        ;  msbs: dst=0 src0=0 src1=0 src2=0
	v_add_nc_u64_e32 v[4:5], v[230:231], v[180:181]
	s_set_vgpr_msb 1                        ;  msbs: dst=0 src0=1 src1=0 src2=0
	ds_store_b128 v19 /*v275*/, v[106:109]
	ds_store_b128 v19 /*v275*/, v[110:113] offset:1072
	ds_store_b128 v19 /*v275*/, v[114:117] offset:2144
	;; [unrolled: 1-line block ×3, first 2 shown]
	s_wait_dscnt 0x0
	s_barrier_signal -1
	s_barrier_wait -1
	ds_load_b128 v[166:169], v20 /*v276*/
	ds_load_b128 v[162:165], v20 /*v276*/ offset:16
	ds_load_b128 v[158:161], v20 /*v276*/ offset:32
	;; [unrolled: 1-line block ×3, first 2 shown]
	s_wait_dscnt 0x0
	s_barrier_signal -1
	s_barrier_wait -1
	s_set_vgpr_msb 0                        ;  msbs: dst=0 src0=0 src1=0 src2=0
	s_cbranch_vccnz .LBB189_122
; %bb.115:                              ;   in Loop: Header=BB189_78 Depth=2
	v_mov_b64_e32 v[106:107], 0
	v_mov_b64_e32 v[110:111], 0
	;; [unrolled: 1-line block ×3, first 2 shown]
	s_mov_b32 s84, exec_lo
	s_set_vgpr_msb 4                        ;  msbs: dst=0 src0=0 src1=1 src2=0
	v_cmpx_gt_i32_e64 s83, v50 /*v306*/
	s_set_vgpr_msb 0                        ;  msbs: dst=0 src0=0 src1=0 src2=0
	s_cbranch_execz .LBB189_117
; %bb.116:                              ;   in Loop: Header=BB189_78 Depth=2
	flat_load_b128 v[110:113], v[4:5] offset:-8
.LBB189_117:                            ;   in Loop: Header=BB189_78 Depth=2
	s_wait_xcnt 0x0
	s_or_b32 exec_lo, exec_lo, s84
	v_mov_b64_e32 v[108:109], 0
	s_mov_b32 s84, exec_lo
	s_set_vgpr_msb 4                        ;  msbs: dst=0 src0=0 src1=1 src2=0
	v_cmpx_gt_i32_e64 s83, v51 /*v307*/
	s_set_vgpr_msb 0                        ;  msbs: dst=0 src0=0 src1=0 src2=0
	s_cbranch_execz .LBB189_119
; %bb.118:                              ;   in Loop: Header=BB189_78 Depth=2
	v_add_nc_u64_e32 v[106:107], v[234:235], v[180:181]
	flat_load_b128 v[106:109], v[106:107] offset:-8
.LBB189_119:                            ;   in Loop: Header=BB189_78 Depth=2
	s_wait_xcnt 0x0
	s_or_b32 exec_lo, exec_lo, s84
	v_mov_b64_e32 v[114:115], 0
	v_mov_b64_e32 v[116:117], 0
	s_mov_b32 s84, exec_lo
	s_set_vgpr_msb 4                        ;  msbs: dst=0 src0=0 src1=1 src2=0
	v_cmpx_gt_i32_e64 s83, v52 /*v308*/
	s_set_vgpr_msb 0                        ;  msbs: dst=0 src0=0 src1=0 src2=0
	s_cbranch_execz .LBB189_121
; %bb.120:                              ;   in Loop: Header=BB189_78 Depth=2
	v_add_nc_u64_e32 v[114:115], v[226:227], v[180:181]
	flat_load_b128 v[114:117], v[114:115] offset:-8
.LBB189_121:                            ;   in Loop: Header=BB189_78 Depth=2
	s_wait_xcnt 0x0
	s_or_b32 exec_lo, exec_lo, s84
	s_set_vgpr_msb 4                        ;  msbs: dst=0 src0=0 src1=1 src2=0
	v_cmp_gt_i32_e64 s84, s83, v53 /*v309*/
	s_set_vgpr_msb 0                        ;  msbs: dst=0 src0=0 src1=0 src2=0
	s_branch .LBB189_124
.LBB189_122:                            ;   in Loop: Header=BB189_78 Depth=2
	s_mov_b32 s84, 0
                                        ; implicit-def: $vgpr116_vgpr117
                                        ; implicit-def: $vgpr108_vgpr109
                                        ; implicit-def: $vgpr112_vgpr113
	s_cbranch_execz .LBB189_124
; %bb.123:                              ;   in Loop: Header=BB189_78 Depth=2
	s_wait_loadcnt_dscnt 0x0
	v_add_nc_u64_e32 v[106:107], v[234:235], v[180:181]
	v_add_nc_u64_e32 v[114:115], v[238:239], v[180:181]
	s_or_b32 s84, s84, exec_lo
	flat_load_b128 v[110:113], v[4:5] offset:-8
	flat_load_b128 v[106:109], v[106:107] offset:-8
	flat_load_b128 v[114:117], v[114:115]
.LBB189_124:                            ;   in Loop: Header=BB189_78 Depth=2
	v_mov_b64_e32 v[134:135], 0
	v_mov_b64_e32 v[136:137], 0
	s_wait_xcnt 0x0
	s_and_saveexec_b32 s85, s84
	s_cbranch_execz .LBB189_126
; %bb.125:                              ;   in Loop: Header=BB189_78 Depth=2
	v_add_nc_u64_e32 v[4:5], v[222:223], v[180:181]
	flat_load_b128 v[134:137], v[4:5] offset:-8
.LBB189_126:                            ;   in Loop: Header=BB189_78 Depth=2
	s_wait_xcnt 0x0
	s_or_b32 exec_lo, exec_lo, s85
	v_add_f64_e32 v[4:5], 0, v[166:167]
	v_add_f64_e32 v[166:167], 0, v[168:169]
	s_set_vgpr_msb 4                        ;  msbs: dst=0 src0=0 src1=1 src2=0
	v_cmp_gt_i32_e32 vcc_lo, s83, v6 /*v262*/
	s_or_b32 s75, s75, vcc_lo
	s_delay_alu instid0(SALU_CYCLE_1) | instskip(SKIP_1) | instid1(VALU_DEP_3)
	s_and_b32 s83, s17, s75
	s_set_vgpr_msb 0                        ;  msbs: dst=0 src0=0 src1=0 src2=0
	v_add_f64_e32 v[4:5], v[4:5], v[162:163]
	s_delay_alu instid0(VALU_DEP_3) | instskip(NEXT) | instid1(VALU_DEP_2)
	v_add_f64_e32 v[162:163], v[166:167], v[164:165]
	v_add_f64_e32 v[4:5], v[4:5], v[158:159]
	s_delay_alu instid0(VALU_DEP_2) | instskip(NEXT) | instid1(VALU_DEP_2)
	v_add_f64_e32 v[158:159], v[162:163], v[160:161]
	v_add_f64_e32 v[154:155], v[4:5], v[154:155]
	;; [unrolled: 1-line block ×4, first 2 shown]
	s_delay_alu instid0(VALU_DEP_4) | instskip(NEXT) | instid1(VALU_DEP_3)
	v_add_f64_e32 v[156:157], v[158:159], v[156:157]
	v_add_f64_e32 v[4:5], v[4:5], v[146:147]
	s_delay_alu instid0(VALU_DEP_3) | instskip(NEXT) | instid1(VALU_DEP_2)
	v_add_f64_e32 v[146:147], v[150:151], v[148:149]
	v_add_f64_e32 v[4:5], v[4:5], v[142:143]
	s_delay_alu instid0(VALU_DEP_2) | instskip(NEXT) | instid1(VALU_DEP_2)
	v_add_f64_e32 v[142:143], v[146:147], v[144:145]
	v_add_f64_e32 v[138:139], v[4:5], v[138:139]
	v_add_f64_e32 v[4:5], 0, v[130:131]
	v_add_f64_e32 v[130:131], 0, v[132:133]
	s_delay_alu instid0(VALU_DEP_4) | instskip(NEXT) | instid1(VALU_DEP_3)
	v_add_f64_e32 v[140:141], v[142:143], v[140:141]
	v_add_f64_e32 v[4:5], v[4:5], v[126:127]
	s_delay_alu instid0(VALU_DEP_3) | instskip(NEXT) | instid1(VALU_DEP_2)
	v_add_f64_e32 v[126:127], v[130:131], v[128:129]
	v_add_f64_e32 v[4:5], v[4:5], v[122:123]
	s_delay_alu instid0(VALU_DEP_2) | instskip(NEXT) | instid1(VALU_DEP_2)
	v_add_f64_e32 v[122:123], v[126:127], v[124:125]
	v_add_f64_e32 v[142:143], v[4:5], v[118:119]
	s_delay_alu instid0(VALU_DEP_2)
	v_add_f64_e32 v[144:145], v[122:123], v[120:121]
	s_set_vgpr_msb 1                        ;  msbs: dst=0 src0=1 src1=0 src2=0
	ds_load_b128 v[146:149], v26 /*v282*/
	ds_load_b128 v[130:133], v18 /*v274*/ offset:768
	ds_load_b128 v[126:129], v18 /*v274*/ offset:784
	;; [unrolled: 1-line block ×4, first 2 shown]
	s_wait_loadcnt_dscnt 0x4
	s_set_vgpr_msb 0                        ;  msbs: dst=0 src0=0 src1=0 src2=0
	v_mul_f64_e32 v[4:5], v[112:113], v[148:149]
	v_mul_f64_e32 v[152:153], v[110:111], v[148:149]
	s_delay_alu instid0(VALU_DEP_2) | instskip(NEXT) | instid1(VALU_DEP_2)
	v_fma_f64 v[150:151], v[110:111], v[146:147], -v[4:5]
	v_fmac_f64_e32 v[152:153], v[112:113], v[146:147]
	v_mul_f64_e32 v[4:5], v[108:109], v[148:149]
	s_set_vgpr_msb 1                        ;  msbs: dst=0 src0=1 src1=0 src2=0
	ds_store_b128 v19 /*v275*/, v[150:153]
	s_set_vgpr_msb 0                        ;  msbs: dst=0 src0=0 src1=0 src2=0
	v_mul_f64_e32 v[152:153], v[106:107], v[148:149]
	v_fma_f64 v[150:151], v[106:107], v[146:147], -v[4:5]
	v_mul_f64_e32 v[4:5], v[116:117], v[148:149]
	s_delay_alu instid0(VALU_DEP_3)
	v_fmac_f64_e32 v[152:153], v[108:109], v[146:147]
	s_set_vgpr_msb 1                        ;  msbs: dst=0 src0=1 src1=0 src2=0
	ds_store_b128 v19 /*v275*/, v[150:153] offset:1072
	s_set_vgpr_msb 0                        ;  msbs: dst=0 src0=0 src1=0 src2=0
	v_mul_f64_e32 v[152:153], v[114:115], v[148:149]
	v_fma_f64 v[150:151], v[114:115], v[146:147], -v[4:5]
	v_mul_f64_e32 v[4:5], v[136:137], v[148:149]
	s_delay_alu instid0(VALU_DEP_3)
	v_fmac_f64_e32 v[152:153], v[116:117], v[146:147]
	s_set_vgpr_msb 1                        ;  msbs: dst=0 src0=1 src1=0 src2=0
	ds_store_b128 v19 /*v275*/, v[150:153] offset:2144
	s_set_vgpr_msb 0                        ;  msbs: dst=0 src0=0 src1=0 src2=0
	v_mul_f64_e32 v[152:153], v[134:135], v[148:149]
	v_fma_f64 v[150:151], v[134:135], v[146:147], -v[4:5]
	s_delay_alu instid0(VALU_DEP_2)
	v_fmac_f64_e32 v[152:153], v[136:137], v[146:147]
	s_set_vgpr_msb 1                        ;  msbs: dst=0 src0=1 src1=0 src2=0
	ds_store_b128 v19 /*v275*/, v[150:153] offset:3216
	s_wait_dscnt 0x0
	s_barrier_signal -1
	s_barrier_wait -1
	ds_load_b128 v[146:149], v20 /*v276*/
	ds_load_b128 v[150:153], v20 /*v276*/ offset:16
	ds_load_b128 v[158:161], v20 /*v276*/ offset:32
	;; [unrolled: 1-line block ×3, first 2 shown]
	s_wait_dscnt 0x0
	s_barrier_signal -1
	s_barrier_wait -1
	v_add_f64_e32 v[4:5], 0, v[146:147]
	v_add_f64_e32 v[146:147], 0, v[148:149]
	s_set_vgpr_msb 0                        ;  msbs: dst=0 src0=0 src1=0 src2=0
	s_delay_alu instid0(VALU_DEP_2) | instskip(NEXT) | instid1(VALU_DEP_2)
	v_add_f64_e32 v[4:5], v[4:5], v[150:151]
	v_add_f64_e32 v[146:147], v[146:147], v[152:153]
	s_delay_alu instid0(VALU_DEP_2) | instskip(NEXT) | instid1(VALU_DEP_2)
	v_add_f64_e32 v[4:5], v[4:5], v[158:159]
	v_add_f64_e32 v[148:149], v[146:147], v[160:161]
	;; [unrolled: 3-line block ×3, first 2 shown]
	s_set_vgpr_msb 1                        ;  msbs: dst=0 src0=1 src1=0 src2=0
	ds_store_b128 v25 /*v281*/, v[142:145]
	ds_store_b128 v25 /*v281*/, v[138:141] offset:256
	ds_store_b128 v25 /*v281*/, v[154:157] offset:512
	;; [unrolled: 1-line block ×3, first 2 shown]
	s_wait_dscnt 0x0
	s_barrier_signal -1
	s_barrier_wait -1
	s_and_saveexec_b32 s75, s83
	s_set_vgpr_msb 0                        ;  msbs: dst=0 src0=0 src1=0 src2=0
	s_cbranch_execz .LBB189_128
; %bb.127:                              ;   in Loop: Header=BB189_78 Depth=2
	s_set_vgpr_msb 1                        ;  msbs: dst=0 src0=1 src1=0 src2=0
	ds_load_b128 v[138:141], v21 /*v277*/
	ds_load_b128 v[142:145], v21 /*v277*/ offset:16
	s_wait_dscnt 0x0
	s_set_vgpr_msb 0                        ;  msbs: dst=0 src0=0 src1=0 src2=0
	v_add_f64_e32 v[4:5], v[142:143], v[138:139]
	v_add_f64_e32 v[146:147], v[144:145], v[140:141]
	s_set_vgpr_msb 1                        ;  msbs: dst=0 src0=1 src1=0 src2=0
	ds_load_b128 v[138:141], v21 /*v277*/ offset:32
	ds_load_b128 v[142:145], v21 /*v277*/ offset:48
	s_wait_dscnt 0x1
	s_set_vgpr_msb 0                        ;  msbs: dst=0 src0=0 src1=0 src2=0
	v_add_f64_e32 v[4:5], v[4:5], v[138:139]
	v_add_f64_e32 v[138:139], v[146:147], v[140:141]
	s_wait_dscnt 0x0
	s_delay_alu instid0(VALU_DEP_2) | instskip(NEXT) | instid1(VALU_DEP_2)
	v_add_f64_e32 v[4:5], v[4:5], v[142:143]
	v_add_f64_e32 v[146:147], v[138:139], v[144:145]
	s_set_vgpr_msb 1                        ;  msbs: dst=0 src0=1 src1=0 src2=0
	ds_load_b128 v[138:141], v21 /*v277*/ offset:64
	ds_load_b128 v[142:145], v21 /*v277*/ offset:80
	s_wait_dscnt 0x1
	s_set_vgpr_msb 0                        ;  msbs: dst=0 src0=0 src1=0 src2=0
	v_add_f64_e32 v[4:5], v[4:5], v[138:139]
	v_add_f64_e32 v[138:139], v[146:147], v[140:141]
	s_wait_dscnt 0x0
	s_delay_alu instid0(VALU_DEP_2) | instskip(NEXT) | instid1(VALU_DEP_2)
	;; [unrolled: 11-line block ×6, first 2 shown]
	v_add_f64_e32 v[4:5], v[4:5], v[142:143]
	v_add_f64_e32 v[146:147], v[138:139], v[144:145]
	s_set_vgpr_msb 1                        ;  msbs: dst=0 src0=1 src1=0 src2=0
	ds_load_b128 v[138:141], v21 /*v277*/ offset:224
	ds_load_b128 v[142:145], v22 /*v278*/
	s_wait_dscnt 0x1
	s_set_vgpr_msb 0                        ;  msbs: dst=0 src0=0 src1=0 src2=0
	v_add_f64_e32 v[4:5], v[4:5], v[138:139]
	v_add_f64_e32 v[140:141], v[146:147], v[140:141]
	s_wait_dscnt 0x0
	s_delay_alu instid0(VALU_DEP_2) | instskip(NEXT) | instid1(VALU_DEP_2)
	v_add_f64_e32 v[138:139], v[4:5], v[142:143]
	v_add_f64_e32 v[140:141], v[140:141], v[144:145]
	global_store_b128 v217, v[138:141], s[18:19] scale_offset
.LBB189_128:                            ;   in Loop: Header=BB189_78 Depth=2
	s_wait_xcnt 0x0
	s_or_b32 exec_lo, exec_lo, s75
	v_mul_f64_e32 v[4:5], v[16:17], v[28:29]
	v_mul_f64_e32 v[28:29], v[14:15], v[28:29]
	;; [unrolled: 1-line block ×4, first 2 shown]
	v_add_nc_u64_e32 v[220:221], s[66:67], v[220:221]
	v_add_nc_u64_e32 v[222:223], s[66:67], v[222:223]
	v_add_nc_u64_e32 v[224:225], s[66:67], v[224:225]
	v_add_nc_u64_e32 v[226:227], s[66:67], v[226:227]
	v_add_nc_u64_e32 v[228:229], s[66:67], v[228:229]
	v_add_nc_u64_e32 v[230:231], s[66:67], v[230:231]
	v_add_nc_u64_e32 v[232:233], s[66:67], v[232:233]
	v_add_nc_u64_e32 v[234:235], s[66:67], v[234:235]
	v_add_nc_u64_e32 v[236:237], s[66:67], v[236:237]
	v_add_nc_u64_e32 v[238:239], s[66:67], v[238:239]
	v_add_nc_u64_e32 v[240:241], s[66:67], v[240:241]
	v_add_nc_u64_e32 v[242:243], s[66:67], v[242:243]
	v_add_nc_u64_e32 v[244:245], s[66:67], v[244:245]
	v_add_nc_u64_e32 v[246:247], s[66:67], v[246:247]
	v_add_nc_u64_e32 v[248:249], s[66:67], v[248:249]
	v_add_nc_u64_e32 v[250:251], s[66:67], v[250:251]
	v_add_nc_u64_e32 v[252:253], s[66:67], v[252:253]
	v_add_nc_u64_e32 v[254:255], s[66:67], v[254:255]
	s_set_vgpr_msb 0x44                     ;  msbs: dst=1 src0=0 src1=1 src2=0
	v_add_nc_u64_e32 v[0:1] /*v[256:257]*/, s[66:67], v[0:1] /*v[256:257]*/
	v_add_nc_u64_e32 v[2:3] /*v[258:259]*/, s[66:67], v[2:3] /*v[258:259]*/
	s_add_co_i32 s75, s82, 1
	s_add_co_i32 s82, s82, 2
	;; [unrolled: 1-line block ×3, first 2 shown]
	s_cmp_ge_u32 s82, s40
	s_wait_storecnt 0x0
	s_barrier_signal -1
	s_barrier_wait -1
	s_set_vgpr_msb 0                        ;  msbs: dst=0 src0=0 src1=0 src2=0
	v_dual_fma_f64 v[4:5], v[14:15], v[26:27], -v[4:5] :: v_dual_add_nc_u32 v217, 64, v217
	v_fmac_f64_e32 v[28:29], v[16:17], v[26:27]
	v_mul_f64_e32 v[14:15], v[20:21], v[36:37]
	v_mul_f64_e32 v[16:17], v[18:19], v[36:37]
	v_fma_f64 v[10:11], v[10:11], v[38:39], -v[138:139]
	v_fmac_f64_e32 v[40:41], v[12:13], v[38:39]
	v_mul_f64_e32 v[12:13], v[22:23], v[32:33]
	v_add_f64_e32 v[4:5], v[6:7], v[4:5]
	v_add_f64_e32 v[6:7], v[8:9], v[28:29]
	v_mul_f64_e32 v[8:9], v[24:25], v[32:33]
	v_fma_f64 v[14:15], v[18:19], v[34:35], -v[14:15]
	v_fmac_f64_e32 v[16:17], v[20:21], v[34:35]
	v_mul_f64_e32 v[18:19], v[46:47], v[60:61]
	v_fmac_f64_e32 v[12:13], v[24:25], v[30:31]
	v_add_f64_e32 v[4:5], v[4:5], v[10:11]
	v_mul_f64_e32 v[10:11], v[48:49], v[60:61]
	v_add_f64_e32 v[6:7], v[6:7], v[40:41]
	v_fma_f64 v[8:9], v[22:23], v[30:31], -v[8:9]
	v_fmac_f64_e32 v[18:19], v[48:49], v[58:59]
	v_add_f64_e32 v[4:5], v[4:5], v[14:15]
	v_mul_f64_e32 v[14:15], v[44:45], v[76:77]
	v_add_f64_e32 v[6:7], v[6:7], v[16:17]
	v_mul_f64_e32 v[16:17], v[42:43], v[76:77]
	v_fma_f64 v[10:11], v[46:47], v[58:59], -v[10:11]
	v_add_f64_e32 v[4:5], v[4:5], v[8:9]
	v_mul_f64_e32 v[8:9], v[52:53], v[68:69]
	v_add_f64_e32 v[6:7], v[6:7], v[12:13]
	v_mul_f64_e32 v[12:13], v[50:51], v[68:69]
	v_fma_f64 v[14:15], v[42:43], v[74:75], -v[14:15]
	v_fmac_f64_e32 v[16:17], v[44:45], v[74:75]
	v_add_f64_e32 v[4:5], v[4:5], v[10:11]
	v_mul_f64_e32 v[10:11], v[56:57], v[64:65]
	v_add_f64_e32 v[6:7], v[6:7], v[18:19]
	v_mul_f64_e32 v[18:19], v[54:55], v[64:65]
	v_fma_f64 v[8:9], v[50:51], v[66:67], -v[8:9]
	v_fmac_f64_e32 v[12:13], v[52:53], v[66:67]
	;; [unrolled: 6-line block ×10, first 2 shown]
	v_add_f64_e32 v[4:5], v[4:5], v[10:11]
	v_fma_f64 v[8:9], v[134:135], v[118:119], -v[8:9]
	v_add_f64_e32 v[6:7], v[6:7], v[18:19]
	v_fmac_f64_e32 v[12:13], v[136:137], v[118:119]
	s_delay_alu instid0(VALU_DEP_4) | instskip(NEXT) | instid1(VALU_DEP_3)
	v_add_f64_e32 v[4:5], v[4:5], v[14:15]
	v_add_f64_e32 v[10:11], v[6:7], v[16:17]
	s_delay_alu instid0(VALU_DEP_2) | instskip(NEXT) | instid1(VALU_DEP_2)
	v_add_f64_e32 v[6:7], v[4:5], v[8:9]
	v_add_f64_e32 v[8:9], v[10:11], v[12:13]
	s_cbranch_scc1 .LBB189_130
; %bb.129:                              ;   in Loop: Header=BB189_78 Depth=2
	s_mov_b32 s82, s75
	s_delay_alu instid0(SALU_CYCLE_1)
	s_cmp_eq_u32 s43, s82
	s_cselect_b32 s83, s76, 0
	s_and_saveexec_b32 s84, s0
	s_cbranch_execnz .LBB189_74
	s_branch .LBB189_78
.LBB189_130:                            ;   in Loop: Header=BB189_4 Depth=1
	s_set_vgpr_msb 1                        ;  msbs: dst=0 src0=1 src1=0 src2=0
	ds_store_b128 v23 /*v279*/, v[6:9]
	s_wait_dscnt 0x0
	s_barrier_signal -1
	s_barrier_wait -1
	s_and_saveexec_b32 s74, s80
	s_set_vgpr_msb 0                        ;  msbs: dst=0 src0=0 src1=0 src2=0
	s_cbranch_execz .LBB189_2
; %bb.131:                              ;   in Loop: Header=BB189_4 Depth=1
	s_set_vgpr_msb 1                        ;  msbs: dst=0 src0=1 src1=0 src2=0
	ds_load_b128 v[4:7], v7 /*v263*/ offset:1072
	ds_load_b128 v[8:11], v7 /*v263*/
	s_wait_dscnt 0x0
	s_set_vgpr_msb 0                        ;  msbs: dst=0 src0=0 src1=0 src2=0
	v_add_f64_e32 v[12:13], v[4:5], v[8:9]
	v_add_f64_e32 v[14:15], v[6:7], v[10:11]
	s_set_vgpr_msb 1                        ;  msbs: dst=0 src0=1 src1=0 src2=0
	ds_load_b128 v[4:7], v7 /*v263*/ offset:2144
	ds_load_b128 v[8:11], v7 /*v263*/ offset:3216
	s_wait_dscnt 0x1
	s_set_vgpr_msb 0                        ;  msbs: dst=0 src0=0 src1=0 src2=0
	v_add_f64_e32 v[4:5], v[12:13], v[4:5]
	v_add_f64_e32 v[6:7], v[14:15], v[6:7]
	s_wait_dscnt 0x0
	s_delay_alu instid0(VALU_DEP_2) | instskip(NEXT) | instid1(VALU_DEP_2)
	v_add_f64_e32 v[4:5], v[4:5], v[8:9]
	v_add_f64_e32 v[6:7], v[6:7], v[10:11]
	v_lshl_add_u64 v[8:9], v[170:171], 4, s[18:19]
	global_store_b128 v[8:9], v[4:7], off
	s_branch .LBB189_2
.LBB189_132:                            ;   in Loop: Header=BB189_4 Depth=1
	s_set_vgpr_msb 1                        ;  msbs: dst=0 src0=1 src1=0 src2=0
	ds_load_b128 v[6:9], v10 /*v266*/
	s_wait_dscnt 0x0
	ds_store_b128 v9 /*v265*/, v[6:9]
	s_or_b32 exec_lo, exec_lo, s18
	s_and_saveexec_b32 s18, s7
	s_set_vgpr_msb 0                        ;  msbs: dst=0 src0=0 src1=0 src2=0
	s_cbranch_execz .LBB189_28
.LBB189_133:                            ;   in Loop: Header=BB189_4 Depth=1
	s_set_vgpr_msb 1                        ;  msbs: dst=0 src0=1 src1=0 src2=0
	ds_load_b128 v[6:9], v12 /*v268*/
	s_wait_dscnt 0x0
	ds_store_b128 v30 /*v286*/, v[6:9]
	s_or_b32 exec_lo, exec_lo, s18
	s_and_saveexec_b32 s18, s8
	s_set_vgpr_msb 0                        ;  msbs: dst=0 src0=0 src1=0 src2=0
	s_cbranch_execz .LBB189_29
.LBB189_134:                            ;   in Loop: Header=BB189_4 Depth=1
	s_set_vgpr_msb 1                        ;  msbs: dst=0 src0=1 src1=0 src2=0
	ds_load_b128 v[6:9], v32 /*v288*/
	s_wait_dscnt 0x0
	ds_store_b128 v31 /*v287*/, v[6:9]
	s_or_b32 exec_lo, exec_lo, s18
	s_and_saveexec_b32 s18, s9
	s_set_vgpr_msb 0                        ;  msbs: dst=0 src0=0 src1=0 src2=0
	s_cbranch_execnz .LBB189_30
	s_branch .LBB189_31
.LBB189_135:                            ;   in Loop: Header=BB189_4 Depth=1
	s_set_vgpr_msb 1                        ;  msbs: dst=0 src0=1 src1=0 src2=0
	ds_load_b128 v[12:15], v10 /*v266*/
	s_wait_dscnt 0x0
	ds_store_b128 v16 /*v272*/, v[12:15]
	s_or_b32 exec_lo, exec_lo, s18
	s_and_saveexec_b32 s18, s7
	s_set_vgpr_msb 0                        ;  msbs: dst=0 src0=0 src1=0 src2=0
	s_cbranch_execz .LBB189_49
.LBB189_136:                            ;   in Loop: Header=BB189_4 Depth=1
	s_set_vgpr_msb 1                        ;  msbs: dst=0 src0=1 src1=0 src2=0
	ds_load_b128 v[12:15], v12 /*v268*/
	s_wait_dscnt 0x0
	ds_store_b128 v35 /*v291*/, v[12:15]
	s_or_b32 exec_lo, exec_lo, s18
	s_and_saveexec_b32 s18, s8
	s_set_vgpr_msb 0                        ;  msbs: dst=0 src0=0 src1=0 src2=0
	s_cbranch_execz .LBB189_50
.LBB189_137:                            ;   in Loop: Header=BB189_4 Depth=1
	s_set_vgpr_msb 1                        ;  msbs: dst=0 src0=1 src1=0 src2=0
	ds_load_b128 v[12:15], v32 /*v288*/
	s_wait_dscnt 0x0
	ds_store_b128 v36 /*v292*/, v[12:15]
	s_or_b32 exec_lo, exec_lo, s18
	s_and_saveexec_b32 s18, s9
	s_set_vgpr_msb 0                        ;  msbs: dst=0 src0=0 src1=0 src2=0
	s_cbranch_execnz .LBB189_51
	s_branch .LBB189_52
.LBB189_138:                            ;   in Loop: Header=BB189_4 Depth=1
	flat_load_b128 v[10:13], v[8:9]
	s_wait_loadcnt_dscnt 0x0
	s_set_vgpr_msb 1                        ;  msbs: dst=0 src0=1 src1=0 src2=0
	ds_store_2addr_b64 v8 /*v264*/, v[10:11], v[12:13] offset1:1
	s_wait_xcnt 0x0
	s_or_b32 exec_lo, exec_lo, s18
	s_and_saveexec_b32 s18, s3
	s_delay_alu instid0(SALU_CYCLE_1)
	s_xor_b32 s18, exec_lo, s18
	s_set_vgpr_msb 0                        ;  msbs: dst=0 src0=0 src1=0 src2=0
	s_cbranch_execz .LBB189_17
.LBB189_139:                            ;   in Loop: Header=BB189_4 Depth=1
	v_dual_mov_b32 v3, v2 :: v_dual_mov_b32 v4, v2
	v_mov_b32_e32 v5, v2
	s_set_vgpr_msb 1                        ;  msbs: dst=0 src0=1 src1=0 src2=0
	ds_store_b128 v27 /*v283*/, v[2:5]
	s_and_not1_saveexec_b32 s18, s18
	s_set_vgpr_msb 0                        ;  msbs: dst=0 src0=0 src1=0 src2=0
	s_cbranch_execz .LBB189_18
.LBB189_140:                            ;   in Loop: Header=BB189_4 Depth=1
	v_lshl_add_u64 v[4:5], s[52:53], 4, v[8:9]
	flat_load_b128 v[10:13], v[4:5]
	s_wait_loadcnt_dscnt 0x0
	s_set_vgpr_msb 1                        ;  msbs: dst=0 src0=1 src1=0 src2=0
	ds_store_2addr_b64 v27 /*v283*/, v[10:11], v[12:13] offset1:1
	s_wait_xcnt 0x0
	s_or_b32 exec_lo, exec_lo, s18
	s_and_saveexec_b32 s18, s4
	s_delay_alu instid0(SALU_CYCLE_1)
	s_xor_b32 s18, exec_lo, s18
	s_set_vgpr_msb 0                        ;  msbs: dst=0 src0=0 src1=0 src2=0
	s_cbranch_execz .LBB189_19
.LBB189_141:                            ;   in Loop: Header=BB189_4 Depth=1
	v_dual_mov_b32 v3, v2 :: v_dual_mov_b32 v4, v2
	v_mov_b32_e32 v5, v2
	s_set_vgpr_msb 1                        ;  msbs: dst=0 src0=1 src1=0 src2=0
	ds_store_b128 v28 /*v284*/, v[2:5]
	s_and_not1_saveexec_b32 s18, s18
	s_set_vgpr_msb 0                        ;  msbs: dst=0 src0=0 src1=0 src2=0
	s_cbranch_execz .LBB189_20
.LBB189_142:                            ;   in Loop: Header=BB189_4 Depth=1
	v_lshl_add_u64 v[4:5], s[54:55], 4, v[8:9]
	flat_load_b128 v[10:13], v[4:5]
	s_wait_loadcnt_dscnt 0x0
	s_set_vgpr_msb 1                        ;  msbs: dst=0 src0=1 src1=0 src2=0
	ds_store_2addr_b64 v28 /*v284*/, v[10:11], v[12:13] offset1:1
	s_wait_xcnt 0x0
	s_or_b32 exec_lo, exec_lo, s18
	s_and_saveexec_b32 s18, s5
	s_delay_alu instid0(SALU_CYCLE_1)
	s_xor_b32 s18, exec_lo, s18
	s_set_vgpr_msb 0                        ;  msbs: dst=0 src0=0 src1=0 src2=0
	s_cbranch_execz .LBB189_21
.LBB189_143:                            ;   in Loop: Header=BB189_4 Depth=1
	v_dual_mov_b32 v3, v2 :: v_dual_mov_b32 v4, v2
	v_mov_b32_e32 v5, v2
	s_set_vgpr_msb 1                        ;  msbs: dst=0 src0=1 src1=0 src2=0
	ds_store_b128 v29 /*v285*/, v[2:5]
	s_and_not1_saveexec_b32 s18, s18
	s_set_vgpr_msb 0                        ;  msbs: dst=0 src0=0 src1=0 src2=0
	s_cbranch_execnz .LBB189_22
	s_branch .LBB189_23
.LBB189_144:                            ;   in Loop: Header=BB189_4 Depth=1
	flat_load_b128 v[16:19], v[10:11]
	s_wait_loadcnt_dscnt 0x0
	s_set_vgpr_msb 1                        ;  msbs: dst=0 src0=1 src1=0 src2=0
	ds_store_2addr_b64 v8 /*v264*/, v[16:17], v[18:19] offset1:1
	s_wait_xcnt 0x0
	s_or_b32 exec_lo, exec_lo, s18
	s_and_saveexec_b32 s18, s13
	s_delay_alu instid0(SALU_CYCLE_1)
	s_xor_b32 s18, exec_lo, s18
	s_set_vgpr_msb 0                        ;  msbs: dst=0 src0=0 src1=0 src2=0
	s_cbranch_execz .LBB189_38
.LBB189_145:                            ;   in Loop: Header=BB189_4 Depth=1
	v_dual_mov_b32 v3, v2 :: v_dual_mov_b32 v4, v2
	v_mov_b32_e32 v5, v2
	s_set_vgpr_msb 1                        ;  msbs: dst=0 src0=1 src1=0 src2=0
	ds_store_b128 v27 /*v283*/, v[2:5]
	s_and_not1_saveexec_b32 s18, s18
	s_set_vgpr_msb 0                        ;  msbs: dst=0 src0=0 src1=0 src2=0
	s_cbranch_execz .LBB189_39
.LBB189_146:                            ;   in Loop: Header=BB189_4 Depth=1
	v_lshl_add_u64 v[4:5], s[52:53], 4, v[10:11]
	flat_load_b128 v[16:19], v[4:5]
	s_wait_loadcnt_dscnt 0x0
	s_set_vgpr_msb 1                        ;  msbs: dst=0 src0=1 src1=0 src2=0
	ds_store_2addr_b64 v27 /*v283*/, v[16:17], v[18:19] offset1:1
	s_wait_xcnt 0x0
	s_or_b32 exec_lo, exec_lo, s18
	s_and_saveexec_b32 s18, s14
	s_delay_alu instid0(SALU_CYCLE_1)
	s_xor_b32 s18, exec_lo, s18
	s_set_vgpr_msb 0                        ;  msbs: dst=0 src0=0 src1=0 src2=0
	s_cbranch_execz .LBB189_40
.LBB189_147:                            ;   in Loop: Header=BB189_4 Depth=1
	v_dual_mov_b32 v3, v2 :: v_dual_mov_b32 v4, v2
	v_mov_b32_e32 v5, v2
	s_set_vgpr_msb 1                        ;  msbs: dst=0 src0=1 src1=0 src2=0
	ds_store_b128 v28 /*v284*/, v[2:5]
	s_and_not1_saveexec_b32 s18, s18
	s_set_vgpr_msb 0                        ;  msbs: dst=0 src0=0 src1=0 src2=0
	s_cbranch_execz .LBB189_41
.LBB189_148:                            ;   in Loop: Header=BB189_4 Depth=1
	v_lshl_add_u64 v[4:5], s[54:55], 4, v[10:11]
	flat_load_b128 v[16:19], v[4:5]
	s_wait_loadcnt_dscnt 0x0
	s_set_vgpr_msb 1                        ;  msbs: dst=0 src0=1 src1=0 src2=0
	ds_store_2addr_b64 v28 /*v284*/, v[16:17], v[18:19] offset1:1
	s_wait_xcnt 0x0
	s_or_b32 exec_lo, exec_lo, s18
	s_and_saveexec_b32 s18, s15
	s_delay_alu instid0(SALU_CYCLE_1)
	s_xor_b32 s18, exec_lo, s18
	s_set_vgpr_msb 0                        ;  msbs: dst=0 src0=0 src1=0 src2=0
	s_cbranch_execz .LBB189_42
.LBB189_149:                            ;   in Loop: Header=BB189_4 Depth=1
	v_dual_mov_b32 v3, v2 :: v_dual_mov_b32 v4, v2
	v_mov_b32_e32 v5, v2
	s_set_vgpr_msb 1                        ;  msbs: dst=0 src0=1 src1=0 src2=0
	ds_store_b128 v29 /*v285*/, v[2:5]
	s_and_not1_saveexec_b32 s18, s18
	s_set_vgpr_msb 0                        ;  msbs: dst=0 src0=0 src1=0 src2=0
	s_cbranch_execnz .LBB189_43
	s_branch .LBB189_44
.LBB189_150:                            ;   in Loop: Header=BB189_4 Depth=1
	flat_load_b128 v[16:19], v[14:15]
	s_wait_loadcnt_dscnt 0x0
	s_set_vgpr_msb 1                        ;  msbs: dst=0 src0=1 src1=0 src2=0
	ds_store_2addr_b64 v8 /*v264*/, v[16:17], v[18:19] offset1:1
	s_wait_xcnt 0x0
	s_or_b32 exec_lo, exec_lo, s18
	s_and_saveexec_b32 s18, s13
	s_delay_alu instid0(SALU_CYCLE_1)
	s_xor_b32 s18, exec_lo, s18
	s_set_vgpr_msb 0                        ;  msbs: dst=0 src0=0 src1=0 src2=0
	s_cbranch_execz .LBB189_59
.LBB189_151:                            ;   in Loop: Header=BB189_4 Depth=1
	v_dual_mov_b32 v3, v2 :: v_dual_mov_b32 v4, v2
	v_mov_b32_e32 v5, v2
	s_set_vgpr_msb 1                        ;  msbs: dst=0 src0=1 src1=0 src2=0
	ds_store_b128 v27 /*v283*/, v[2:5]
	s_and_not1_saveexec_b32 s18, s18
	s_set_vgpr_msb 0                        ;  msbs: dst=0 src0=0 src1=0 src2=0
	s_cbranch_execz .LBB189_60
.LBB189_152:                            ;   in Loop: Header=BB189_4 Depth=1
	v_lshl_add_u64 v[4:5], s[52:53], 4, v[14:15]
	flat_load_b128 v[16:19], v[4:5]
	s_wait_loadcnt_dscnt 0x0
	s_set_vgpr_msb 1                        ;  msbs: dst=0 src0=1 src1=0 src2=0
	ds_store_2addr_b64 v27 /*v283*/, v[16:17], v[18:19] offset1:1
	s_wait_xcnt 0x0
	s_or_b32 exec_lo, exec_lo, s18
	s_and_saveexec_b32 s18, s14
	s_delay_alu instid0(SALU_CYCLE_1)
	s_xor_b32 s18, exec_lo, s18
	s_set_vgpr_msb 0                        ;  msbs: dst=0 src0=0 src1=0 src2=0
	s_cbranch_execz .LBB189_61
.LBB189_153:                            ;   in Loop: Header=BB189_4 Depth=1
	v_dual_mov_b32 v3, v2 :: v_dual_mov_b32 v4, v2
	v_mov_b32_e32 v5, v2
	s_set_vgpr_msb 1                        ;  msbs: dst=0 src0=1 src1=0 src2=0
	ds_store_b128 v28 /*v284*/, v[2:5]
	s_and_not1_saveexec_b32 s18, s18
	s_set_vgpr_msb 0                        ;  msbs: dst=0 src0=0 src1=0 src2=0
	s_cbranch_execz .LBB189_62
.LBB189_154:                            ;   in Loop: Header=BB189_4 Depth=1
	v_lshl_add_u64 v[4:5], s[54:55], 4, v[14:15]
	flat_load_b128 v[16:19], v[4:5]
	s_wait_loadcnt_dscnt 0x0
	s_set_vgpr_msb 1                        ;  msbs: dst=0 src0=1 src1=0 src2=0
	ds_store_2addr_b64 v28 /*v284*/, v[16:17], v[18:19] offset1:1
	s_wait_xcnt 0x0
	s_or_b32 exec_lo, exec_lo, s18
	s_and_saveexec_b32 s18, s15
	s_delay_alu instid0(SALU_CYCLE_1)
	s_xor_b32 s18, exec_lo, s18
	s_set_vgpr_msb 0                        ;  msbs: dst=0 src0=0 src1=0 src2=0
	s_cbranch_execz .LBB189_63
.LBB189_155:                            ;   in Loop: Header=BB189_4 Depth=1
	v_dual_mov_b32 v3, v2 :: v_dual_mov_b32 v4, v2
	v_mov_b32_e32 v5, v2
	s_set_vgpr_msb 1                        ;  msbs: dst=0 src0=1 src1=0 src2=0
	ds_store_b128 v29 /*v285*/, v[2:5]
	s_and_not1_saveexec_b32 s18, s18
	s_set_vgpr_msb 0                        ;  msbs: dst=0 src0=0 src1=0 src2=0
	s_cbranch_execnz .LBB189_64
	s_branch .LBB189_65
.LBB189_156:
	s_sendmsg sendmsg(MSG_DEALLOC_VGPRS)
	s_endpgm
	.section	.rodata,"a",@progbits
	.p2align	6, 0x0
	.amdhsa_kernel _ZL26rocblas_hemvn_kernel_upperILb0ELi64ELi4ELi33ELi32ELi16EiPK19rocblas_complex_numIdEPKS3_PS1_EviT6_lT7_lT5_lS8_lS9_lS7_lT8_i
		.amdhsa_group_segment_fixed_size 19200
		.amdhsa_private_segment_fixed_size 0
		.amdhsa_kernarg_size 376
		.amdhsa_user_sgpr_count 2
		.amdhsa_user_sgpr_dispatch_ptr 0
		.amdhsa_user_sgpr_queue_ptr 0
		.amdhsa_user_sgpr_kernarg_segment_ptr 1
		.amdhsa_user_sgpr_dispatch_id 0
		.amdhsa_user_sgpr_kernarg_preload_length 0
		.amdhsa_user_sgpr_kernarg_preload_offset 0
		.amdhsa_user_sgpr_private_segment_size 0
		.amdhsa_wavefront_size32 1
		.amdhsa_uses_dynamic_stack 0
		.amdhsa_enable_private_segment 0
		.amdhsa_system_sgpr_workgroup_id_x 1
		.amdhsa_system_sgpr_workgroup_id_y 0
		.amdhsa_system_sgpr_workgroup_id_z 1
		.amdhsa_system_sgpr_workgroup_info 0
		.amdhsa_system_vgpr_workitem_id 1
		.amdhsa_next_free_vgpr 311
		.amdhsa_next_free_sgpr 100
		.amdhsa_named_barrier_count 0
		.amdhsa_reserve_vcc 1
		.amdhsa_float_round_mode_32 0
		.amdhsa_float_round_mode_16_64 0
		.amdhsa_float_denorm_mode_32 3
		.amdhsa_float_denorm_mode_16_64 3
		.amdhsa_fp16_overflow 0
		.amdhsa_memory_ordered 1
		.amdhsa_forward_progress 1
		.amdhsa_inst_pref_size 82
		.amdhsa_round_robin_scheduling 0
		.amdhsa_exception_fp_ieee_invalid_op 0
		.amdhsa_exception_fp_denorm_src 0
		.amdhsa_exception_fp_ieee_div_zero 0
		.amdhsa_exception_fp_ieee_overflow 0
		.amdhsa_exception_fp_ieee_underflow 0
		.amdhsa_exception_fp_ieee_inexact 0
		.amdhsa_exception_int_div_zero 0
	.end_amdhsa_kernel
	.section	.text._ZL26rocblas_hemvn_kernel_upperILb0ELi64ELi4ELi33ELi32ELi16EiPK19rocblas_complex_numIdEPKS3_PS1_EviT6_lT7_lT5_lS8_lS9_lS7_lT8_i,"axG",@progbits,_ZL26rocblas_hemvn_kernel_upperILb0ELi64ELi4ELi33ELi32ELi16EiPK19rocblas_complex_numIdEPKS3_PS1_EviT6_lT7_lT5_lS8_lS9_lS7_lT8_i,comdat
.Lfunc_end189:
	.size	_ZL26rocblas_hemvn_kernel_upperILb0ELi64ELi4ELi33ELi32ELi16EiPK19rocblas_complex_numIdEPKS3_PS1_EviT6_lT7_lT5_lS8_lS9_lS7_lT8_i, .Lfunc_end189-_ZL26rocblas_hemvn_kernel_upperILb0ELi64ELi4ELi33ELi32ELi16EiPK19rocblas_complex_numIdEPKS3_PS1_EviT6_lT7_lT5_lS8_lS9_lS7_lT8_i
                                        ; -- End function
	.set _ZL26rocblas_hemvn_kernel_upperILb0ELi64ELi4ELi33ELi32ELi16EiPK19rocblas_complex_numIdEPKS3_PS1_EviT6_lT7_lT5_lS8_lS9_lS7_lT8_i.num_vgpr, 311
	.set _ZL26rocblas_hemvn_kernel_upperILb0ELi64ELi4ELi33ELi32ELi16EiPK19rocblas_complex_numIdEPKS3_PS1_EviT6_lT7_lT5_lS8_lS9_lS7_lT8_i.num_agpr, 0
	.set _ZL26rocblas_hemvn_kernel_upperILb0ELi64ELi4ELi33ELi32ELi16EiPK19rocblas_complex_numIdEPKS3_PS1_EviT6_lT7_lT5_lS8_lS9_lS7_lT8_i.numbered_sgpr, 100
	.set _ZL26rocblas_hemvn_kernel_upperILb0ELi64ELi4ELi33ELi32ELi16EiPK19rocblas_complex_numIdEPKS3_PS1_EviT6_lT7_lT5_lS8_lS9_lS7_lT8_i.num_named_barrier, 0
	.set _ZL26rocblas_hemvn_kernel_upperILb0ELi64ELi4ELi33ELi32ELi16EiPK19rocblas_complex_numIdEPKS3_PS1_EviT6_lT7_lT5_lS8_lS9_lS7_lT8_i.private_seg_size, 0
	.set _ZL26rocblas_hemvn_kernel_upperILb0ELi64ELi4ELi33ELi32ELi16EiPK19rocblas_complex_numIdEPKS3_PS1_EviT6_lT7_lT5_lS8_lS9_lS7_lT8_i.uses_vcc, 1
	.set _ZL26rocblas_hemvn_kernel_upperILb0ELi64ELi4ELi33ELi32ELi16EiPK19rocblas_complex_numIdEPKS3_PS1_EviT6_lT7_lT5_lS8_lS9_lS7_lT8_i.uses_flat_scratch, 0
	.set _ZL26rocblas_hemvn_kernel_upperILb0ELi64ELi4ELi33ELi32ELi16EiPK19rocblas_complex_numIdEPKS3_PS1_EviT6_lT7_lT5_lS8_lS9_lS7_lT8_i.has_dyn_sized_stack, 0
	.set _ZL26rocblas_hemvn_kernel_upperILb0ELi64ELi4ELi33ELi32ELi16EiPK19rocblas_complex_numIdEPKS3_PS1_EviT6_lT7_lT5_lS8_lS9_lS7_lT8_i.has_recursion, 0
	.set _ZL26rocblas_hemvn_kernel_upperILb0ELi64ELi4ELi33ELi32ELi16EiPK19rocblas_complex_numIdEPKS3_PS1_EviT6_lT7_lT5_lS8_lS9_lS7_lT8_i.has_indirect_call, 0
	.section	.AMDGPU.csdata,"",@progbits
; Kernel info:
; codeLenInByte = 10488
; TotalNumSgprs: 102
; NumVgprs: 311
; ScratchSize: 0
; MemoryBound: 1
; FloatMode: 240
; IeeeMode: 1
; LDSByteSize: 19200 bytes/workgroup (compile time only)
; SGPRBlocks: 0
; VGPRBlocks: 19
; NumSGPRsForWavesPerEU: 102
; NumVGPRsForWavesPerEU: 311
; NamedBarCnt: 0
; Occupancy: 3
; WaveLimiterHint : 0
; COMPUTE_PGM_RSRC2:SCRATCH_EN: 0
; COMPUTE_PGM_RSRC2:USER_SGPR: 2
; COMPUTE_PGM_RSRC2:TRAP_HANDLER: 0
; COMPUTE_PGM_RSRC2:TGID_X_EN: 1
; COMPUTE_PGM_RSRC2:TGID_Y_EN: 0
; COMPUTE_PGM_RSRC2:TGID_Z_EN: 1
; COMPUTE_PGM_RSRC2:TIDIG_COMP_CNT: 1
	.section	.text._ZL26rocblas_hemvn_kernel_upperILb0ELi64ELi4ELi33ELi32ELi16El19rocblas_complex_numIdEPKPKS1_PS1_EviT6_lT7_lT5_lS8_lS9_lS7_lT8_i,"axG",@progbits,_ZL26rocblas_hemvn_kernel_upperILb0ELi64ELi4ELi33ELi32ELi16El19rocblas_complex_numIdEPKPKS1_PS1_EviT6_lT7_lT5_lS8_lS9_lS7_lT8_i,comdat
	.globl	_ZL26rocblas_hemvn_kernel_upperILb0ELi64ELi4ELi33ELi32ELi16El19rocblas_complex_numIdEPKPKS1_PS1_EviT6_lT7_lT5_lS8_lS9_lS7_lT8_i ; -- Begin function _ZL26rocblas_hemvn_kernel_upperILb0ELi64ELi4ELi33ELi32ELi16El19rocblas_complex_numIdEPKPKS1_PS1_EviT6_lT7_lT5_lS8_lS9_lS7_lT8_i
	.p2align	8
	.type	_ZL26rocblas_hemvn_kernel_upperILb0ELi64ELi4ELi33ELi32ELi16El19rocblas_complex_numIdEPKPKS1_PS1_EviT6_lT7_lT5_lS8_lS9_lS7_lT8_i,@function
_ZL26rocblas_hemvn_kernel_upperILb0ELi64ELi4ELi33ELi32ELi16El19rocblas_complex_numIdEPKPKS1_PS1_EviT6_lT7_lT5_lS8_lS9_lS7_lT8_i: ; @_ZL26rocblas_hemvn_kernel_upperILb0ELi64ELi4ELi33ELi32ELi16El19rocblas_complex_numIdEPKPKS1_PS1_EviT6_lT7_lT5_lS8_lS9_lS7_lT8_i
; %bb.0:
	s_clause 0x1
	s_load_b64 s[4:5], s[0:1], 0x94
	s_load_b32 s33, s[0:1], 0x80
	s_bfe_u32 s2, ttmp6, 0x40014
	s_lshr_b32 s3, ttmp7, 16
	s_add_co_i32 s2, s2, 1
	s_bfe_u32 s6, ttmp6, 0x40008
	s_mul_i32 s7, s3, s2
	s_getreg_b32 s2, hwreg(HW_REG_IB_STS2, 6, 4)
	s_add_co_i32 s6, s6, s7
	s_mov_b32 s19, 0
	s_wait_kmcnt 0x0
	s_lshr_b32 s7, s4, 16
	s_and_b32 s4, s4, 0xffff
	s_and_b32 s5, s5, 0xffff
	s_mul_i32 s4, s7, s4
	s_cmp_eq_u32 s2, 0
	s_mul_i32 s4, s4, s5
	s_cselect_b32 s18, s3, s6
	s_cmp_lg_u32 s4, 0x100
	s_cselect_b32 s3, -1, 0
	s_cmp_ge_u32 s18, s33
	s_cselect_b32 s4, -1, 0
	s_delay_alu instid0(SALU_CYCLE_1) | instskip(NEXT) | instid1(SALU_CYCLE_1)
	s_or_b32 s3, s3, s4
	s_and_b32 vcc_lo, exec_lo, s3
	s_cbranch_vccnz .LBB190_156
; %bb.1:
	s_clause 0x3
	s_load_b128 s[4:7], s[0:1], 0x8
	s_load_b128 s[12:15], s[0:1], 0x60
	s_load_b32 s10, s[0:1], 0x0
	s_load_b64 s[8:9], s[0:1], 0x78
	s_add_nc_u64 s[16:17], s[0:1], 0x88
	s_clause 0x3
	s_load_b128 s[20:23], s[0:1], 0x20
	s_load_b64 s[56:57], s[0:1], 0x30
	s_load_b64 s[28:29], s[0:1], 0x50
	s_load_b128 s[24:27], s[0:1], 0x40
	s_load_b32 s30, s[16:17], 0x0
	s_wait_xcnt 0x0
	s_bfe_u32 s0, ttmp6, 0x4000c
	s_and_b32 s1, ttmp6, 15
	s_add_co_i32 s0, s0, 1
	v_bfe_u32 v3, v0, 10, 10
	s_set_vgpr_msb 64                       ;  msbs: dst=1 src0=0 src1=0 src2=0
	v_and_b32_e32 v6 /*v262*/, 0x3ff, v0
	s_mov_b32 s31, s19
	s_set_vgpr_msb 0                        ;  msbs: dst=0 src0=0 src1=0 src2=0
	v_and_b32_e32 v6, 31, v0
	s_mov_b64 s[58:59], 0xfffffffffffffe00
	v_dual_lshlrev_b32 v4, 6, v3 :: v_dual_mov_b32 v2, 0
	s_mov_b64 s[60:61], 0xfffffffffffffdf0
	s_set_vgpr_msb 64                       ;  msbs: dst=1 src0=0 src1=0 src2=0
	v_lshlrev_b32_e32 v20 /*v276*/, 2, v3
	s_set_vgpr_msb 0                        ;  msbs: dst=0 src0=0 src1=0 src2=0
	v_lshlrev_b32_e32 v224, 4, v6
	s_wait_kmcnt 0x0
	v_cmp_eq_f64_e64 s3, s[4:5], 0
	v_cmp_eq_f64_e64 s4, s[6:7], 0
	v_cmp_neq_f64_e64 s5, s[12:13], 1.0
	v_cmp_neq_f64_e64 s6, s[14:15], 0
	s_mul_i32 s7, ttmp9, s0
	s_ashr_i32 s11, s10, 31
	s_add_co_i32 s1, s1, s7
	s_cmp_eq_u32 s2, 0
	s_set_vgpr_msb 4                        ;  msbs: dst=0 src0=0 src1=1 src2=0
	v_add_nc_u32_e32 v1, v4, v6 /*v262*/
	s_cselect_b32 s36, ttmp9, s1
	s_lshr_b32 s1, s11, 26
	s_add_co_i32 s2, s30, -1
	s_add_co_i32 s1, s10, s1
	s_mul_u64 s[34:35], s[30:31], s[10:11]
	s_and_not1_b32 s1, s1, 63
	s_lshl_b32 s62, s36, 6
	s_sub_co_i32 s31, s10, s1
	s_set_vgpr_msb 0                        ;  msbs: dst=0 src0=0 src1=0 src2=0
	v_dual_mov_b32 v7, v2 :: v_dual_lshrrev_b32 v40, 5, v1
	v_lshlrev_b32_e32 v41, 4, v6
	s_set_vgpr_msb 4                        ;  msbs: dst=0 src0=0 src1=1 src2=0
	v_dual_lshlrev_b32 v186, 4, v6 /*v262*/ :: v_dual_add_nc_u32 v190, s62, v6 /*v262*/
	s_set_vgpr_msb 0                        ;  msbs: dst=0 src0=0 src1=0 src2=0
	v_dual_mov_b32 v5, v2 :: v_dual_lshlrev_b32 v45, 6, v40
	v_dual_add_nc_u32 v42, 8, v40 :: v_dual_add_nc_u32 v43, 16, v40
	s_delay_alu instid0(VALU_DEP_3)
	v_dual_ashrrev_i32 v191, 31, v190 :: v_dual_add_nc_u32 v44, 24, v40
	v_lshlrev_b32_e32 v12, 2, v40
	v_lshl_or_b32 v8, v6, 9, v41
	v_dual_mov_b32 v187, v2 :: v_dual_bitop2_b32 v46, 32, v6 bitop3:0x54
	v_add_nc_u64_e32 v[10:11], 0x530, v[4:5]
	s_and_b32 s68, s3, s4
	v_or_b32_e32 v13, 1, v12
	s_or_b32 s69, s5, s6
	s_cmp_eq_u32 s36, s2
	v_cmp_gt_u32_e64 s6, v12, v6
	s_cselect_b32 s38, s31, 0
	s_set_vgpr_msb 64                       ;  msbs: dst=1 src0=0 src1=0 src2=0
	v_add_nc_u32_e32 v8 /*v264*/, v8, v45
	s_cmp_lg_u32 s38, 0
	s_set_vgpr_msb 4                        ;  msbs: dst=0 src0=0 src1=1 src2=0
	v_cmp_gt_i32_e32 vcc_lo, s38, v6 /*v262*/
	s_cselect_b32 s70, -1, 0
	s_cmp_eq_u32 s38, 0
	s_set_vgpr_msb 0                        ;  msbs: dst=0 src0=0 src1=0 src2=0
	v_add_nc_u64_e32 v[8:9], 0x220, v[4:5]
	s_cselect_b32 s3, -1, 0
	s_ashr_i32 s37, s36, 31
	s_sub_co_i32 s16, s38, 32
	s_mul_u64 s[4:5], s[10:11], s[36:37]
	s_or_b32 s54, s3, vcc_lo
	s_lshl_b64 s[4:5], s[4:5], 4
	v_cmp_le_i32_e64 s3, s38, v42
	s_add_nc_u64 s[42:43], s[8:9], s[4:5]
	v_cmp_le_i32_e64 s4, s38, v43
	v_cmp_le_i32_e64 s11, s16, v42
	;; [unrolled: 1-line block ×3, first 2 shown]
	v_dual_lshrrev_b32 v42, 4, v1 :: v_dual_bitop2_b32 v14, 2, v12 bitop3:0x54
	v_and_b32_e32 v43, 48, v0
	v_or_b32_e32 v15, 3, v12
	v_cmp_ge_u32_e64 s7, v12, v6
	s_set_vgpr_msb 64                       ;  msbs: dst=1 src0=0 src1=0 src2=0
	v_mad_u32_u24 v9 /*v265*/, 0x210, v13, v41
	s_set_vgpr_msb 0                        ;  msbs: dst=0 src0=0 src1=0 src2=0
	v_add_nc_u64_e32 v[12:13], 0x210, v[4:5]
	v_add_nc_u64_e32 v[16:17], 0x200, v[4:5]
	;; [unrolled: 1-line block ×13, first 2 shown]
	v_cmp_gt_i32_e64 s10, s38, v46
	v_lshlrev_b32_e32 v46, 6, v42
	v_cmp_gt_u32_e64 s8, v14, v6
	v_lshlrev_b32_e32 v43, 4, v43
	v_cmp_gt_u32_e64 s9, v15, v6
	v_add_nc_u64_e32 v[14:15], 0x500, v[4:5]
	v_mul_u64_e32 v[8:9], s[56:57], v[8:9]
	v_mul_u64_e32 v[10:11], s[56:57], v[10:11]
	;; [unrolled: 1-line block ×16, first 2 shown]
	v_mad_nc_u64_u32 v[188:189], s56, v40, v[6:7]
	s_set_vgpr_msb 64                       ;  msbs: dst=1 src0=0 src1=0 src2=0
	v_add_nc_u32_e32 v11 /*v267*/, 0x4300, v4
	s_set_vgpr_msb 0                        ;  msbs: dst=0 src0=0 src1=0 src2=0
	v_mul_u64_e32 v[226:227], s[28:29], v[190:191]
	s_set_vgpr_msb 64                       ;  msbs: dst=1 src0=0 src1=0 src2=0
	v_mad_u32_u24 v7 /*v263*/, 0x210, v40, v41
	v_cmp_le_i32_e64 s5, s38, v44
	v_mad_u32_u24 v10 /*v266*/, 0x840, v40, v41
	s_set_vgpr_msb 0                        ;  msbs: dst=0 src0=0 src1=0 src2=0
	v_mul_u32_u24_e32 v41, 33, v6
	v_cmp_le_i32_e64 s13, s16, v44
	v_cmp_gt_u32_e64 s14, 32, v1
	v_and_b32_e32 v44, 15, v0
	v_cmp_gt_u32_e64 s15, 64, v1
	v_mad_u32 v189, s57, v40, v189
	v_cmp_eq_u32_e64 s0, 0, v3
	v_sub_nc_u64_e32 v[222:223], 0, v[6:7]
	s_set_vgpr_msb 64                       ;  msbs: dst=1 src0=0 src1=0 src2=0
	v_mad_u32_u24 v14 /*v270*/, 0x430, v44, v46
	v_lshlrev_b32_e32 v13 /*v269*/, 4, v41
	s_ashr_i32 s63, s62, 31
	s_add_co_i32 s55, s36, 1
	v_cmp_gt_i32_e64 s1, s38, v6
	v_cmp_le_i32_e64 s2, s38, v40
	s_ashr_i32 s39, s38, 31
	s_xor_b32 s37, s54, -1
	s_set_vgpr_msb 0                        ;  msbs: dst=0 src0=0 src1=0 src2=0
	v_lshlrev_b64_e32 v[4:5], 4, v[188:189]
	s_lshl_b64 s[44:45], s[56:57], 7
	s_lshl_b64 s[46:47], s[56:57], 8
	s_set_vgpr_msb 64                       ;  msbs: dst=1 src0=0 src1=0 src2=0
	v_add_nc_u32_e32 v12 /*v268*/, 0x4700, v45
	v_mad_u32_u24 v15 /*v271*/, 0x430, v44, v43
	s_lshl_b64 s[50:51], s[56:57], 5
	v_cmp_le_i32_e64 s16, s16, v40
	s_set_vgpr_msb 0                        ;  msbs: dst=0 src0=0 src1=0 src2=0
	v_sub_nc_u64_e32 v[0:1], v[8:9], v[4:5]
	v_sub_nc_u64_e32 v[192:193], v[10:11], v[4:5]
	;; [unrolled: 1-line block ×16, first 2 shown]
	v_or_b32_e32 v4, 0xf0, v186
	v_mul_i32_i24_e32 v5, 0xffffffd0, v40
	v_cmp_eq_u32_e64 s17, 1, v40
	s_set_vgpr_msb 64                       ;  msbs: dst=1 src0=0 src1=0 src2=0
	v_mad_u32_u24 v21 /*v277*/, 0x10c0, v3, v186
	v_mad_u32_u24 v22 /*v278*/, 0x430, v3, v186
	;; [unrolled: 1-line block ×3, first 2 shown]
	s_set_vgpr_msb 0                        ;  msbs: dst=0 src0=0 src1=0 src2=0
	v_lshlrev_b32_e32 v4, 4, v40
	v_or_b32_e32 v0, 8, v0
	v_or_b32_e32 v192, 8, v192
	;; [unrolled: 1-line block ×4, first 2 shown]
	s_set_vgpr_msb 0x41                     ;  msbs: dst=1 src0=1 src1=0 src2=0
	v_add_nc_u32_e32 v18 /*v274*/, v13 /*v269*/, v4
	v_add_nc_u32_e32 v19 /*v275*/, 0x4700, v4
	s_set_vgpr_msb 0                        ;  msbs: dst=0 src0=0 src1=0 src2=0
	v_mul_i32_i24_e32 v4, 0xffffffd0, v42
	v_or_b32_e32 v206, 8, v206
	v_or_b32_e32 v208, 8, v208
	;; [unrolled: 1-line block ×4, first 2 shown]
	s_set_vgpr_msb 0x41                     ;  msbs: dst=1 src0=1 src1=0 src2=0
	v_dual_add_nc_u32 v24 /*v280*/, v14 /*v270*/, v4 :: v_dual_add_nc_u32 v17 /*v273*/, v13 /*v269*/, v45
	s_set_vgpr_msb 0                        ;  msbs: dst=0 src0=0 src1=0 src2=0
	v_or_b32_e32 v220, 8, v220
	s_set_vgpr_msb 64                       ;  msbs: dst=1 src0=0 src1=0 src2=0
	v_add_nc_u32_e32 v25 /*v281*/, 0x4700, v186
	s_set_vgpr_msb 0x44                     ;  msbs: dst=1 src0=0 src1=1 src2=0
	v_add_nc_u32_e32 v26 /*v282*/, 0x1080, v7 /*v263*/
	v_add_nc_u32_e32 v27 /*v283*/, 0x2100, v7 /*v263*/
	s_set_vgpr_msb 0x41                     ;  msbs: dst=1 src0=1 src1=0 src2=0
	v_add_nc_u32_e32 v23 /*v279*/, v17 /*v273*/, v5
	s_set_vgpr_msb 0x44                     ;  msbs: dst=1 src0=0 src1=1 src2=0
	v_add_nc_u32_e32 v28 /*v284*/, 0x3180, v7 /*v263*/
	v_dual_add_nc_u32 v29 /*v285*/, 16, v8 /*v264*/ :: v_dual_add_nc_u32 v30 /*v286*/, 32, v8 /*v264*/
	v_add_nc_u32_e32 v31 /*v287*/, 0x210, v9 /*v265*/
	v_dual_add_nc_u32 v32 /*v288*/, 48, v8 /*v264*/ :: v_dual_add_nc_u32 v34 /*v290*/, 16, v17 /*v273*/
	;; [unrolled: 2-line block ×3, first 2 shown]
	s_set_vgpr_msb 64                       ;  msbs: dst=1 src0=0 src1=0 src2=0
	v_add_nc_u32_e32 v37 /*v293*/, 0x4300, v186
	s_set_vgpr_msb 0x44                     ;  msbs: dst=1 src0=0 src1=1 src2=0
	v_dual_add_nc_u32 v41 /*v297*/, 16, v20 /*v276*/ :: v_dual_bitop2_b32 v38 /*v294*/, 1, v20 /*v276*/ bitop3:0x54
	v_dual_add_nc_u32 v42 /*v298*/, 17, v20 /*v276*/ :: v_dual_bitop2_b32 v39 /*v295*/, 2, v20 /*v276*/ bitop3:0x54
	;; [unrolled: 1-line block ×3, first 2 shown]
	v_dual_add_nc_u32 v44 /*v300*/, 19, v20 /*v276*/ :: v_dual_add_nc_u32 v45 /*v301*/, 32, v20 /*v276*/
	v_dual_add_nc_u32 v46 /*v302*/, 33, v20 /*v276*/ :: v_dual_add_nc_u32 v47 /*v303*/, 34, v20 /*v276*/
	;; [unrolled: 1-line block ×4, first 2 shown]
	v_add_nc_u32_e32 v52 /*v308*/, 51, v20 /*v276*/
	s_mul_u64 s[52:53], s[28:29], s[62:63]
	s_cmp_lt_u32 s55, s30
	s_mul_u64 s[40:41], s[56:57], s[62:63]
	s_mul_u64 s[48:49], s[56:57], 0x180
	s_sub_nc_u64 s[52:53], 0, s[52:53]
	s_cselect_b32 s71, -1, 0
	s_add_co_i32 s72, s30, -2
	s_and_b32 s73, s0, s54
	s_sub_nc_u64 s[54:55], 0, s[38:39]
	s_add_co_i32 s74, s62, 64
	s_lshl_b64 s[56:57], s[56:57], 10
	s_lshl_b64 s[26:27], s[26:27], 4
	;; [unrolled: 1-line block ×4, first 2 shown]
	s_set_vgpr_msb 0                        ;  msbs: dst=0 src0=0 src1=0 src2=0
	s_branch .LBB190_4
.LBB190_2:                              ;   in Loop: Header=BB190_4 Depth=1
	s_wait_xcnt 0x0
	s_or_b32 exec_lo, exec_lo, s66
.LBB190_3:                              ;   in Loop: Header=BB190_4 Depth=1
	s_add_co_i32 s18, s18, 0x10000
	s_delay_alu instid0(SALU_CYCLE_1)
	s_cmp_lt_u32 s18, s33
	s_cbranch_scc0 .LBB190_156
.LBB190_4:                              ; =>This Loop Header: Depth=1
                                        ;     Child Loop BB190_78 Depth 2
	s_and_not1_b32 vcc_lo, exec_lo, s68
	s_mov_b32 s64, -1
	s_cbranch_vccz .LBB190_6
; %bb.5:                                ;   in Loop: Header=BB190_4 Depth=1
	s_and_not1_b32 vcc_lo, exec_lo, s64
	s_cbranch_vccnz .LBB190_3
	s_branch .LBB190_7
.LBB190_6:                              ;   in Loop: Header=BB190_4 Depth=1
	s_and_b32 vcc_lo, exec_lo, s69
	s_cbranch_execnz .LBB190_3
.LBB190_7:                              ;   in Loop: Header=BB190_4 Depth=1
	v_mov_b32_e32 v3, s18
	s_clause 0x1
	global_load_b64 v[4:5], v3, s[24:25] scale_offset
	global_load_b64 v[6:7], v3, s[20:21] scale_offset
	s_wait_loadcnt 0x1
	v_add_nc_u64_e32 v[4:5], s[26:27], v[4:5]
	s_delay_alu instid0(VALU_DEP_1)
	v_lshl_add_u64 v[42:43], v[226:227], 4, v[4:5]
	s_wait_xcnt 0x0
	s_and_saveexec_b32 s64, s0
	s_cbranch_execz .LBB190_12
; %bb.8:                                ;   in Loop: Header=BB190_4 Depth=1
	s_and_saveexec_b32 s65, s37
	s_delay_alu instid0(SALU_CYCLE_1)
	s_xor_b32 s65, exec_lo, s65
; %bb.9:                                ;   in Loop: Header=BB190_4 Depth=1
	v_dual_mov_b32 v3, v2 :: v_dual_mov_b32 v4, v2
	v_mov_b32_e32 v5, v2
	s_set_vgpr_msb 1                        ;  msbs: dst=0 src0=1 src1=0 src2=0
	ds_store_b128 v25 /*v281*/, v[2:5]
; %bb.10:                               ;   in Loop: Header=BB190_4 Depth=1
	s_and_not1_saveexec_b32 s65, s65
	s_set_vgpr_msb 0                        ;  msbs: dst=0 src0=0 src1=0 src2=0
	s_cbranch_execz .LBB190_12
; %bb.11:                               ;   in Loop: Header=BB190_4 Depth=1
	flat_load_b128 v[8:11], v[42:43]
	s_wait_loadcnt_dscnt 0x0
	s_set_vgpr_msb 1                        ;  msbs: dst=0 src0=1 src1=0 src2=0
	ds_store_2addr_b64 v25 /*v281*/, v[8:9], v[10:11] offset1:1
.LBB190_12:                             ;   in Loop: Header=BB190_4 Depth=1
	s_wait_xcnt 0x0
	s_or_b32 exec_lo, exec_lo, s64
	s_wait_loadcnt 0x0
	s_set_vgpr_msb 0                        ;  msbs: dst=0 src0=0 src1=0 src2=0
	v_add_nc_u64_e32 v[4:5], s[22:23], v[6:7]
	s_and_b32 vcc_lo, exec_lo, s70
	s_mov_b32 s64, -1
	s_delay_alu instid0(VALU_DEP_1) | instskip(NEXT) | instid1(VALU_DEP_1)
	v_add_nc_u64_e32 v[4:5], s[62:63], v[4:5]
	v_lshl_add_u64 v[4:5], v[188:189], 4, v[4:5]
	s_delay_alu instid0(VALU_DEP_1)
	v_lshl_add_u64 v[6:7], s[40:41], 4, v[4:5]
                                        ; implicit-def: $vgpr4_vgpr5
	s_cbranch_vccz .LBB190_24
; %bb.13:                               ;   in Loop: Header=BB190_4 Depth=1
	s_and_saveexec_b32 s64, s2
	s_delay_alu instid0(SALU_CYCLE_1)
	s_xor_b32 s64, exec_lo, s64
; %bb.14:                               ;   in Loop: Header=BB190_4 Depth=1
	v_dual_mov_b32 v3, v2 :: v_dual_mov_b32 v4, v2
	v_mov_b32_e32 v5, v2
	s_set_vgpr_msb 1                        ;  msbs: dst=0 src0=1 src1=0 src2=0
	ds_store_b128 v7 /*v263*/, v[2:5]
; %bb.15:                               ;   in Loop: Header=BB190_4 Depth=1
	s_or_saveexec_b32 s64, s64
	s_set_vgpr_msb 0                        ;  msbs: dst=0 src0=0 src1=0 src2=0
	v_lshl_add_u64 v[4:5], v[222:223], 4, v[6:7]
	s_delay_alu instid0(VALU_DEP_1) | instskip(NEXT) | instid1(VALU_DEP_1)
	v_lshl_add_u64 v[4:5], s[38:39], 4, v[4:5]
	v_add_nc_u64_e32 v[4:5], -16, v[4:5]
	s_delay_alu instid0(VALU_DEP_1)
	v_dual_cndmask_b32 v9, v5, v7, s1 :: v_dual_cndmask_b32 v8, v4, v6, s1
	s_xor_b32 exec_lo, exec_lo, s64
	s_cbranch_execnz .LBB190_138
; %bb.16:                               ;   in Loop: Header=BB190_4 Depth=1
	s_or_b32 exec_lo, exec_lo, s64
	s_and_saveexec_b32 s64, s3
	s_delay_alu instid0(SALU_CYCLE_1)
	s_xor_b32 s64, exec_lo, s64
	s_cbranch_execnz .LBB190_139
.LBB190_17:                             ;   in Loop: Header=BB190_4 Depth=1
	s_and_not1_saveexec_b32 s64, s64
	s_cbranch_execnz .LBB190_140
.LBB190_18:                             ;   in Loop: Header=BB190_4 Depth=1
	s_or_b32 exec_lo, exec_lo, s64
	s_and_saveexec_b32 s64, s4
	s_delay_alu instid0(SALU_CYCLE_1)
	s_xor_b32 s64, exec_lo, s64
	s_cbranch_execnz .LBB190_141
.LBB190_19:                             ;   in Loop: Header=BB190_4 Depth=1
	s_and_not1_saveexec_b32 s64, s64
	s_cbranch_execnz .LBB190_142
.LBB190_20:                             ;   in Loop: Header=BB190_4 Depth=1
	s_or_b32 exec_lo, exec_lo, s64
	s_and_saveexec_b32 s64, s5
	s_delay_alu instid0(SALU_CYCLE_1)
	s_xor_b32 s64, exec_lo, s64
	s_cbranch_execnz .LBB190_143
.LBB190_21:                             ;   in Loop: Header=BB190_4 Depth=1
	s_and_not1_saveexec_b32 s64, s64
	s_cbranch_execz .LBB190_23
.LBB190_22:                             ;   in Loop: Header=BB190_4 Depth=1
	v_add_nc_u64_e32 v[4:5], s[48:49], v[8:9]
	flat_load_b128 v[10:13], v[4:5]
	s_wait_loadcnt_dscnt 0x0
	s_set_vgpr_msb 1                        ;  msbs: dst=0 src0=1 src1=0 src2=0
	ds_store_2addr_b64 v28 /*v284*/, v[10:11], v[12:13] offset1:1
.LBB190_23:                             ;   in Loop: Header=BB190_4 Depth=1
	s_wait_xcnt 0x0
	s_or_b32 exec_lo, exec_lo, s64
	s_set_vgpr_msb 0                        ;  msbs: dst=0 src0=0 src1=0 src2=0
	v_mov_b32_e32 v225, v2
	s_mov_b32 s64, 0
	s_delay_alu instid0(VALU_DEP_1) | instskip(NEXT) | instid1(VALU_DEP_1)
	v_add_nc_u64_e32 v[4:5], v[8:9], v[224:225]
	v_lshl_add_u64 v[4:5], s[54:55], 4, v[4:5]
	s_delay_alu instid0(VALU_DEP_1) | instskip(NEXT) | instid1(VALU_DEP_1)
	v_add_nc_u64_e32 v[4:5], 16, v[4:5]
	v_dual_cndmask_b32 v5, v5, v7, s1 :: v_dual_cndmask_b32 v4, v4, v6, s1
.LBB190_24:                             ;   in Loop: Header=BB190_4 Depth=1
	s_and_b32 vcc_lo, exec_lo, s64
	s_cbranch_vccz .LBB190_26
; %bb.25:                               ;   in Loop: Header=BB190_4 Depth=1
	flat_load_b128 v[8:11], v[6:7]
	v_add_nc_u64_e32 v[4:5], s[44:45], v[6:7]
	s_wait_loadcnt_dscnt 0x0
	s_set_vgpr_msb 1                        ;  msbs: dst=0 src0=1 src1=0 src2=0
	ds_store_2addr_b64 v7 /*v263*/, v[8:9], v[10:11] offset1:1
	s_set_vgpr_msb 0                        ;  msbs: dst=0 src0=0 src1=0 src2=0
	flat_load_b128 v[8:11], v[4:5]
	s_wait_xcnt 0x0
	v_add_nc_u64_e32 v[4:5], s[44:45], v[4:5]
	s_wait_loadcnt_dscnt 0x0
	s_set_vgpr_msb 1                        ;  msbs: dst=0 src0=1 src1=0 src2=0
	ds_store_2addr_b64 v26 /*v282*/, v[8:9], v[10:11] offset1:1
	s_set_vgpr_msb 0                        ;  msbs: dst=0 src0=0 src1=0 src2=0
	flat_load_b128 v[8:11], v[4:5]
	s_wait_xcnt 0x0
	;; [unrolled: 7-line block ×3, first 2 shown]
	v_mov_b64_e32 v[4:5], v[6:7]
	s_wait_loadcnt_dscnt 0x0
	s_set_vgpr_msb 1                        ;  msbs: dst=0 src0=1 src1=0 src2=0
	ds_store_2addr_b64 v28 /*v284*/, v[8:9], v[10:11] offset1:1
.LBB190_26:                             ;   in Loop: Header=BB190_4 Depth=1
	s_wait_dscnt 0x0
	s_barrier_signal -1
	s_barrier_wait -1
	s_and_saveexec_b32 s64, s6
	s_set_vgpr_msb 0                        ;  msbs: dst=0 src0=0 src1=0 src2=0
	s_cbranch_execnz .LBB190_132
; %bb.27:                               ;   in Loop: Header=BB190_4 Depth=1
	s_or_b32 exec_lo, exec_lo, s64
	s_and_saveexec_b32 s64, s7
	s_cbranch_execnz .LBB190_133
.LBB190_28:                             ;   in Loop: Header=BB190_4 Depth=1
	s_or_b32 exec_lo, exec_lo, s64
	s_and_saveexec_b32 s64, s8
	s_cbranch_execnz .LBB190_134
.LBB190_29:                             ;   in Loop: Header=BB190_4 Depth=1
	s_or_b32 exec_lo, exec_lo, s64
	s_and_saveexec_b32 s64, s9
	s_cbranch_execz .LBB190_31
.LBB190_30:                             ;   in Loop: Header=BB190_4 Depth=1
	s_set_vgpr_msb 1                        ;  msbs: dst=0 src0=1 src1=0 src2=0
	ds_load_b128 v[6:9], v33 /*v289*/
	s_wait_dscnt 0x0
	ds_store_b128 v32 /*v288*/, v[6:9]
.LBB190_31:                             ;   in Loop: Header=BB190_4 Depth=1
	s_or_b32 exec_lo, exec_lo, s64
	s_wait_dscnt 0x0
	s_barrier_signal -1
	s_barrier_wait -1
	s_set_vgpr_msb 1                        ;  msbs: dst=0 src0=1 src1=0 src2=0
	ds_load_b128 v[6:9], v10 /*v266*/
	ds_load_b128 v[10:13], v12 /*v268*/
	ds_load_b128 v[14:17], v12 /*v268*/ offset:16
	ds_load_b128 v[18:21], v9 /*v265*/
	s_wait_dscnt 0x2
	s_set_vgpr_msb 0                        ;  msbs: dst=0 src0=0 src1=0 src2=0
	v_mul_f64_e32 v[22:23], v[12:13], v[8:9]
	v_mul_f64_e32 v[28:29], v[10:11], v[8:9]
	s_wait_dscnt 0x0
	v_mul_f64_e32 v[30:31], v[16:17], v[20:21]
	v_mul_f64_e32 v[32:33], v[14:15], v[20:21]
	s_delay_alu instid0(VALU_DEP_4) | instskip(NEXT) | instid1(VALU_DEP_4)
	v_fma_f64 v[34:35], v[10:11], v[6:7], -v[22:23]
	v_fmac_f64_e32 v[28:29], v[12:13], v[6:7]
	s_set_vgpr_msb 1                        ;  msbs: dst=0 src0=1 src1=0 src2=0
	ds_load_b128 v[6:9], v31 /*v287*/
	ds_load_b128 v[10:13], v12 /*v268*/ offset:32
	ds_load_b128 v[20:23], v12 /*v268*/ offset:48
	ds_load_b128 v[24:27], v33 /*v289*/
	s_set_vgpr_msb 0                        ;  msbs: dst=0 src0=0 src1=0 src2=0
	v_fma_f64 v[14:15], v[14:15], v[18:19], -v[30:31]
	v_fmac_f64_e32 v[32:33], v[16:17], v[18:19]
	s_wait_dscnt 0x0
	s_barrier_signal -1
	s_barrier_wait -1
	v_mul_f64_e32 v[36:37], v[12:13], v[8:9]
	v_mul_f64_e32 v[8:9], v[10:11], v[8:9]
	v_add_f64_e32 v[16:17], 0, v[34:35]
	v_add_f64_e32 v[18:19], 0, v[28:29]
	v_mul_f64_e32 v[28:29], v[22:23], v[26:27]
	v_mul_f64_e32 v[26:27], v[20:21], v[26:27]
	v_fma_f64 v[10:11], v[10:11], v[6:7], -v[36:37]
	v_fmac_f64_e32 v[8:9], v[12:13], v[6:7]
	v_add_f64_e32 v[6:7], v[16:17], v[14:15]
	v_add_f64_e32 v[12:13], v[18:19], v[32:33]
	v_fma_f64 v[14:15], v[20:21], v[24:25], -v[28:29]
	v_fmac_f64_e32 v[26:27], v[22:23], v[24:25]
	s_delay_alu instid0(VALU_DEP_4) | instskip(NEXT) | instid1(VALU_DEP_4)
	v_add_f64_e32 v[6:7], v[6:7], v[10:11]
	v_add_f64_e32 v[8:9], v[12:13], v[8:9]
	s_delay_alu instid0(VALU_DEP_2) | instskip(NEXT) | instid1(VALU_DEP_2)
	v_add_f64_e32 v[10:11], v[6:7], v[14:15]
	v_add_f64_e32 v[12:13], v[8:9], v[26:27]
	v_mov_b64_e32 v[6:7], 0
	v_mov_b64_e32 v[8:9], 0
	s_set_vgpr_msb 1                        ;  msbs: dst=0 src0=1 src1=0 src2=0
	ds_store_b128 v18 /*v274*/, v[10:13]
	s_wait_dscnt 0x0
	s_barrier_signal -1
	s_barrier_wait -1
	s_and_saveexec_b32 s64, s14
	s_set_vgpr_msb 0                        ;  msbs: dst=0 src0=0 src1=0 src2=0
	s_cbranch_execz .LBB190_33
; %bb.32:                               ;   in Loop: Header=BB190_4 Depth=1
	s_set_vgpr_msb 1                        ;  msbs: dst=0 src0=1 src1=0 src2=0
	ds_load_b128 v[6:9], v13 /*v269*/
	ds_load_b128 v[10:13], v13 /*v269*/ offset:16
	s_wait_dscnt 0x0
	s_set_vgpr_msb 0                        ;  msbs: dst=0 src0=0 src1=0 src2=0
	v_add_f64_e32 v[14:15], v[10:11], v[6:7]
	v_add_f64_e32 v[16:17], v[12:13], v[8:9]
	s_set_vgpr_msb 1                        ;  msbs: dst=0 src0=1 src1=0 src2=0
	ds_load_b128 v[6:9], v13 /*v269*/ offset:32
	ds_load_b128 v[10:13], v13 /*v269*/ offset:48
	s_wait_dscnt 0x1
	s_set_vgpr_msb 0                        ;  msbs: dst=0 src0=0 src1=0 src2=0
	v_add_f64_e32 v[6:7], v[14:15], v[6:7]
	v_add_f64_e32 v[8:9], v[16:17], v[8:9]
	s_wait_dscnt 0x0
	s_delay_alu instid0(VALU_DEP_2) | instskip(NEXT) | instid1(VALU_DEP_2)
	v_add_f64_e32 v[14:15], v[6:7], v[10:11]
	v_add_f64_e32 v[16:17], v[8:9], v[12:13]
	s_set_vgpr_msb 1                        ;  msbs: dst=0 src0=1 src1=0 src2=0
	ds_load_b128 v[6:9], v13 /*v269*/ offset:64
	ds_load_b128 v[10:13], v13 /*v269*/ offset:80
	s_wait_dscnt 0x1
	s_set_vgpr_msb 0                        ;  msbs: dst=0 src0=0 src1=0 src2=0
	v_add_f64_e32 v[6:7], v[14:15], v[6:7]
	v_add_f64_e32 v[8:9], v[16:17], v[8:9]
	s_wait_dscnt 0x0
	s_delay_alu instid0(VALU_DEP_2) | instskip(NEXT) | instid1(VALU_DEP_2)
	;; [unrolled: 11-line block ×3, first 2 shown]
	v_add_f64_e32 v[6:7], v[6:7], v[10:11]
	v_add_f64_e32 v[8:9], v[8:9], v[12:13]
.LBB190_33:                             ;   in Loop: Header=BB190_4 Depth=1
	s_or_b32 exec_lo, exec_lo, s64
	v_lshl_add_u64 v[14:15], s[50:51], 4, v[4:5]
	s_and_b32 vcc_lo, exec_lo, s70
	s_mov_b32 s64, -1
	s_barrier_signal -1
	s_delay_alu instid0(VALU_DEP_1)
	v_add_nc_u64_e32 v[12:13], 0x200, v[14:15]
	s_barrier_wait -1
                                        ; implicit-def: $vgpr10_vgpr11
	s_cbranch_vccz .LBB190_45
; %bb.34:                               ;   in Loop: Header=BB190_4 Depth=1
	s_and_saveexec_b32 s64, s16
	s_delay_alu instid0(SALU_CYCLE_1)
	s_xor_b32 s64, exec_lo, s64
; %bb.35:                               ;   in Loop: Header=BB190_4 Depth=1
	v_dual_mov_b32 v3, v2 :: v_dual_mov_b32 v4, v2
	v_mov_b32_e32 v5, v2
	s_set_vgpr_msb 1                        ;  msbs: dst=0 src0=1 src1=0 src2=0
	ds_store_b128 v7 /*v263*/, v[2:5]
; %bb.36:                               ;   in Loop: Header=BB190_4 Depth=1
	s_or_saveexec_b32 s64, s64
	s_set_vgpr_msb 0                        ;  msbs: dst=0 src0=0 src1=0 src2=0
	v_lshl_add_u64 v[4:5], v[222:223], 4, v[14:15]
	s_delay_alu instid0(VALU_DEP_1) | instskip(NEXT) | instid1(VALU_DEP_1)
	v_lshl_add_u64 v[4:5], s[38:39], 4, v[4:5]
	v_add_nc_u64_e32 v[4:5], -16, v[4:5]
	s_delay_alu instid0(VALU_DEP_1)
	v_dual_cndmask_b32 v11, v5, v13, s10 :: v_dual_cndmask_b32 v10, v4, v12, s10
	s_xor_b32 exec_lo, exec_lo, s64
	s_cbranch_execnz .LBB190_144
; %bb.37:                               ;   in Loop: Header=BB190_4 Depth=1
	s_or_b32 exec_lo, exec_lo, s64
	s_and_saveexec_b32 s64, s11
	s_delay_alu instid0(SALU_CYCLE_1)
	s_xor_b32 s64, exec_lo, s64
	s_cbranch_execnz .LBB190_145
.LBB190_38:                             ;   in Loop: Header=BB190_4 Depth=1
	s_and_not1_saveexec_b32 s64, s64
	s_cbranch_execnz .LBB190_146
.LBB190_39:                             ;   in Loop: Header=BB190_4 Depth=1
	s_or_b32 exec_lo, exec_lo, s64
	s_and_saveexec_b32 s64, s12
	s_delay_alu instid0(SALU_CYCLE_1)
	s_xor_b32 s64, exec_lo, s64
	s_cbranch_execnz .LBB190_147
.LBB190_40:                             ;   in Loop: Header=BB190_4 Depth=1
	s_and_not1_saveexec_b32 s64, s64
	s_cbranch_execnz .LBB190_148
.LBB190_41:                             ;   in Loop: Header=BB190_4 Depth=1
	s_or_b32 exec_lo, exec_lo, s64
	s_and_saveexec_b32 s64, s13
	s_delay_alu instid0(SALU_CYCLE_1)
	s_xor_b32 s64, exec_lo, s64
	s_cbranch_execnz .LBB190_149
.LBB190_42:                             ;   in Loop: Header=BB190_4 Depth=1
	s_and_not1_saveexec_b32 s64, s64
	s_cbranch_execz .LBB190_44
.LBB190_43:                             ;   in Loop: Header=BB190_4 Depth=1
	v_add_nc_u64_e32 v[4:5], s[48:49], v[10:11]
	flat_load_b128 v[16:19], v[4:5]
	s_wait_loadcnt_dscnt 0x0
	s_set_vgpr_msb 1                        ;  msbs: dst=0 src0=1 src1=0 src2=0
	ds_store_2addr_b64 v28 /*v284*/, v[16:17], v[18:19] offset1:1
.LBB190_44:                             ;   in Loop: Header=BB190_4 Depth=1
	s_wait_xcnt 0x0
	s_or_b32 exec_lo, exec_lo, s64
	s_set_vgpr_msb 0                        ;  msbs: dst=0 src0=0 src1=0 src2=0
	v_mov_b32_e32 v225, v2
	s_mov_b32 s64, 0
	s_delay_alu instid0(VALU_DEP_1) | instskip(NEXT) | instid1(VALU_DEP_1)
	v_add_nc_u64_e32 v[4:5], v[10:11], v[224:225]
	v_lshl_add_u64 v[4:5], s[54:55], 4, v[4:5]
	s_delay_alu instid0(VALU_DEP_1) | instskip(NEXT) | instid1(VALU_DEP_1)
	v_add_nc_u64_e32 v[4:5], 0x210, v[4:5]
	v_dual_cndmask_b32 v11, v5, v13, s10 :: v_dual_cndmask_b32 v10, v4, v12, s10
.LBB190_45:                             ;   in Loop: Header=BB190_4 Depth=1
	s_and_b32 vcc_lo, exec_lo, s64
	s_cbranch_vccz .LBB190_47
; %bb.46:                               ;   in Loop: Header=BB190_4 Depth=1
	flat_load_b128 v[16:19], v[12:13]
	v_add_nc_u64_e32 v[4:5], s[44:45], v[14:15]
	v_mov_b64_e32 v[10:11], v[12:13]
	s_wait_loadcnt_dscnt 0x0
	s_set_vgpr_msb 1                        ;  msbs: dst=0 src0=1 src1=0 src2=0
	ds_store_2addr_b64 v7 /*v263*/, v[16:17], v[18:19] offset1:1
	s_set_vgpr_msb 0                        ;  msbs: dst=0 src0=0 src1=0 src2=0
	flat_load_b128 v[14:17], v[4:5] offset:512
	s_wait_xcnt 0x0
	v_add_nc_u64_e32 v[4:5], s[44:45], v[4:5]
	s_wait_loadcnt_dscnt 0x0
	s_set_vgpr_msb 1                        ;  msbs: dst=0 src0=1 src1=0 src2=0
	ds_store_2addr_b64 v26 /*v282*/, v[14:15], v[16:17] offset1:1
	s_set_vgpr_msb 0                        ;  msbs: dst=0 src0=0 src1=0 src2=0
	flat_load_b128 v[14:17], v[4:5] offset:512
	s_wait_xcnt 0x0
	v_add_nc_u64_e32 v[4:5], s[44:45], v[4:5]
	s_wait_loadcnt_dscnt 0x0
	s_set_vgpr_msb 1                        ;  msbs: dst=0 src0=1 src1=0 src2=0
	ds_store_2addr_b64 v27 /*v283*/, v[14:15], v[16:17] offset1:1
	s_set_vgpr_msb 0                        ;  msbs: dst=0 src0=0 src1=0 src2=0
	flat_load_b128 v[14:17], v[4:5] offset:512
	s_wait_loadcnt_dscnt 0x0
	s_set_vgpr_msb 1                        ;  msbs: dst=0 src0=1 src1=0 src2=0
	ds_store_2addr_b64 v28 /*v284*/, v[14:15], v[16:17] offset1:1
.LBB190_47:                             ;   in Loop: Header=BB190_4 Depth=1
	s_wait_dscnt 0x0
	s_barrier_signal -1
	s_barrier_wait -1
	s_wait_xcnt 0x0
	s_and_saveexec_b32 s64, s6
	s_set_vgpr_msb 0                        ;  msbs: dst=0 src0=0 src1=0 src2=0
	s_cbranch_execnz .LBB190_135
; %bb.48:                               ;   in Loop: Header=BB190_4 Depth=1
	s_or_b32 exec_lo, exec_lo, s64
	s_and_saveexec_b32 s64, s7
	s_cbranch_execnz .LBB190_136
.LBB190_49:                             ;   in Loop: Header=BB190_4 Depth=1
	s_or_b32 exec_lo, exec_lo, s64
	s_and_saveexec_b32 s64, s8
	s_cbranch_execnz .LBB190_137
.LBB190_50:                             ;   in Loop: Header=BB190_4 Depth=1
	s_or_b32 exec_lo, exec_lo, s64
	s_and_saveexec_b32 s64, s9
	s_cbranch_execz .LBB190_52
.LBB190_51:                             ;   in Loop: Header=BB190_4 Depth=1
	s_set_vgpr_msb 1                        ;  msbs: dst=0 src0=1 src1=0 src2=0
	ds_load_b128 v[12:15], v33 /*v289*/
	s_wait_dscnt 0x0
	ds_store_b128 v36 /*v292*/, v[12:15]
.LBB190_52:                             ;   in Loop: Header=BB190_4 Depth=1
	s_or_b32 exec_lo, exec_lo, s64
	s_wait_dscnt 0x0
	s_barrier_signal -1
	s_barrier_wait -1
	s_set_vgpr_msb 1                        ;  msbs: dst=0 src0=1 src1=0 src2=0
	ds_load_b128 v[12:15], v10 /*v266*/
	ds_load_b128 v[16:19], v12 /*v268*/ offset:512
	ds_load_b128 v[20:23], v12 /*v268*/ offset:528
	ds_load_b128 v[24:27], v9 /*v265*/
	s_wait_dscnt 0x2
	s_set_vgpr_msb 0                        ;  msbs: dst=0 src0=0 src1=0 src2=0
	v_mul_f64_e32 v[4:5], v[18:19], v[14:15]
	v_mul_f64_e32 v[34:35], v[16:17], v[14:15]
	s_wait_dscnt 0x0
	v_mul_f64_e32 v[36:37], v[22:23], v[26:27]
	v_mul_f64_e32 v[38:39], v[20:21], v[26:27]
	s_delay_alu instid0(VALU_DEP_4) | instskip(NEXT) | instid1(VALU_DEP_4)
	v_fma_f64 v[4:5], v[16:17], v[12:13], -v[4:5]
	v_fmac_f64_e32 v[34:35], v[18:19], v[12:13]
	s_set_vgpr_msb 1                        ;  msbs: dst=0 src0=1 src1=0 src2=0
	ds_load_b128 v[12:15], v31 /*v287*/
	ds_load_b128 v[16:19], v12 /*v268*/ offset:544
	ds_load_b128 v[26:29], v12 /*v268*/ offset:560
	ds_load_b128 v[30:33], v33 /*v289*/
	s_set_vgpr_msb 0                        ;  msbs: dst=0 src0=0 src1=0 src2=0
	v_fma_f64 v[20:21], v[20:21], v[24:25], -v[36:37]
	v_fmac_f64_e32 v[38:39], v[22:23], v[24:25]
	s_wait_dscnt 0x0
	s_barrier_signal -1
	s_barrier_wait -1
	v_mul_f64_e32 v[40:41], v[18:19], v[14:15]
	v_mul_f64_e32 v[14:15], v[16:17], v[14:15]
	;; [unrolled: 1-line block ×4, first 2 shown]
	v_add_f64_e32 v[4:5], 0, v[4:5]
	v_add_f64_e32 v[22:23], 0, v[34:35]
	v_fma_f64 v[16:17], v[16:17], v[12:13], -v[40:41]
	v_fmac_f64_e32 v[14:15], v[18:19], v[12:13]
	v_fma_f64 v[18:19], v[26:27], v[30:31], -v[24:25]
	v_fmac_f64_e32 v[32:33], v[28:29], v[30:31]
	v_add_f64_e32 v[4:5], v[4:5], v[20:21]
	v_add_f64_e32 v[12:13], v[22:23], v[38:39]
	s_delay_alu instid0(VALU_DEP_2) | instskip(NEXT) | instid1(VALU_DEP_2)
	v_add_f64_e32 v[4:5], v[4:5], v[16:17]
	v_add_f64_e32 v[14:15], v[12:13], v[14:15]
	s_delay_alu instid0(VALU_DEP_2) | instskip(NEXT) | instid1(VALU_DEP_2)
	v_add_f64_e32 v[12:13], v[4:5], v[18:19]
	v_add_f64_e32 v[14:15], v[14:15], v[32:33]
	s_set_vgpr_msb 1                        ;  msbs: dst=0 src0=1 src1=0 src2=0
	ds_store_b128 v18 /*v274*/, v[12:15]
	s_wait_dscnt 0x0
	s_barrier_signal -1
	s_barrier_wait -1
	s_and_saveexec_b32 s64, s17
	s_set_vgpr_msb 0                        ;  msbs: dst=0 src0=0 src1=0 src2=0
	s_cbranch_execz .LBB190_54
; %bb.53:                               ;   in Loop: Header=BB190_4 Depth=1
	s_set_vgpr_msb 1                        ;  msbs: dst=0 src0=1 src1=0 src2=0
	ds_load_b128 v[4:7], v13 /*v269*/
	ds_load_b128 v[12:15], v13 /*v269*/ offset:16
	s_wait_dscnt 0x0
	s_set_vgpr_msb 0                        ;  msbs: dst=0 src0=0 src1=0 src2=0
	v_add_f64_e32 v[8:9], v[12:13], v[4:5]
	v_add_f64_e32 v[16:17], v[14:15], v[6:7]
	s_set_vgpr_msb 1                        ;  msbs: dst=0 src0=1 src1=0 src2=0
	ds_load_b128 v[4:7], v13 /*v269*/ offset:32
	ds_load_b128 v[12:15], v13 /*v269*/ offset:48
	s_wait_dscnt 0x1
	s_set_vgpr_msb 0                        ;  msbs: dst=0 src0=0 src1=0 src2=0
	v_add_f64_e32 v[4:5], v[8:9], v[4:5]
	v_add_f64_e32 v[6:7], v[16:17], v[6:7]
	s_wait_dscnt 0x0
	s_delay_alu instid0(VALU_DEP_2) | instskip(NEXT) | instid1(VALU_DEP_2)
	v_add_f64_e32 v[8:9], v[4:5], v[12:13]
	v_add_f64_e32 v[16:17], v[6:7], v[14:15]
	s_set_vgpr_msb 1                        ;  msbs: dst=0 src0=1 src1=0 src2=0
	ds_load_b128 v[4:7], v13 /*v269*/ offset:64
	ds_load_b128 v[12:15], v13 /*v269*/ offset:80
	s_wait_dscnt 0x1
	s_set_vgpr_msb 0                        ;  msbs: dst=0 src0=0 src1=0 src2=0
	v_add_f64_e32 v[4:5], v[8:9], v[4:5]
	v_add_f64_e32 v[6:7], v[16:17], v[6:7]
	s_wait_dscnt 0x0
	s_delay_alu instid0(VALU_DEP_2) | instskip(NEXT) | instid1(VALU_DEP_2)
	v_add_f64_e32 v[8:9], v[4:5], v[12:13]
	v_add_f64_e32 v[16:17], v[6:7], v[14:15]
	s_set_vgpr_msb 1                        ;  msbs: dst=0 src0=1 src1=0 src2=0
	ds_load_b128 v[4:7], v13 /*v269*/ offset:96
	ds_load_b128 v[12:15], v13 /*v269*/ offset:112
	s_wait_dscnt 0x1
	s_set_vgpr_msb 0                        ;  msbs: dst=0 src0=0 src1=0 src2=0
	v_add_f64_e32 v[4:5], v[8:9], v[4:5]
	v_add_f64_e32 v[8:9], v[16:17], v[6:7]
	s_wait_dscnt 0x0
	s_delay_alu instid0(VALU_DEP_2) | instskip(NEXT) | instid1(VALU_DEP_2)
	v_add_f64_e32 v[6:7], v[4:5], v[12:13]
	v_add_f64_e32 v[8:9], v[8:9], v[14:15]
.LBB190_54:                             ;   in Loop: Header=BB190_4 Depth=1
	s_or_b32 exec_lo, exec_lo, s64
	v_add_nc_u64_e32 v[12:13], s[58:59], v[10:11]
	s_and_b32 vcc_lo, exec_lo, s70
	s_mov_b32 s64, -1
	s_barrier_signal -1
	s_barrier_wait -1
                                        ; implicit-def: $vgpr4_vgpr5
	s_cbranch_vccz .LBB190_66
; %bb.55:                               ;   in Loop: Header=BB190_4 Depth=1
	s_and_saveexec_b32 s64, s16
	s_delay_alu instid0(SALU_CYCLE_1)
	s_xor_b32 s64, exec_lo, s64
; %bb.56:                               ;   in Loop: Header=BB190_4 Depth=1
	v_dual_mov_b32 v3, v2 :: v_dual_mov_b32 v4, v2
	v_mov_b32_e32 v5, v2
	s_set_vgpr_msb 1                        ;  msbs: dst=0 src0=1 src1=0 src2=0
	ds_store_b128 v7 /*v263*/, v[2:5]
; %bb.57:                               ;   in Loop: Header=BB190_4 Depth=1
	s_or_saveexec_b32 s64, s64
	s_set_vgpr_msb 0                        ;  msbs: dst=0 src0=0 src1=0 src2=0
	v_lshl_add_u64 v[4:5], v[222:223], 4, v[10:11]
	s_delay_alu instid0(VALU_DEP_1) | instskip(NEXT) | instid1(VALU_DEP_1)
	v_lshl_add_u64 v[4:5], s[38:39], 4, v[4:5]
	v_add_nc_u64_e32 v[4:5], s[60:61], v[4:5]
	s_delay_alu instid0(VALU_DEP_1)
	v_dual_cndmask_b32 v15, v5, v13, s1 :: v_dual_cndmask_b32 v14, v4, v12, s1
	s_xor_b32 exec_lo, exec_lo, s64
	s_cbranch_execnz .LBB190_150
; %bb.58:                               ;   in Loop: Header=BB190_4 Depth=1
	s_or_b32 exec_lo, exec_lo, s64
	s_and_saveexec_b32 s64, s11
	s_delay_alu instid0(SALU_CYCLE_1)
	s_xor_b32 s64, exec_lo, s64
	s_cbranch_execnz .LBB190_151
.LBB190_59:                             ;   in Loop: Header=BB190_4 Depth=1
	s_and_not1_saveexec_b32 s64, s64
	s_cbranch_execnz .LBB190_152
.LBB190_60:                             ;   in Loop: Header=BB190_4 Depth=1
	s_or_b32 exec_lo, exec_lo, s64
	s_and_saveexec_b32 s64, s12
	s_delay_alu instid0(SALU_CYCLE_1)
	s_xor_b32 s64, exec_lo, s64
	s_cbranch_execnz .LBB190_153
.LBB190_61:                             ;   in Loop: Header=BB190_4 Depth=1
	s_and_not1_saveexec_b32 s64, s64
	s_cbranch_execnz .LBB190_154
.LBB190_62:                             ;   in Loop: Header=BB190_4 Depth=1
	s_or_b32 exec_lo, exec_lo, s64
	s_and_saveexec_b32 s64, s13
	s_delay_alu instid0(SALU_CYCLE_1)
	s_xor_b32 s64, exec_lo, s64
	s_cbranch_execnz .LBB190_155
.LBB190_63:                             ;   in Loop: Header=BB190_4 Depth=1
	s_and_not1_saveexec_b32 s64, s64
	s_cbranch_execz .LBB190_65
.LBB190_64:                             ;   in Loop: Header=BB190_4 Depth=1
	v_add_nc_u64_e32 v[4:5], s[48:49], v[14:15]
	flat_load_b128 v[16:19], v[4:5]
	s_wait_loadcnt_dscnt 0x0
	s_set_vgpr_msb 1                        ;  msbs: dst=0 src0=1 src1=0 src2=0
	ds_store_2addr_b64 v28 /*v284*/, v[16:17], v[18:19] offset1:1
.LBB190_65:                             ;   in Loop: Header=BB190_4 Depth=1
	s_wait_xcnt 0x0
	s_or_b32 exec_lo, exec_lo, s64
	s_set_vgpr_msb 0                        ;  msbs: dst=0 src0=0 src1=0 src2=0
	v_mov_b32_e32 v225, v2
	s_mov_b32 s64, 0
	s_delay_alu instid0(VALU_DEP_1) | instskip(NEXT) | instid1(VALU_DEP_1)
	v_add_nc_u64_e32 v[4:5], v[14:15], v[224:225]
	v_lshl_add_u64 v[4:5], s[54:55], 4, v[4:5]
	s_delay_alu instid0(VALU_DEP_1) | instskip(NEXT) | instid1(VALU_DEP_1)
	v_add_nc_u64_e32 v[4:5], 16, v[4:5]
	v_dual_cndmask_b32 v5, v5, v13, s1 :: v_dual_cndmask_b32 v4, v4, v12, s1
.LBB190_66:                             ;   in Loop: Header=BB190_4 Depth=1
	s_and_b32 vcc_lo, exec_lo, s64
	s_cbranch_vccz .LBB190_68
; %bb.67:                               ;   in Loop: Header=BB190_4 Depth=1
	flat_load_b128 v[14:17], v[12:13]
	v_add_nc_u64_e32 v[4:5], s[44:45], v[10:11]
	s_wait_loadcnt_dscnt 0x0
	s_set_vgpr_msb 1                        ;  msbs: dst=0 src0=1 src1=0 src2=0
	ds_store_2addr_b64 v7 /*v263*/, v[14:15], v[16:17] offset1:1
	s_set_vgpr_msb 0                        ;  msbs: dst=0 src0=0 src1=0 src2=0
	flat_load_b128 v[14:17], v[4:5] offset:-512
	s_wait_xcnt 0x0
	v_add_nc_u64_e32 v[4:5], s[44:45], v[4:5]
	s_wait_loadcnt_dscnt 0x0
	s_set_vgpr_msb 1                        ;  msbs: dst=0 src0=1 src1=0 src2=0
	ds_store_2addr_b64 v26 /*v282*/, v[14:15], v[16:17] offset1:1
	s_set_vgpr_msb 0                        ;  msbs: dst=0 src0=0 src1=0 src2=0
	flat_load_b128 v[14:17], v[4:5] offset:-512
	s_wait_xcnt 0x0
	;; [unrolled: 7-line block ×3, first 2 shown]
	v_mov_b64_e32 v[4:5], v[12:13]
	s_wait_loadcnt_dscnt 0x0
	s_set_vgpr_msb 1                        ;  msbs: dst=0 src0=1 src1=0 src2=0
	ds_store_2addr_b64 v28 /*v284*/, v[14:15], v[16:17] offset1:1
.LBB190_68:                             ;   in Loop: Header=BB190_4 Depth=1
	s_wait_dscnt 0x0
	s_barrier_signal -1
	s_barrier_wait -1
	s_set_vgpr_msb 1                        ;  msbs: dst=0 src0=1 src1=0 src2=0
	ds_load_b128 v[10:13], v23 /*v279*/
	ds_load_b128 v[14:17], v19 /*v275*/
	ds_load_b128 v[18:21], v18 /*v274*/ offset:384
	ds_load_b128 v[22:25], v19 /*v275*/ offset:384
	;; [unrolled: 1-line block ×6, first 2 shown]
	s_wait_dscnt 0x6
	s_set_vgpr_msb 0                        ;  msbs: dst=0 src0=0 src1=0 src2=0
	v_mul_f64_e32 v[44:45], v[12:13], v[16:17]
	v_mul_f64_e32 v[16:17], v[10:11], v[16:17]
	s_wait_dscnt 0x2
	v_mul_f64_e32 v[46:47], v[32:33], v[28:29]
	v_mul_f64_e32 v[28:29], v[30:31], v[28:29]
	s_delay_alu instid0(VALU_DEP_4) | instskip(NEXT) | instid1(VALU_DEP_4)
	v_fma_f64 v[10:11], v[10:11], v[14:15], -v[44:45]
	v_fmac_f64_e32 v[16:17], v[12:13], v[14:15]
	s_wait_dscnt 0x0
	v_mul_f64_e32 v[12:13], v[36:37], v[40:41]
	v_mul_f64_e32 v[14:15], v[34:35], v[40:41]
	v_fma_f64 v[30:31], v[30:31], v[26:27], -v[46:47]
	v_fmac_f64_e32 v[28:29], v[32:33], v[26:27]
	v_mul_f64_e32 v[26:27], v[20:21], v[24:25]
	v_mul_f64_e32 v[24:25], v[18:19], v[24:25]
	v_add_f64_e32 v[10:11], 0, v[10:11]
	v_add_f64_e32 v[16:17], 0, v[16:17]
	v_fma_f64 v[12:13], v[34:35], v[38:39], -v[12:13]
	v_fmac_f64_e32 v[14:15], v[36:37], v[38:39]
	v_fma_f64 v[18:19], v[18:19], v[22:23], -v[26:27]
	v_fmac_f64_e32 v[24:25], v[20:21], v[22:23]
	v_add_f64_e32 v[10:11], v[10:11], v[30:31]
	v_add_f64_e32 v[16:17], v[16:17], v[28:29]
	s_delay_alu instid0(VALU_DEP_2) | instskip(NEXT) | instid1(VALU_DEP_2)
	v_add_f64_e32 v[10:11], v[10:11], v[12:13]
	v_add_f64_e32 v[12:13], v[16:17], v[14:15]
	s_delay_alu instid0(VALU_DEP_2) | instskip(NEXT) | instid1(VALU_DEP_2)
	v_add_f64_e32 v[44:45], v[10:11], v[18:19]
	v_add_f64_e32 v[46:47], v[12:13], v[24:25]
	s_set_vgpr_msb 1                        ;  msbs: dst=0 src0=1 src1=0 src2=0
	ds_load_b128 v[34:37], v12 /*v268*/ offset:512
	ds_load_b128 v[26:29], v12 /*v268*/ offset:528
	ds_load_b128 v[14:17], v12 /*v268*/ offset:544
	ds_load_b128 v[10:13], v12 /*v268*/ offset:560
	ds_load_b128 v[38:41], v10 /*v266*/
	ds_load_b128 v[30:33], v9 /*v265*/
	;; [unrolled: 1-line block ×4, first 2 shown]
	s_wait_dscnt 0x0
	s_barrier_signal -1
	s_barrier_wait -1
	ds_store_b128 v18 /*v274*/, v[44:47]
	s_wait_dscnt 0x0
	s_barrier_signal -1
	s_barrier_wait -1
	s_and_saveexec_b32 s64, s17
	s_set_vgpr_msb 0                        ;  msbs: dst=0 src0=0 src1=0 src2=0
	s_cbranch_execz .LBB190_70
; %bb.69:                               ;   in Loop: Header=BB190_4 Depth=1
	s_set_vgpr_msb 1                        ;  msbs: dst=0 src0=1 src1=0 src2=0
	ds_load_b128 v[44:47], v13 /*v269*/
	ds_load_b128 v[48:51], v13 /*v269*/ offset:16
	s_wait_dscnt 0x1
	s_set_vgpr_msb 0                        ;  msbs: dst=0 src0=0 src1=0 src2=0
	v_add_f64_e32 v[6:7], v[6:7], v[44:45]
	v_add_f64_e32 v[8:9], v[8:9], v[46:47]
	s_wait_dscnt 0x0
	s_delay_alu instid0(VALU_DEP_2) | instskip(NEXT) | instid1(VALU_DEP_2)
	v_add_f64_e32 v[48:49], v[6:7], v[48:49]
	v_add_f64_e32 v[50:51], v[8:9], v[50:51]
	s_set_vgpr_msb 1                        ;  msbs: dst=0 src0=1 src1=0 src2=0
	ds_load_b128 v[6:9], v13 /*v269*/ offset:32
	ds_load_b128 v[44:47], v13 /*v269*/ offset:48
	s_wait_dscnt 0x1
	s_set_vgpr_msb 0                        ;  msbs: dst=0 src0=0 src1=0 src2=0
	v_add_f64_e32 v[6:7], v[48:49], v[6:7]
	v_add_f64_e32 v[8:9], v[50:51], v[8:9]
	s_wait_dscnt 0x0
	s_delay_alu instid0(VALU_DEP_2) | instskip(NEXT) | instid1(VALU_DEP_2)
	v_add_f64_e32 v[48:49], v[6:7], v[44:45]
	v_add_f64_e32 v[50:51], v[8:9], v[46:47]
	s_set_vgpr_msb 1                        ;  msbs: dst=0 src0=1 src1=0 src2=0
	ds_load_b128 v[6:9], v13 /*v269*/ offset:64
	;; [unrolled: 11-line block ×3, first 2 shown]
	ds_load_b128 v[44:47], v13 /*v269*/ offset:112
	s_wait_dscnt 0x1
	s_set_vgpr_msb 0                        ;  msbs: dst=0 src0=0 src1=0 src2=0
	v_add_f64_e32 v[6:7], v[48:49], v[6:7]
	v_add_f64_e32 v[8:9], v[50:51], v[8:9]
	s_wait_dscnt 0x0
	s_delay_alu instid0(VALU_DEP_2) | instskip(NEXT) | instid1(VALU_DEP_2)
	v_add_f64_e32 v[6:7], v[6:7], v[44:45]
	v_add_f64_e32 v[8:9], v[8:9], v[46:47]
.LBB190_70:                             ;   in Loop: Header=BB190_4 Depth=1
	s_or_b32 exec_lo, exec_lo, s64
	v_mul_f64_e32 v[44:45], v[36:37], v[40:41]
	v_mul_f64_e32 v[40:41], v[34:35], v[40:41]
	;; [unrolled: 1-line block ×4, first 2 shown]
	s_barrier_signal -1
	s_barrier_wait -1
	s_delay_alu instid0(VALU_DEP_4) | instskip(NEXT) | instid1(VALU_DEP_4)
	v_fma_f64 v[34:35], v[34:35], v[38:39], -v[44:45]
	v_fmac_f64_e32 v[40:41], v[36:37], v[38:39]
	v_mul_f64_e32 v[36:37], v[16:17], v[24:25]
	v_mul_f64_e32 v[24:25], v[14:15], v[24:25]
	v_fma_f64 v[26:27], v[26:27], v[30:31], -v[46:47]
	v_fmac_f64_e32 v[32:33], v[28:29], v[30:31]
	v_add_f64_e32 v[28:29], 0, v[34:35]
	v_add_f64_e32 v[30:31], 0, v[40:41]
	v_mul_f64_e32 v[34:35], v[12:13], v[20:21]
	v_mul_f64_e32 v[20:21], v[10:11], v[20:21]
	v_fma_f64 v[14:15], v[14:15], v[22:23], -v[36:37]
	v_fmac_f64_e32 v[24:25], v[16:17], v[22:23]
	v_add_f64_e32 v[16:17], v[28:29], v[26:27]
	v_add_f64_e32 v[22:23], v[30:31], v[32:33]
	v_fma_f64 v[10:11], v[10:11], v[18:19], -v[34:35]
	v_fmac_f64_e32 v[20:21], v[12:13], v[18:19]
	s_delay_alu instid0(VALU_DEP_4) | instskip(NEXT) | instid1(VALU_DEP_4)
	v_add_f64_e32 v[12:13], v[16:17], v[14:15]
	v_add_f64_e32 v[14:15], v[22:23], v[24:25]
	s_delay_alu instid0(VALU_DEP_2) | instskip(NEXT) | instid1(VALU_DEP_2)
	v_add_f64_e32 v[10:11], v[12:13], v[10:11]
	v_add_f64_e32 v[12:13], v[14:15], v[20:21]
	s_set_vgpr_msb 1                        ;  msbs: dst=0 src0=1 src1=0 src2=0
	ds_store_b128 v18 /*v274*/, v[10:13]
	s_wait_dscnt 0x0
	s_barrier_signal -1
	s_barrier_wait -1
	s_and_saveexec_b32 s64, s14
	s_set_vgpr_msb 0                        ;  msbs: dst=0 src0=0 src1=0 src2=0
	s_cbranch_execz .LBB190_72
; %bb.71:                               ;   in Loop: Header=BB190_4 Depth=1
	s_set_vgpr_msb 1                        ;  msbs: dst=0 src0=1 src1=0 src2=0
	ds_load_b128 v[10:13], v13 /*v269*/
	ds_load_b128 v[14:17], v13 /*v269*/ offset:16
	s_wait_dscnt 0x1
	s_set_vgpr_msb 0                        ;  msbs: dst=0 src0=0 src1=0 src2=0
	v_add_f64_e32 v[6:7], v[6:7], v[10:11]
	v_add_f64_e32 v[8:9], v[8:9], v[12:13]
	s_wait_dscnt 0x0
	s_delay_alu instid0(VALU_DEP_2) | instskip(NEXT) | instid1(VALU_DEP_2)
	v_add_f64_e32 v[14:15], v[6:7], v[14:15]
	v_add_f64_e32 v[16:17], v[8:9], v[16:17]
	s_set_vgpr_msb 1                        ;  msbs: dst=0 src0=1 src1=0 src2=0
	ds_load_b128 v[6:9], v13 /*v269*/ offset:32
	ds_load_b128 v[10:13], v13 /*v269*/ offset:48
	s_wait_dscnt 0x1
	s_set_vgpr_msb 0                        ;  msbs: dst=0 src0=0 src1=0 src2=0
	v_add_f64_e32 v[6:7], v[14:15], v[6:7]
	v_add_f64_e32 v[8:9], v[16:17], v[8:9]
	s_wait_dscnt 0x0
	s_delay_alu instid0(VALU_DEP_2) | instskip(NEXT) | instid1(VALU_DEP_2)
	v_add_f64_e32 v[14:15], v[6:7], v[10:11]
	v_add_f64_e32 v[16:17], v[8:9], v[12:13]
	s_set_vgpr_msb 1                        ;  msbs: dst=0 src0=1 src1=0 src2=0
	ds_load_b128 v[6:9], v13 /*v269*/ offset:64
	;; [unrolled: 11-line block ×3, first 2 shown]
	ds_load_b128 v[10:13], v13 /*v269*/ offset:112
	s_wait_dscnt 0x1
	s_set_vgpr_msb 0                        ;  msbs: dst=0 src0=0 src1=0 src2=0
	v_add_f64_e32 v[6:7], v[14:15], v[6:7]
	v_add_f64_e32 v[8:9], v[16:17], v[8:9]
	s_wait_dscnt 0x0
	s_delay_alu instid0(VALU_DEP_2) | instskip(NEXT) | instid1(VALU_DEP_2)
	v_add_f64_e32 v[6:7], v[6:7], v[10:11]
	v_add_f64_e32 v[8:9], v[8:9], v[12:13]
.LBB190_72:                             ;   in Loop: Header=BB190_4 Depth=1
	s_or_b32 exec_lo, exec_lo, s64
	s_mul_u64 s[64:65], s[34:35], s[18:19]
	s_and_not1_b32 vcc_lo, exec_lo, s71
	s_lshl_b64 s[64:65], s[64:65], 4
	s_delay_alu instid0(SALU_CYCLE_1)
	s_add_nc_u64 s[64:65], s[42:43], s[64:65]
	s_barrier_signal -1
	s_barrier_wait -1
	s_cbranch_vccnz .LBB190_130
; %bb.73:                               ;   in Loop: Header=BB190_4 Depth=1
	v_add_nc_u64_e32 v[228:229], v[4:5], v[0:1]
	v_add_nc_u64_e32 v[230:231], v[4:5], v[192:193]
	;; [unrolled: 1-line block ×14, first 2 shown]
	s_set_vgpr_msb 64                       ;  msbs: dst=1 src0=0 src1=0 src2=0
	v_add_nc_u64_e32 v[0:1] /*v[256:257]*/, v[4:5], v[218:219]
	v_add_nc_u64_e32 v[2:3] /*v[258:259]*/, v[4:5], v[220:221]
	v_lshl_add_u64 v[4:5] /*v[260:261]*/, s[52:53], 4, v[42:43]
	s_mov_b32 s66, s74
	s_mov_b32 s75, s36
	s_delay_alu instid0(SALU_CYCLE_1)
	s_cmp_eq_u32 s72, s75
	s_cselect_b32 s76, s31, 0
	s_and_saveexec_b32 s77, s0
	s_set_vgpr_msb 0                        ;  msbs: dst=0 src0=0 src1=0 src2=0
	s_cbranch_execz .LBB190_78
.LBB190_74:                             ;   in Loop: Header=BB190_4 Depth=1
	s_set_vgpr_msb 4                        ;  msbs: dst=0 src0=0 src1=1 src2=0
	v_cmp_le_i32_e32 vcc_lo, s76, v6 /*v262*/
	s_cmp_lg_u32 s76, 0
	s_cselect_b32 s67, -1, 0
	s_delay_alu instid0(SALU_CYCLE_1) | instskip(NEXT) | instid1(SALU_CYCLE_1)
	s_and_b32 s67, s67, vcc_lo
	s_and_saveexec_b32 s78, s67
	s_delay_alu instid0(SALU_CYCLE_1)
	s_xor_b32 s67, exec_lo, s78
; %bb.75:                               ;   in Loop: Header=BB190_4 Depth=1
	v_dual_mov_b32 v3, v2 :: v_dual_mov_b32 v4, v2
	v_mov_b32_e32 v5, v2
	s_set_vgpr_msb 1                        ;  msbs: dst=0 src0=1 src1=0 src2=0
	ds_store_b128 v37 /*v293*/, v[2:5]
; %bb.76:                               ;   in Loop: Header=BB190_4 Depth=1
	s_and_not1_saveexec_b32 s67, s67
	s_set_vgpr_msb 0                        ;  msbs: dst=0 src0=0 src1=0 src2=0
	s_cbranch_execz .LBB190_78
; %bb.77:                               ;   in Loop: Header=BB190_4 Depth=1
	s_ashr_i32 s67, s66, 31
	s_delay_alu instid0(SALU_CYCLE_1)
	s_mul_u64 s[78:79], s[28:29], s[66:67]
	s_set_vgpr_msb 16                       ;  msbs: dst=0 src0=0 src1=0 src2=1
	v_lshl_add_u64 v[4:5], s[78:79], 4, v[4:5] /*v[260:261]*/
	flat_load_b128 v[10:13], v[4:5]
	s_wait_loadcnt_dscnt 0x0
	s_set_vgpr_msb 1                        ;  msbs: dst=0 src0=1 src1=0 src2=0
	ds_store_2addr_b64 v37 /*v293*/, v[10:11], v[12:13] offset1:1
.LBB190_78:                             ;   Parent Loop BB190_4 Depth=1
                                        ; =>  This Inner Loop Header: Depth=2
	s_wait_xcnt 0x0
	s_or_b32 exec_lo, exec_lo, s77
	s_cmp_eq_u32 s76, 0
	s_set_vgpr_msb 0                        ;  msbs: dst=0 src0=0 src1=0 src2=0
	v_add_nc_u64_e32 v[4:5], v[236:237], v[186:187]
	s_cselect_b32 s67, -1, 0
	s_cmp_lg_u32 s76, 0
	s_wait_dscnt 0x0
	s_cselect_b32 s77, -1, 0
	s_barrier_signal -1
	s_and_b32 vcc_lo, exec_lo, s77
	s_barrier_wait -1
	s_cbranch_vccz .LBB190_86
; %bb.79:                               ;   in Loop: Header=BB190_78 Depth=2
	v_mov_b64_e32 v[10:11], 0
	v_mov_b64_e32 v[14:15], 0
	;; [unrolled: 1-line block ×3, first 2 shown]
	s_mov_b32 s78, exec_lo
	s_set_vgpr_msb 4                        ;  msbs: dst=0 src0=0 src1=1 src2=0
	v_cmpx_gt_i32_e64 s76, v20 /*v276*/
	s_set_vgpr_msb 0                        ;  msbs: dst=0 src0=0 src1=0 src2=0
	s_cbranch_execz .LBB190_81
; %bb.80:                               ;   in Loop: Header=BB190_78 Depth=2
	flat_load_b128 v[14:17], v[4:5]
.LBB190_81:                             ;   in Loop: Header=BB190_78 Depth=2
	s_wait_xcnt 0x0
	s_or_b32 exec_lo, exec_lo, s78
	v_mov_b64_e32 v[12:13], 0
	s_mov_b32 s78, exec_lo
	s_set_vgpr_msb 4                        ;  msbs: dst=0 src0=0 src1=1 src2=0
	v_cmpx_gt_i32_e64 s76, v38 /*v294*/
	s_set_vgpr_msb 0                        ;  msbs: dst=0 src0=0 src1=0 src2=0
	s_cbranch_execz .LBB190_83
; %bb.82:                               ;   in Loop: Header=BB190_78 Depth=2
	v_add_nc_u64_e32 v[10:11], v[232:233], v[186:187]
	flat_load_b128 v[10:13], v[10:11]
.LBB190_83:                             ;   in Loop: Header=BB190_78 Depth=2
	s_wait_xcnt 0x0
	s_or_b32 exec_lo, exec_lo, s78
	v_mov_b64_e32 v[18:19], 0
	v_mov_b64_e32 v[20:21], 0
	s_mov_b32 s78, exec_lo
	s_set_vgpr_msb 4                        ;  msbs: dst=0 src0=0 src1=1 src2=0
	v_cmpx_gt_i32_e64 s76, v39 /*v295*/
	s_set_vgpr_msb 0                        ;  msbs: dst=0 src0=0 src1=0 src2=0
	s_cbranch_execz .LBB190_85
; %bb.84:                               ;   in Loop: Header=BB190_78 Depth=2
	v_add_nc_u64_e32 v[18:19], v[228:229], v[186:187]
	flat_load_b128 v[18:21], v[18:19] offset:-8
.LBB190_85:                             ;   in Loop: Header=BB190_78 Depth=2
	s_wait_xcnt 0x0
	s_or_b32 exec_lo, exec_lo, s78
	s_set_vgpr_msb 4                        ;  msbs: dst=0 src0=0 src1=1 src2=0
	v_cmp_gt_i32_e64 s78, s76, v40 /*v296*/
	s_set_vgpr_msb 0                        ;  msbs: dst=0 src0=0 src1=0 src2=0
	s_branch .LBB190_88
.LBB190_86:                             ;   in Loop: Header=BB190_78 Depth=2
	s_mov_b32 s78, 0
                                        ; implicit-def: $vgpr20_vgpr21
                                        ; implicit-def: $vgpr12_vgpr13
                                        ; implicit-def: $vgpr16_vgpr17
	s_cbranch_execz .LBB190_88
; %bb.87:                               ;   in Loop: Header=BB190_78 Depth=2
	s_wait_loadcnt_dscnt 0x0
	v_add_nc_u64_e32 v[10:11], v[232:233], v[186:187]
	v_add_nc_u64_e32 v[18:19], v[228:229], v[186:187]
	s_or_b32 s78, s78, exec_lo
	flat_load_b128 v[14:17], v[4:5]
	flat_load_b128 v[10:13], v[10:11]
	flat_load_b128 v[18:21], v[18:19] offset:-8
.LBB190_88:                             ;   in Loop: Header=BB190_78 Depth=2
	v_mov_b64_e32 v[22:23], 0
	v_mov_b64_e32 v[24:25], 0
	s_wait_xcnt 0x0
	s_and_saveexec_b32 s79, s78
	s_cbranch_execz .LBB190_90
; %bb.89:                               ;   in Loop: Header=BB190_78 Depth=2
	v_add_nc_u64_e32 v[4:5], v[240:241], v[186:187]
	flat_load_b128 v[22:25], v[4:5]
.LBB190_90:                             ;   in Loop: Header=BB190_78 Depth=2
	s_wait_xcnt 0x0
	s_or_b32 exec_lo, exec_lo, s79
	s_set_vgpr_msb 1                        ;  msbs: dst=0 src0=1 src1=0 src2=0
	ds_load_b128 v[30:33], v25 /*v281*/
	ds_load_b128 v[26:29], v11 /*v267*/
	v_cndmask_b32_e64 v3, 0, 1, s77
	s_and_not1_b32 vcc_lo, exec_lo, s77
	s_wait_loadcnt_dscnt 0x1
	s_set_vgpr_msb 0                        ;  msbs: dst=0 src0=0 src1=0 src2=0
	v_mul_f64_e32 v[4:5], v[16:17], v[32:33]
	v_mul_f64_e32 v[44:45], v[14:15], v[32:33]
	;; [unrolled: 1-line block ×8, first 2 shown]
	v_fma_f64 v[42:43], v[14:15], v[30:31], -v[4:5]
	v_fmac_f64_e32 v[44:45], v[16:17], v[30:31]
	v_fma_f64 v[46:47], v[10:11], v[30:31], -v[34:35]
	v_fmac_f64_e32 v[48:49], v[12:13], v[30:31]
	;; [unrolled: 2-line block ×4, first 2 shown]
	s_set_vgpr_msb 1                        ;  msbs: dst=0 src0=1 src1=0 src2=0
	ds_load_b128 v[38:41], v11 /*v267*/ offset:16
	ds_load_b128 v[34:37], v11 /*v267*/ offset:32
	;; [unrolled: 1-line block ×3, first 2 shown]
	s_set_vgpr_msb 0                        ;  msbs: dst=0 src0=0 src1=0 src2=0
	v_add_nc_u64_e32 v[4:5], v[252:253], v[186:187]
	s_set_vgpr_msb 1                        ;  msbs: dst=0 src0=1 src1=0 src2=0
	ds_store_b128 v21 /*v277*/, v[42:45]
	ds_store_b128 v21 /*v277*/, v[46:49] offset:1072
	ds_store_b128 v21 /*v277*/, v[50:53] offset:2144
	ds_store_b128 v21 /*v277*/, v[54:57] offset:3216
	s_wait_dscnt 0x0
	s_barrier_signal -1
	s_barrier_wait -1
	ds_load_b128 v[98:101], v14 /*v270*/
	ds_load_b128 v[94:97], v14 /*v270*/ offset:16
	ds_load_b128 v[90:93], v14 /*v270*/ offset:32
	;; [unrolled: 1-line block ×3, first 2 shown]
	s_wait_dscnt 0x0
	s_barrier_signal -1
	s_barrier_wait -1
	s_set_vgpr_msb 0                        ;  msbs: dst=0 src0=0 src1=0 src2=0
	s_cbranch_vccnz .LBB190_98
; %bb.91:                               ;   in Loop: Header=BB190_78 Depth=2
	v_mov_b64_e32 v[42:43], 0
	v_mov_b64_e32 v[46:47], 0
	;; [unrolled: 1-line block ×3, first 2 shown]
	s_mov_b32 s77, exec_lo
	s_set_vgpr_msb 4                        ;  msbs: dst=0 src0=0 src1=1 src2=0
	v_cmpx_gt_i32_e64 s76, v41 /*v297*/
	s_set_vgpr_msb 0                        ;  msbs: dst=0 src0=0 src1=0 src2=0
	s_cbranch_execz .LBB190_93
; %bb.92:                               ;   in Loop: Header=BB190_78 Depth=2
	flat_load_b128 v[46:49], v[4:5]
.LBB190_93:                             ;   in Loop: Header=BB190_78 Depth=2
	s_wait_xcnt 0x0
	s_or_b32 exec_lo, exec_lo, s77
	v_mov_b64_e32 v[44:45], 0
	s_mov_b32 s77, exec_lo
	s_set_vgpr_msb 4                        ;  msbs: dst=0 src0=0 src1=1 src2=0
	v_cmpx_gt_i32_e64 s76, v42 /*v298*/
	s_set_vgpr_msb 0                        ;  msbs: dst=0 src0=0 src1=0 src2=0
	s_cbranch_execz .LBB190_95
; %bb.94:                               ;   in Loop: Header=BB190_78 Depth=2
	v_add_nc_u64_e32 v[42:43], v[248:249], v[186:187]
	flat_load_b128 v[42:45], v[42:43]
.LBB190_95:                             ;   in Loop: Header=BB190_78 Depth=2
	s_wait_xcnt 0x0
	s_or_b32 exec_lo, exec_lo, s77
	v_mov_b64_e32 v[50:51], 0
	v_mov_b64_e32 v[52:53], 0
	s_mov_b32 s77, exec_lo
	s_set_vgpr_msb 4                        ;  msbs: dst=0 src0=0 src1=1 src2=0
	v_cmpx_gt_i32_e64 s76, v43 /*v299*/
	s_set_vgpr_msb 0                        ;  msbs: dst=0 src0=0 src1=0 src2=0
	s_cbranch_execz .LBB190_97
; %bb.96:                               ;   in Loop: Header=BB190_78 Depth=2
	v_add_nc_u64_e32 v[50:51], v[244:245], v[186:187]
	flat_load_b128 v[50:53], v[50:51] offset:-8
.LBB190_97:                             ;   in Loop: Header=BB190_78 Depth=2
	s_wait_xcnt 0x0
	s_or_b32 exec_lo, exec_lo, s77
	s_set_vgpr_msb 4                        ;  msbs: dst=0 src0=0 src1=1 src2=0
	v_cmp_gt_i32_e64 s77, s76, v44 /*v300*/
	s_set_vgpr_msb 0                        ;  msbs: dst=0 src0=0 src1=0 src2=0
	s_branch .LBB190_100
.LBB190_98:                             ;   in Loop: Header=BB190_78 Depth=2
	s_mov_b32 s77, 0
                                        ; implicit-def: $vgpr52_vgpr53
                                        ; implicit-def: $vgpr44_vgpr45
                                        ; implicit-def: $vgpr48_vgpr49
	s_cbranch_execz .LBB190_100
; %bb.99:                               ;   in Loop: Header=BB190_78 Depth=2
	s_wait_loadcnt_dscnt 0x0
	v_add_nc_u64_e32 v[42:43], v[248:249], v[186:187]
	v_add_nc_u64_e32 v[50:51], v[244:245], v[186:187]
	s_or_b32 s77, s77, exec_lo
	flat_load_b128 v[46:49], v[4:5]
	flat_load_b128 v[42:45], v[42:43]
	flat_load_b128 v[50:53], v[50:51] offset:-8
.LBB190_100:                            ;   in Loop: Header=BB190_78 Depth=2
	v_mov_b64_e32 v[54:55], 0
	v_mov_b64_e32 v[56:57], 0
	s_wait_xcnt 0x0
	s_and_saveexec_b32 s78, s77
	s_cbranch_execz .LBB190_102
; %bb.101:                              ;   in Loop: Header=BB190_78 Depth=2
	s_set_vgpr_msb 1                        ;  msbs: dst=0 src0=1 src1=0 src2=0
	v_add_nc_u64_e32 v[4:5], v[0:1] /*v[256:257]*/, v[186:187]
	s_set_vgpr_msb 0                        ;  msbs: dst=0 src0=0 src1=0 src2=0
	flat_load_b128 v[54:57], v[4:5]
.LBB190_102:                            ;   in Loop: Header=BB190_78 Depth=2
	s_wait_xcnt 0x0
	s_or_b32 exec_lo, exec_lo, s78
	s_set_vgpr_msb 1                        ;  msbs: dst=0 src0=1 src1=0 src2=0
	ds_load_b128 v[62:65], v25 /*v281*/
	ds_load_b128 v[58:61], v11 /*v267*/ offset:256
	v_cmp_ne_u32_e32 vcc_lo, 1, v3
	s_and_b32 vcc_lo, exec_lo, vcc_lo
	s_wait_loadcnt_dscnt 0x1
	s_set_vgpr_msb 0                        ;  msbs: dst=0 src0=0 src1=0 src2=0
	v_mul_f64_e32 v[4:5], v[48:49], v[64:65]
	v_mul_f64_e32 v[72:73], v[46:47], v[64:65]
	;; [unrolled: 1-line block ×8, first 2 shown]
	v_fma_f64 v[70:71], v[46:47], v[62:63], -v[4:5]
	v_fmac_f64_e32 v[72:73], v[48:49], v[62:63]
	v_fma_f64 v[78:79], v[42:43], v[62:63], -v[66:67]
	v_fmac_f64_e32 v[80:81], v[44:45], v[62:63]
	;; [unrolled: 2-line block ×4, first 2 shown]
	s_set_vgpr_msb 1                        ;  msbs: dst=0 src0=1 src1=0 src2=0
	ds_load_b128 v[74:77], v11 /*v267*/ offset:272
	ds_load_b128 v[66:69], v11 /*v267*/ offset:288
	;; [unrolled: 1-line block ×3, first 2 shown]
	s_set_vgpr_msb 0                        ;  msbs: dst=0 src0=0 src1=0 src2=0
	v_add_nc_u64_e32 v[4:5], v[250:251], v[186:187]
	s_set_vgpr_msb 1                        ;  msbs: dst=0 src0=1 src1=0 src2=0
	ds_store_b128 v21 /*v277*/, v[70:73]
	ds_store_b128 v21 /*v277*/, v[78:81] offset:1072
	ds_store_b128 v21 /*v277*/, v[82:85] offset:2144
	;; [unrolled: 1-line block ×3, first 2 shown]
	s_wait_dscnt 0x0
	s_barrier_signal -1
	s_barrier_wait -1
	ds_load_b128 v[150:153], v14 /*v270*/
	ds_load_b128 v[146:149], v14 /*v270*/ offset:16
	ds_load_b128 v[138:141], v14 /*v270*/ offset:32
	;; [unrolled: 1-line block ×3, first 2 shown]
	s_wait_dscnt 0x0
	s_barrier_signal -1
	s_barrier_wait -1
	s_set_vgpr_msb 0                        ;  msbs: dst=0 src0=0 src1=0 src2=0
	s_cbranch_vccnz .LBB190_110
; %bb.103:                              ;   in Loop: Header=BB190_78 Depth=2
	v_mov_b64_e32 v[70:71], 0
	v_mov_b64_e32 v[78:79], 0
	;; [unrolled: 1-line block ×3, first 2 shown]
	s_mov_b32 s77, exec_lo
	s_set_vgpr_msb 4                        ;  msbs: dst=0 src0=0 src1=1 src2=0
	v_cmpx_gt_i32_e64 s76, v45 /*v301*/
	s_set_vgpr_msb 0                        ;  msbs: dst=0 src0=0 src1=0 src2=0
	s_cbranch_execz .LBB190_105
; %bb.104:                              ;   in Loop: Header=BB190_78 Depth=2
	flat_load_b128 v[78:81], v[4:5] offset:-8
.LBB190_105:                            ;   in Loop: Header=BB190_78 Depth=2
	s_wait_xcnt 0x0
	s_or_b32 exec_lo, exec_lo, s77
	v_mov_b64_e32 v[72:73], 0
	s_mov_b32 s77, exec_lo
	s_set_vgpr_msb 4                        ;  msbs: dst=0 src0=0 src1=1 src2=0
	v_cmpx_gt_i32_e64 s76, v46 /*v302*/
	s_set_vgpr_msb 0                        ;  msbs: dst=0 src0=0 src1=0 src2=0
	s_cbranch_execz .LBB190_107
; %bb.106:                              ;   in Loop: Header=BB190_78 Depth=2
	v_add_nc_u64_e32 v[70:71], v[254:255], v[186:187]
	flat_load_b128 v[70:73], v[70:71] offset:-8
.LBB190_107:                            ;   in Loop: Header=BB190_78 Depth=2
	s_wait_xcnt 0x0
	s_or_b32 exec_lo, exec_lo, s77
	v_mov_b64_e32 v[82:83], 0
	v_mov_b64_e32 v[84:85], 0
	s_mov_b32 s77, exec_lo
	s_set_vgpr_msb 4                        ;  msbs: dst=0 src0=0 src1=1 src2=0
	v_cmpx_gt_i32_e64 s76, v47 /*v303*/
	s_set_vgpr_msb 0                        ;  msbs: dst=0 src0=0 src1=0 src2=0
	s_cbranch_execz .LBB190_109
; %bb.108:                              ;   in Loop: Header=BB190_78 Depth=2
	s_set_vgpr_msb 1                        ;  msbs: dst=0 src0=1 src1=0 src2=0
	v_add_nc_u64_e32 v[82:83], v[2:3] /*v[258:259]*/, v[186:187]
	s_set_vgpr_msb 0                        ;  msbs: dst=0 src0=0 src1=0 src2=0
	flat_load_b128 v[82:85], v[82:83] offset:-8
.LBB190_109:                            ;   in Loop: Header=BB190_78 Depth=2
	s_wait_xcnt 0x0
	s_or_b32 exec_lo, exec_lo, s77
	s_set_vgpr_msb 4                        ;  msbs: dst=0 src0=0 src1=1 src2=0
	v_cmp_gt_i32_e64 s77, s76, v48 /*v304*/
	s_set_vgpr_msb 0                        ;  msbs: dst=0 src0=0 src1=0 src2=0
	s_branch .LBB190_112
.LBB190_110:                            ;   in Loop: Header=BB190_78 Depth=2
	s_mov_b32 s77, 0
                                        ; implicit-def: $vgpr84_vgpr85
                                        ; implicit-def: $vgpr72_vgpr73
                                        ; implicit-def: $vgpr80_vgpr81
	s_cbranch_execz .LBB190_112
; %bb.111:                              ;   in Loop: Header=BB190_78 Depth=2
	s_wait_loadcnt_dscnt 0x0
	v_add_nc_u64_e32 v[70:71], v[254:255], v[186:187]
	s_set_vgpr_msb 1                        ;  msbs: dst=0 src0=1 src1=0 src2=0
	v_add_nc_u64_e32 v[82:83], v[2:3] /*v[258:259]*/, v[186:187]
	s_or_b32 s77, s77, exec_lo
	s_set_vgpr_msb 0                        ;  msbs: dst=0 src0=0 src1=0 src2=0
	flat_load_b128 v[78:81], v[4:5] offset:-8
	flat_load_b128 v[70:73], v[70:71] offset:-8
	;; [unrolled: 1-line block ×3, first 2 shown]
.LBB190_112:                            ;   in Loop: Header=BB190_78 Depth=2
	v_mov_b64_e32 v[102:103], 0
	v_mov_b64_e32 v[104:105], 0
	s_wait_xcnt 0x0
	s_and_saveexec_b32 s78, s77
	s_cbranch_execz .LBB190_114
; %bb.113:                              ;   in Loop: Header=BB190_78 Depth=2
	v_add_nc_u64_e32 v[4:5], v[246:247], v[186:187]
	flat_load_b128 v[102:105], v[4:5] offset:-8
.LBB190_114:                            ;   in Loop: Header=BB190_78 Depth=2
	s_wait_xcnt 0x0
	s_or_b32 exec_lo, exec_lo, s78
	s_set_vgpr_msb 1                        ;  msbs: dst=0 src0=1 src1=0 src2=0
	ds_load_b128 v[106:109], v25 /*v281*/
	v_cmp_ne_u32_e32 vcc_lo, 1, v3
	s_and_b32 vcc_lo, exec_lo, vcc_lo
	s_wait_loadcnt_dscnt 0x0
	s_set_vgpr_msb 0                        ;  msbs: dst=0 src0=0 src1=0 src2=0
	v_mul_f64_e32 v[4:5], v[80:81], v[108:109]
	v_mul_f64_e32 v[120:121], v[78:79], v[108:109]
	;; [unrolled: 1-line block ×8, first 2 shown]
	v_fma_f64 v[118:119], v[78:79], v[106:107], -v[4:5]
	v_fmac_f64_e32 v[120:121], v[80:81], v[106:107]
	v_fma_f64 v[126:127], v[70:71], v[106:107], -v[110:111]
	v_fmac_f64_e32 v[128:129], v[72:73], v[106:107]
	;; [unrolled: 2-line block ×4, first 2 shown]
	s_set_vgpr_msb 1                        ;  msbs: dst=0 src0=1 src1=0 src2=0
	ds_load_b128 v[122:125], v11 /*v267*/ offset:512
	ds_load_b128 v[114:117], v11 /*v267*/ offset:528
	ds_load_b128 v[110:113], v11 /*v267*/ offset:544
	ds_load_b128 v[106:109], v11 /*v267*/ offset:560
	s_set_vgpr_msb 0                        ;  msbs: dst=0 src0=0 src1=0 src2=0
	v_add_nc_u64_e32 v[4:5], v[234:235], v[186:187]
	s_set_vgpr_msb 1                        ;  msbs: dst=0 src0=1 src1=0 src2=0
	ds_store_b128 v21 /*v277*/, v[118:121]
	ds_store_b128 v21 /*v277*/, v[126:129] offset:1072
	ds_store_b128 v21 /*v277*/, v[130:133] offset:2144
	;; [unrolled: 1-line block ×3, first 2 shown]
	s_wait_dscnt 0x0
	s_barrier_signal -1
	s_barrier_wait -1
	ds_load_b128 v[182:185], v14 /*v270*/
	ds_load_b128 v[178:181], v14 /*v270*/ offset:16
	ds_load_b128 v[174:177], v14 /*v270*/ offset:32
	;; [unrolled: 1-line block ×3, first 2 shown]
	s_wait_dscnt 0x0
	s_barrier_signal -1
	s_barrier_wait -1
	s_set_vgpr_msb 0                        ;  msbs: dst=0 src0=0 src1=0 src2=0
	s_cbranch_vccnz .LBB190_122
; %bb.115:                              ;   in Loop: Header=BB190_78 Depth=2
	v_mov_b64_e32 v[118:119], 0
	v_mov_b64_e32 v[126:127], 0
	;; [unrolled: 1-line block ×3, first 2 shown]
	s_mov_b32 s77, exec_lo
	s_set_vgpr_msb 4                        ;  msbs: dst=0 src0=0 src1=1 src2=0
	v_cmpx_gt_i32_e64 s76, v49 /*v305*/
	s_set_vgpr_msb 0                        ;  msbs: dst=0 src0=0 src1=0 src2=0
	s_cbranch_execz .LBB190_117
; %bb.116:                              ;   in Loop: Header=BB190_78 Depth=2
	flat_load_b128 v[126:129], v[4:5] offset:-8
.LBB190_117:                            ;   in Loop: Header=BB190_78 Depth=2
	s_wait_xcnt 0x0
	s_or_b32 exec_lo, exec_lo, s77
	v_mov_b64_e32 v[120:121], 0
	s_mov_b32 s77, exec_lo
	s_set_vgpr_msb 4                        ;  msbs: dst=0 src0=0 src1=1 src2=0
	v_cmpx_gt_i32_e64 s76, v50 /*v306*/
	s_set_vgpr_msb 0                        ;  msbs: dst=0 src0=0 src1=0 src2=0
	s_cbranch_execz .LBB190_119
; %bb.118:                              ;   in Loop: Header=BB190_78 Depth=2
	v_add_nc_u64_e32 v[118:119], v[238:239], v[186:187]
	flat_load_b128 v[118:121], v[118:119] offset:-8
.LBB190_119:                            ;   in Loop: Header=BB190_78 Depth=2
	s_wait_xcnt 0x0
	s_or_b32 exec_lo, exec_lo, s77
	v_mov_b64_e32 v[130:131], 0
	v_mov_b64_e32 v[132:133], 0
	s_mov_b32 s77, exec_lo
	s_set_vgpr_msb 4                        ;  msbs: dst=0 src0=0 src1=1 src2=0
	v_cmpx_gt_i32_e64 s76, v51 /*v307*/
	s_set_vgpr_msb 0                        ;  msbs: dst=0 src0=0 src1=0 src2=0
	s_cbranch_execz .LBB190_121
; %bb.120:                              ;   in Loop: Header=BB190_78 Depth=2
	v_add_nc_u64_e32 v[130:131], v[242:243], v[186:187]
	flat_load_b128 v[130:133], v[130:131]
.LBB190_121:                            ;   in Loop: Header=BB190_78 Depth=2
	s_wait_xcnt 0x0
	s_or_b32 exec_lo, exec_lo, s77
	s_set_vgpr_msb 4                        ;  msbs: dst=0 src0=0 src1=1 src2=0
	v_cmp_gt_i32_e64 s77, s76, v52 /*v308*/
	s_set_vgpr_msb 0                        ;  msbs: dst=0 src0=0 src1=0 src2=0
	s_branch .LBB190_124
.LBB190_122:                            ;   in Loop: Header=BB190_78 Depth=2
	s_mov_b32 s77, 0
                                        ; implicit-def: $vgpr132_vgpr133
                                        ; implicit-def: $vgpr120_vgpr121
                                        ; implicit-def: $vgpr128_vgpr129
	s_cbranch_execz .LBB190_124
; %bb.123:                              ;   in Loop: Header=BB190_78 Depth=2
	s_wait_loadcnt_dscnt 0x0
	v_add_nc_u64_e32 v[118:119], v[238:239], v[186:187]
	v_add_nc_u64_e32 v[130:131], v[242:243], v[186:187]
	s_or_b32 s77, s77, exec_lo
	flat_load_b128 v[126:129], v[4:5] offset:-8
	flat_load_b128 v[118:121], v[118:119] offset:-8
	flat_load_b128 v[130:133], v[130:131]
.LBB190_124:                            ;   in Loop: Header=BB190_78 Depth=2
	v_mov_b64_e32 v[142:143], 0
	v_mov_b64_e32 v[144:145], 0
	s_wait_xcnt 0x0
	s_and_saveexec_b32 s78, s77
	s_cbranch_execz .LBB190_126
; %bb.125:                              ;   in Loop: Header=BB190_78 Depth=2
	v_add_nc_u64_e32 v[4:5], v[230:231], v[186:187]
	flat_load_b128 v[142:145], v[4:5] offset:-8
.LBB190_126:                            ;   in Loop: Header=BB190_78 Depth=2
	s_wait_xcnt 0x0
	s_or_b32 exec_lo, exec_lo, s78
	s_set_vgpr_msb 1                        ;  msbs: dst=0 src0=1 src1=0 src2=0
	ds_load_b128 v[158:161], v25 /*v281*/
	ds_load_b128 v[154:157], v11 /*v267*/ offset:768
	v_add_f64_e32 v[150:151], 0, v[150:151]
	v_add_f64_e32 v[152:153], 0, v[152:153]
	s_set_vgpr_msb 4                        ;  msbs: dst=0 src0=0 src1=1 src2=0
	v_cmp_gt_i32_e32 vcc_lo, s76, v6 /*v262*/
	s_or_b32 s67, s67, vcc_lo
	s_delay_alu instid0(SALU_CYCLE_1)
	s_and_b32 s76, s15, s67
	s_wait_loadcnt_dscnt 0x1
	s_set_vgpr_msb 0                        ;  msbs: dst=0 src0=0 src1=0 src2=0
	v_mul_f64_e32 v[4:5], v[128:129], v[160:161]
	s_set_vgpr_msb 64                       ;  msbs: dst=1 src0=0 src1=0 src2=0
	v_mul_f64_e32 v[56:57] /*v[312:313]*/, v[126:127], v[160:161]
	s_set_vgpr_msb 0                        ;  msbs: dst=0 src0=0 src1=0 src2=0
	v_mul_f64_e32 v[162:163], v[120:121], v[160:161]
	s_set_vgpr_msb 64                       ;  msbs: dst=1 src0=0 src1=0 src2=0
	v_mul_f64_e32 v[60:61] /*v[316:317]*/, v[118:119], v[160:161]
	;; [unrolled: 4-line block ×4, first 2 shown]
	s_set_vgpr_msb 0                        ;  msbs: dst=0 src0=0 src1=0 src2=0
	v_add_f64_e32 v[146:147], v[150:151], v[146:147]
	v_add_f64_e32 v[148:149], v[152:153], v[148:149]
	s_set_vgpr_msb 64                       ;  msbs: dst=1 src0=0 src1=0 src2=0
	v_fma_f64 v[54:55] /*v[310:311]*/, v[126:127], v[158:159], -v[4:5]
	v_fmac_f64_e32 v[56:57] /*v[312:313]*/, v[128:129], v[158:159]
	v_fma_f64 v[58:59] /*v[314:315]*/, v[118:119], v[158:159], -v[162:163]
	v_fmac_f64_e32 v[60:61] /*v[316:317]*/, v[120:121], v[158:159]
	;; [unrolled: 2-line block ×4, first 2 shown]
	s_set_vgpr_msb 1                        ;  msbs: dst=0 src0=1 src1=0 src2=0
	ds_load_b128 v[166:169], v11 /*v267*/ offset:784
	ds_load_b128 v[162:165], v11 /*v267*/ offset:800
	;; [unrolled: 1-line block ×3, first 2 shown]
	v_add_f64_e32 v[4:5], 0, v[182:183]
	v_add_f64_e32 v[182:183], 0, v[184:185]
	;; [unrolled: 1-line block ×3, first 2 shown]
	s_set_vgpr_msb 5                        ;  msbs: dst=0 src0=1 src1=1 src2=0
	ds_store_b128 v21 /*v277*/, v[54:57] /*v[310:313]*/
	ds_store_b128 v21 /*v277*/, v[58:61] /*v[314:317]*/ offset:1072
	ds_store_b128 v21 /*v277*/, v[62:65] /*v[318:321]*/ offset:2144
	;; [unrolled: 1-line block ×3, first 2 shown]
	s_wait_dscnt 0x0
	s_barrier_signal -1
	s_barrier_wait -1
	s_set_vgpr_msb 0x41                     ;  msbs: dst=1 src0=1 src1=0 src2=0
	ds_load_b128 v[54:57] /*v[310:313]*/, v14 /*v270*/
	v_add_f64_e32 v[58:59] /*v[314:315]*/, 0, v[100:101]
	s_set_vgpr_msb 1                        ;  msbs: dst=0 src0=1 src1=0 src2=0
	ds_load_b128 v[98:101], v14 /*v270*/ offset:16
	s_set_vgpr_msb 0                        ;  msbs: dst=0 src0=0 src1=0 src2=0
	v_add_f64_e32 v[150:151], v[184:185], v[94:95]
	v_add_f64_e32 v[4:5], v[4:5], v[178:179]
	v_add_f64_e32 v[178:179], v[182:183], v[180:181]
	v_add_f64_e32 v[138:139], v[146:147], v[138:139]
	v_add_f64_e32 v[140:141], v[148:149], v[140:141]
	s_wait_dscnt 0x1
	s_set_vgpr_msb 0x44                     ;  msbs: dst=1 src0=0 src1=1 src2=0
	v_add_f64_e32 v[54:55] /*v[310:311]*/, 0, v[54:55] /*v[310:311]*/
	v_add_f64_e32 v[56:57] /*v[312:313]*/, 0, v[56:57] /*v[312:313]*/
	s_set_vgpr_msb 1                        ;  msbs: dst=0 src0=1 src1=0 src2=0
	v_add_f64_e32 v[152:153], v[58:59] /*v[314:315]*/, v[96:97]
	ds_load_b128 v[94:97], v14 /*v270*/ offset:32
	s_set_vgpr_msb 0                        ;  msbs: dst=0 src0=0 src1=0 src2=0
	v_add_f64_e32 v[146:147], v[150:151], v[90:91]
	v_add_f64_e32 v[4:5], v[4:5], v[174:175]
	;; [unrolled: 1-line block ×3, first 2 shown]
	s_wait_dscnt 0x1
	s_set_vgpr_msb 1                        ;  msbs: dst=0 src0=1 src1=0 src2=0
	v_add_f64_e32 v[98:99], v[54:55] /*v[310:311]*/, v[98:99]
	v_add_f64_e32 v[100:101], v[56:57] /*v[312:313]*/, v[100:101]
	s_set_vgpr_msb 0                        ;  msbs: dst=0 src0=0 src1=0 src2=0
	v_add_f64_e32 v[148:149], v[152:153], v[92:93]
	s_set_vgpr_msb 1                        ;  msbs: dst=0 src0=1 src1=0 src2=0
	ds_load_b128 v[90:93], v14 /*v270*/ offset:48
	s_set_vgpr_msb 0                        ;  msbs: dst=0 src0=0 src1=0 src2=0
	v_add_f64_e32 v[86:87], v[146:147], v[86:87]
	s_wait_dscnt 0x0
	s_barrier_signal -1
	s_barrier_wait -1
	v_add_f64_e32 v[150:151], v[98:99], v[94:95]
	v_add_f64_e32 v[152:153], v[100:101], v[96:97]
	;; [unrolled: 1-line block ×9, first 2 shown]
	s_set_vgpr_msb 1                        ;  msbs: dst=0 src0=1 src1=0 src2=0
	ds_store_b128 v24 /*v280*/, v[86:89]
	ds_store_b128 v24 /*v280*/, v[98:101] offset:256
	ds_store_b128 v24 /*v280*/, v[94:97] offset:512
	;; [unrolled: 1-line block ×3, first 2 shown]
	s_wait_dscnt 0x0
	s_barrier_signal -1
	s_barrier_wait -1
	s_and_saveexec_b32 s67, s76
	s_set_vgpr_msb 0                        ;  msbs: dst=0 src0=0 src1=0 src2=0
	s_cbranch_execz .LBB190_128
; %bb.127:                              ;   in Loop: Header=BB190_78 Depth=2
	s_set_vgpr_msb 1                        ;  msbs: dst=0 src0=1 src1=0 src2=0
	ds_load_b128 v[86:89], v15 /*v271*/
	ds_load_b128 v[90:93], v15 /*v271*/ offset:16
	s_set_vgpr_msb 4                        ;  msbs: dst=0 src0=0 src1=1 src2=0
	v_add_nc_u32_e32 v3, s66, v6 /*v262*/
	s_wait_dscnt 0x0
	s_set_vgpr_msb 0                        ;  msbs: dst=0 src0=0 src1=0 src2=0
	v_add_f64_e32 v[4:5], v[90:91], v[86:87]
	v_add_f64_e32 v[94:95], v[92:93], v[88:89]
	s_set_vgpr_msb 1                        ;  msbs: dst=0 src0=1 src1=0 src2=0
	ds_load_b128 v[86:89], v15 /*v271*/ offset:32
	ds_load_b128 v[90:93], v15 /*v271*/ offset:48
	s_wait_dscnt 0x1
	s_set_vgpr_msb 0                        ;  msbs: dst=0 src0=0 src1=0 src2=0
	v_add_f64_e32 v[4:5], v[4:5], v[86:87]
	v_add_f64_e32 v[86:87], v[94:95], v[88:89]
	s_wait_dscnt 0x0
	s_delay_alu instid0(VALU_DEP_2) | instskip(NEXT) | instid1(VALU_DEP_2)
	v_add_f64_e32 v[4:5], v[4:5], v[90:91]
	v_add_f64_e32 v[94:95], v[86:87], v[92:93]
	s_set_vgpr_msb 1                        ;  msbs: dst=0 src0=1 src1=0 src2=0
	ds_load_b128 v[86:89], v15 /*v271*/ offset:64
	ds_load_b128 v[90:93], v15 /*v271*/ offset:80
	s_wait_dscnt 0x1
	s_set_vgpr_msb 0                        ;  msbs: dst=0 src0=0 src1=0 src2=0
	v_add_f64_e32 v[4:5], v[4:5], v[86:87]
	v_add_f64_e32 v[86:87], v[94:95], v[88:89]
	s_wait_dscnt 0x0
	s_delay_alu instid0(VALU_DEP_2) | instskip(NEXT) | instid1(VALU_DEP_2)
	;; [unrolled: 11-line block ×6, first 2 shown]
	v_add_f64_e32 v[4:5], v[4:5], v[90:91]
	v_add_f64_e32 v[94:95], v[86:87], v[92:93]
	s_set_vgpr_msb 1                        ;  msbs: dst=0 src0=1 src1=0 src2=0
	ds_load_b128 v[86:89], v15 /*v271*/ offset:224
	ds_load_b128 v[90:93], v16 /*v272*/
	s_wait_dscnt 0x1
	s_set_vgpr_msb 0                        ;  msbs: dst=0 src0=0 src1=0 src2=0
	v_add_f64_e32 v[4:5], v[4:5], v[86:87]
	v_add_f64_e32 v[88:89], v[94:95], v[88:89]
	s_wait_dscnt 0x0
	s_delay_alu instid0(VALU_DEP_2) | instskip(NEXT) | instid1(VALU_DEP_2)
	v_add_f64_e32 v[86:87], v[4:5], v[90:91]
	v_add_f64_e32 v[88:89], v[88:89], v[92:93]
	global_store_b128 v3, v[86:89], s[64:65] scale_offset
.LBB190_128:                            ;   in Loop: Header=BB190_78 Depth=2
	s_wait_xcnt 0x0
	s_or_b32 exec_lo, exec_lo, s67
	v_mul_f64_e32 v[4:5], v[16:17], v[28:29]
	v_mul_f64_e32 v[28:29], v[14:15], v[28:29]
	;; [unrolled: 1-line block ×4, first 2 shown]
	v_add_nc_u64_e32 v[228:229], s[56:57], v[228:229]
	v_add_nc_u64_e32 v[230:231], s[56:57], v[230:231]
	;; [unrolled: 1-line block ×14, first 2 shown]
	s_set_vgpr_msb 0x44                     ;  msbs: dst=1 src0=0 src1=1 src2=0
	v_add_nc_u64_e32 v[0:1] /*v[256:257]*/, s[56:57], v[0:1] /*v[256:257]*/
	v_add_nc_u64_e32 v[2:3] /*v[258:259]*/, s[56:57], v[2:3] /*v[258:259]*/
	s_add_co_i32 s67, s75, 1
	s_add_co_i32 s75, s75, 2
	;; [unrolled: 1-line block ×3, first 2 shown]
	s_cmp_ge_u32 s75, s30
	s_wait_storecnt 0x0
	s_barrier_signal -1
	s_barrier_wait -1
	s_set_vgpr_msb 0                        ;  msbs: dst=0 src0=0 src1=0 src2=0
	v_fma_f64 v[4:5], v[14:15], v[26:27], -v[4:5]
	v_fmac_f64_e32 v[28:29], v[16:17], v[26:27]
	v_mul_f64_e32 v[14:15], v[20:21], v[36:37]
	v_mul_f64_e32 v[16:17], v[18:19], v[36:37]
	v_fma_f64 v[10:11], v[10:11], v[38:39], -v[86:87]
	v_fmac_f64_e32 v[40:41], v[12:13], v[38:39]
	v_mul_f64_e32 v[12:13], v[22:23], v[32:33]
	v_add_f64_e32 v[4:5], v[6:7], v[4:5]
	v_add_f64_e32 v[6:7], v[8:9], v[28:29]
	v_mul_f64_e32 v[8:9], v[24:25], v[32:33]
	v_fma_f64 v[14:15], v[18:19], v[34:35], -v[14:15]
	v_fmac_f64_e32 v[16:17], v[20:21], v[34:35]
	v_mul_f64_e32 v[18:19], v[46:47], v[60:61]
	v_fmac_f64_e32 v[12:13], v[24:25], v[30:31]
	v_add_f64_e32 v[4:5], v[4:5], v[10:11]
	v_add_f64_e32 v[6:7], v[6:7], v[40:41]
	v_mul_f64_e32 v[10:11], v[48:49], v[60:61]
	v_fma_f64 v[8:9], v[22:23], v[30:31], -v[8:9]
	v_fmac_f64_e32 v[18:19], v[48:49], v[58:59]
	v_add_f64_e32 v[4:5], v[4:5], v[14:15]
	v_add_f64_e32 v[6:7], v[6:7], v[16:17]
	v_mul_f64_e32 v[14:15], v[44:45], v[76:77]
	v_mul_f64_e32 v[16:17], v[42:43], v[76:77]
	v_fma_f64 v[10:11], v[46:47], v[58:59], -v[10:11]
	v_add_f64_e32 v[4:5], v[4:5], v[8:9]
	v_add_f64_e32 v[6:7], v[6:7], v[12:13]
	v_mul_f64_e32 v[8:9], v[52:53], v[68:69]
	v_mul_f64_e32 v[12:13], v[50:51], v[68:69]
	v_fma_f64 v[14:15], v[42:43], v[74:75], -v[14:15]
	v_fmac_f64_e32 v[16:17], v[44:45], v[74:75]
	v_add_f64_e32 v[4:5], v[4:5], v[10:11]
	v_add_f64_e32 v[6:7], v[6:7], v[18:19]
	v_mul_f64_e32 v[10:11], v[56:57], v[64:65]
	v_mul_f64_e32 v[18:19], v[54:55], v[64:65]
	v_fma_f64 v[8:9], v[50:51], v[66:67], -v[8:9]
	v_fmac_f64_e32 v[12:13], v[52:53], v[66:67]
	;; [unrolled: 6-line block ×10, first 2 shown]
	v_add_f64_e32 v[4:5], v[4:5], v[10:11]
	v_add_f64_e32 v[6:7], v[6:7], v[18:19]
	v_fma_f64 v[8:9], v[142:143], v[158:159], -v[8:9]
	v_fmac_f64_e32 v[12:13], v[144:145], v[158:159]
	s_delay_alu instid0(VALU_DEP_4) | instskip(NEXT) | instid1(VALU_DEP_4)
	v_add_f64_e32 v[4:5], v[4:5], v[14:15]
	v_add_f64_e32 v[10:11], v[6:7], v[16:17]
	s_delay_alu instid0(VALU_DEP_2) | instskip(NEXT) | instid1(VALU_DEP_2)
	v_add_f64_e32 v[6:7], v[4:5], v[8:9]
	v_add_f64_e32 v[8:9], v[10:11], v[12:13]
	s_cbranch_scc1 .LBB190_130
; %bb.129:                              ;   in Loop: Header=BB190_78 Depth=2
	s_mov_b32 s75, s67
	s_delay_alu instid0(SALU_CYCLE_1)
	s_cmp_eq_u32 s72, s75
	s_cselect_b32 s76, s31, 0
	s_and_saveexec_b32 s77, s0
	s_cbranch_execnz .LBB190_74
	s_branch .LBB190_78
.LBB190_130:                            ;   in Loop: Header=BB190_4 Depth=1
	s_set_vgpr_msb 1                        ;  msbs: dst=0 src0=1 src1=0 src2=0
	ds_store_b128 v22 /*v278*/, v[6:9]
	s_wait_dscnt 0x0
	s_barrier_signal -1
	s_barrier_wait -1
	s_and_saveexec_b32 s66, s73
	s_set_vgpr_msb 0                        ;  msbs: dst=0 src0=0 src1=0 src2=0
	s_cbranch_execz .LBB190_2
; %bb.131:                              ;   in Loop: Header=BB190_4 Depth=1
	ds_load_b128 v[4:7], v186 offset:1072
	ds_load_b128 v[8:11], v186
	s_wait_dscnt 0x0
	v_add_f64_e32 v[12:13], v[4:5], v[8:9]
	v_add_f64_e32 v[14:15], v[6:7], v[10:11]
	ds_load_b128 v[4:7], v186 offset:2144
	ds_load_b128 v[8:11], v186 offset:3216
	s_wait_dscnt 0x1
	v_add_f64_e32 v[4:5], v[12:13], v[4:5]
	v_add_f64_e32 v[6:7], v[14:15], v[6:7]
	s_wait_dscnt 0x0
	s_delay_alu instid0(VALU_DEP_2) | instskip(NEXT) | instid1(VALU_DEP_2)
	v_add_f64_e32 v[4:5], v[4:5], v[8:9]
	v_add_f64_e32 v[6:7], v[6:7], v[10:11]
	v_lshl_add_u64 v[8:9], v[190:191], 4, s[64:65]
	global_store_b128 v[8:9], v[4:7], off
	s_branch .LBB190_2
.LBB190_132:                            ;   in Loop: Header=BB190_4 Depth=1
	s_set_vgpr_msb 1                        ;  msbs: dst=0 src0=1 src1=0 src2=0
	ds_load_b128 v[6:9], v10 /*v266*/
	s_wait_dscnt 0x0
	ds_store_b128 v8 /*v264*/, v[6:9]
	s_or_b32 exec_lo, exec_lo, s64
	s_and_saveexec_b32 s64, s7
	s_set_vgpr_msb 0                        ;  msbs: dst=0 src0=0 src1=0 src2=0
	s_cbranch_execz .LBB190_28
.LBB190_133:                            ;   in Loop: Header=BB190_4 Depth=1
	s_set_vgpr_msb 1                        ;  msbs: dst=0 src0=1 src1=0 src2=0
	ds_load_b128 v[6:9], v9 /*v265*/
	s_wait_dscnt 0x0
	ds_store_b128 v29 /*v285*/, v[6:9]
	s_or_b32 exec_lo, exec_lo, s64
	s_and_saveexec_b32 s64, s8
	s_set_vgpr_msb 0                        ;  msbs: dst=0 src0=0 src1=0 src2=0
	s_cbranch_execz .LBB190_29
.LBB190_134:                            ;   in Loop: Header=BB190_4 Depth=1
	s_set_vgpr_msb 1                        ;  msbs: dst=0 src0=1 src1=0 src2=0
	ds_load_b128 v[6:9], v31 /*v287*/
	s_wait_dscnt 0x0
	ds_store_b128 v30 /*v286*/, v[6:9]
	s_or_b32 exec_lo, exec_lo, s64
	s_and_saveexec_b32 s64, s9
	s_set_vgpr_msb 0                        ;  msbs: dst=0 src0=0 src1=0 src2=0
	s_cbranch_execnz .LBB190_30
	s_branch .LBB190_31
.LBB190_135:                            ;   in Loop: Header=BB190_4 Depth=1
	s_set_vgpr_msb 1                        ;  msbs: dst=0 src0=1 src1=0 src2=0
	ds_load_b128 v[12:15], v10 /*v266*/
	s_wait_dscnt 0x0
	ds_store_b128 v17 /*v273*/, v[12:15]
	s_or_b32 exec_lo, exec_lo, s64
	s_and_saveexec_b32 s64, s7
	s_set_vgpr_msb 0                        ;  msbs: dst=0 src0=0 src1=0 src2=0
	s_cbranch_execz .LBB190_49
.LBB190_136:                            ;   in Loop: Header=BB190_4 Depth=1
	s_set_vgpr_msb 1                        ;  msbs: dst=0 src0=1 src1=0 src2=0
	ds_load_b128 v[12:15], v9 /*v265*/
	s_wait_dscnt 0x0
	ds_store_b128 v34 /*v290*/, v[12:15]
	s_or_b32 exec_lo, exec_lo, s64
	s_and_saveexec_b32 s64, s8
	s_set_vgpr_msb 0                        ;  msbs: dst=0 src0=0 src1=0 src2=0
	s_cbranch_execz .LBB190_50
.LBB190_137:                            ;   in Loop: Header=BB190_4 Depth=1
	s_set_vgpr_msb 1                        ;  msbs: dst=0 src0=1 src1=0 src2=0
	ds_load_b128 v[12:15], v31 /*v287*/
	s_wait_dscnt 0x0
	ds_store_b128 v35 /*v291*/, v[12:15]
	s_or_b32 exec_lo, exec_lo, s64
	s_and_saveexec_b32 s64, s9
	s_set_vgpr_msb 0                        ;  msbs: dst=0 src0=0 src1=0 src2=0
	s_cbranch_execnz .LBB190_51
	s_branch .LBB190_52
.LBB190_138:                            ;   in Loop: Header=BB190_4 Depth=1
	flat_load_b128 v[10:13], v[8:9]
	s_wait_loadcnt_dscnt 0x0
	s_set_vgpr_msb 1                        ;  msbs: dst=0 src0=1 src1=0 src2=0
	ds_store_2addr_b64 v7 /*v263*/, v[10:11], v[12:13] offset1:1
	s_wait_xcnt 0x0
	s_or_b32 exec_lo, exec_lo, s64
	s_and_saveexec_b32 s64, s3
	s_delay_alu instid0(SALU_CYCLE_1)
	s_xor_b32 s64, exec_lo, s64
	s_set_vgpr_msb 0                        ;  msbs: dst=0 src0=0 src1=0 src2=0
	s_cbranch_execz .LBB190_17
.LBB190_139:                            ;   in Loop: Header=BB190_4 Depth=1
	v_dual_mov_b32 v3, v2 :: v_dual_mov_b32 v4, v2
	v_mov_b32_e32 v5, v2
	s_set_vgpr_msb 1                        ;  msbs: dst=0 src0=1 src1=0 src2=0
	ds_store_b128 v26 /*v282*/, v[2:5]
	s_and_not1_saveexec_b32 s64, s64
	s_set_vgpr_msb 0                        ;  msbs: dst=0 src0=0 src1=0 src2=0
	s_cbranch_execz .LBB190_18
.LBB190_140:                            ;   in Loop: Header=BB190_4 Depth=1
	v_add_nc_u64_e32 v[4:5], s[44:45], v[8:9]
	flat_load_b128 v[10:13], v[4:5]
	s_wait_loadcnt_dscnt 0x0
	s_set_vgpr_msb 1                        ;  msbs: dst=0 src0=1 src1=0 src2=0
	ds_store_2addr_b64 v26 /*v282*/, v[10:11], v[12:13] offset1:1
	s_wait_xcnt 0x0
	s_or_b32 exec_lo, exec_lo, s64
	s_and_saveexec_b32 s64, s4
	s_delay_alu instid0(SALU_CYCLE_1)
	s_xor_b32 s64, exec_lo, s64
	s_set_vgpr_msb 0                        ;  msbs: dst=0 src0=0 src1=0 src2=0
	s_cbranch_execz .LBB190_19
.LBB190_141:                            ;   in Loop: Header=BB190_4 Depth=1
	v_dual_mov_b32 v3, v2 :: v_dual_mov_b32 v4, v2
	v_mov_b32_e32 v5, v2
	s_set_vgpr_msb 1                        ;  msbs: dst=0 src0=1 src1=0 src2=0
	ds_store_b128 v27 /*v283*/, v[2:5]
	s_and_not1_saveexec_b32 s64, s64
	s_set_vgpr_msb 0                        ;  msbs: dst=0 src0=0 src1=0 src2=0
	s_cbranch_execz .LBB190_20
.LBB190_142:                            ;   in Loop: Header=BB190_4 Depth=1
	v_add_nc_u64_e32 v[4:5], s[46:47], v[8:9]
	flat_load_b128 v[10:13], v[4:5]
	s_wait_loadcnt_dscnt 0x0
	s_set_vgpr_msb 1                        ;  msbs: dst=0 src0=1 src1=0 src2=0
	ds_store_2addr_b64 v27 /*v283*/, v[10:11], v[12:13] offset1:1
	s_wait_xcnt 0x0
	s_or_b32 exec_lo, exec_lo, s64
	s_and_saveexec_b32 s64, s5
	s_delay_alu instid0(SALU_CYCLE_1)
	s_xor_b32 s64, exec_lo, s64
	s_set_vgpr_msb 0                        ;  msbs: dst=0 src0=0 src1=0 src2=0
	s_cbranch_execz .LBB190_21
.LBB190_143:                            ;   in Loop: Header=BB190_4 Depth=1
	v_dual_mov_b32 v3, v2 :: v_dual_mov_b32 v4, v2
	v_mov_b32_e32 v5, v2
	s_set_vgpr_msb 1                        ;  msbs: dst=0 src0=1 src1=0 src2=0
	ds_store_b128 v28 /*v284*/, v[2:5]
	s_and_not1_saveexec_b32 s64, s64
	s_set_vgpr_msb 0                        ;  msbs: dst=0 src0=0 src1=0 src2=0
	s_cbranch_execnz .LBB190_22
	s_branch .LBB190_23
.LBB190_144:                            ;   in Loop: Header=BB190_4 Depth=1
	flat_load_b128 v[16:19], v[10:11]
	s_wait_loadcnt_dscnt 0x0
	s_set_vgpr_msb 1                        ;  msbs: dst=0 src0=1 src1=0 src2=0
	ds_store_2addr_b64 v7 /*v263*/, v[16:17], v[18:19] offset1:1
	s_wait_xcnt 0x0
	s_or_b32 exec_lo, exec_lo, s64
	s_and_saveexec_b32 s64, s11
	s_delay_alu instid0(SALU_CYCLE_1)
	s_xor_b32 s64, exec_lo, s64
	s_set_vgpr_msb 0                        ;  msbs: dst=0 src0=0 src1=0 src2=0
	s_cbranch_execz .LBB190_38
.LBB190_145:                            ;   in Loop: Header=BB190_4 Depth=1
	v_dual_mov_b32 v3, v2 :: v_dual_mov_b32 v4, v2
	v_mov_b32_e32 v5, v2
	s_set_vgpr_msb 1                        ;  msbs: dst=0 src0=1 src1=0 src2=0
	ds_store_b128 v26 /*v282*/, v[2:5]
	s_and_not1_saveexec_b32 s64, s64
	s_set_vgpr_msb 0                        ;  msbs: dst=0 src0=0 src1=0 src2=0
	s_cbranch_execz .LBB190_39
.LBB190_146:                            ;   in Loop: Header=BB190_4 Depth=1
	v_add_nc_u64_e32 v[4:5], s[44:45], v[10:11]
	flat_load_b128 v[16:19], v[4:5]
	s_wait_loadcnt_dscnt 0x0
	s_set_vgpr_msb 1                        ;  msbs: dst=0 src0=1 src1=0 src2=0
	ds_store_2addr_b64 v26 /*v282*/, v[16:17], v[18:19] offset1:1
	s_wait_xcnt 0x0
	s_or_b32 exec_lo, exec_lo, s64
	s_and_saveexec_b32 s64, s12
	s_delay_alu instid0(SALU_CYCLE_1)
	s_xor_b32 s64, exec_lo, s64
	s_set_vgpr_msb 0                        ;  msbs: dst=0 src0=0 src1=0 src2=0
	s_cbranch_execz .LBB190_40
.LBB190_147:                            ;   in Loop: Header=BB190_4 Depth=1
	v_dual_mov_b32 v3, v2 :: v_dual_mov_b32 v4, v2
	v_mov_b32_e32 v5, v2
	s_set_vgpr_msb 1                        ;  msbs: dst=0 src0=1 src1=0 src2=0
	ds_store_b128 v27 /*v283*/, v[2:5]
	s_and_not1_saveexec_b32 s64, s64
	s_set_vgpr_msb 0                        ;  msbs: dst=0 src0=0 src1=0 src2=0
	s_cbranch_execz .LBB190_41
.LBB190_148:                            ;   in Loop: Header=BB190_4 Depth=1
	v_add_nc_u64_e32 v[4:5], s[46:47], v[10:11]
	flat_load_b128 v[16:19], v[4:5]
	s_wait_loadcnt_dscnt 0x0
	s_set_vgpr_msb 1                        ;  msbs: dst=0 src0=1 src1=0 src2=0
	ds_store_2addr_b64 v27 /*v283*/, v[16:17], v[18:19] offset1:1
	s_wait_xcnt 0x0
	s_or_b32 exec_lo, exec_lo, s64
	s_and_saveexec_b32 s64, s13
	s_delay_alu instid0(SALU_CYCLE_1)
	s_xor_b32 s64, exec_lo, s64
	s_set_vgpr_msb 0                        ;  msbs: dst=0 src0=0 src1=0 src2=0
	s_cbranch_execz .LBB190_42
.LBB190_149:                            ;   in Loop: Header=BB190_4 Depth=1
	v_dual_mov_b32 v3, v2 :: v_dual_mov_b32 v4, v2
	v_mov_b32_e32 v5, v2
	s_set_vgpr_msb 1                        ;  msbs: dst=0 src0=1 src1=0 src2=0
	ds_store_b128 v28 /*v284*/, v[2:5]
	s_and_not1_saveexec_b32 s64, s64
	s_set_vgpr_msb 0                        ;  msbs: dst=0 src0=0 src1=0 src2=0
	s_cbranch_execnz .LBB190_43
	s_branch .LBB190_44
.LBB190_150:                            ;   in Loop: Header=BB190_4 Depth=1
	flat_load_b128 v[16:19], v[14:15]
	s_wait_loadcnt_dscnt 0x0
	s_set_vgpr_msb 1                        ;  msbs: dst=0 src0=1 src1=0 src2=0
	ds_store_2addr_b64 v7 /*v263*/, v[16:17], v[18:19] offset1:1
	s_wait_xcnt 0x0
	s_or_b32 exec_lo, exec_lo, s64
	s_and_saveexec_b32 s64, s11
	s_delay_alu instid0(SALU_CYCLE_1)
	s_xor_b32 s64, exec_lo, s64
	s_set_vgpr_msb 0                        ;  msbs: dst=0 src0=0 src1=0 src2=0
	s_cbranch_execz .LBB190_59
.LBB190_151:                            ;   in Loop: Header=BB190_4 Depth=1
	v_dual_mov_b32 v3, v2 :: v_dual_mov_b32 v4, v2
	v_mov_b32_e32 v5, v2
	s_set_vgpr_msb 1                        ;  msbs: dst=0 src0=1 src1=0 src2=0
	ds_store_b128 v26 /*v282*/, v[2:5]
	s_and_not1_saveexec_b32 s64, s64
	s_set_vgpr_msb 0                        ;  msbs: dst=0 src0=0 src1=0 src2=0
	s_cbranch_execz .LBB190_60
.LBB190_152:                            ;   in Loop: Header=BB190_4 Depth=1
	v_add_nc_u64_e32 v[4:5], s[44:45], v[14:15]
	flat_load_b128 v[16:19], v[4:5]
	s_wait_loadcnt_dscnt 0x0
	s_set_vgpr_msb 1                        ;  msbs: dst=0 src0=1 src1=0 src2=0
	ds_store_2addr_b64 v26 /*v282*/, v[16:17], v[18:19] offset1:1
	s_wait_xcnt 0x0
	s_or_b32 exec_lo, exec_lo, s64
	s_and_saveexec_b32 s64, s12
	s_delay_alu instid0(SALU_CYCLE_1)
	s_xor_b32 s64, exec_lo, s64
	s_set_vgpr_msb 0                        ;  msbs: dst=0 src0=0 src1=0 src2=0
	s_cbranch_execz .LBB190_61
.LBB190_153:                            ;   in Loop: Header=BB190_4 Depth=1
	v_dual_mov_b32 v3, v2 :: v_dual_mov_b32 v4, v2
	v_mov_b32_e32 v5, v2
	s_set_vgpr_msb 1                        ;  msbs: dst=0 src0=1 src1=0 src2=0
	ds_store_b128 v27 /*v283*/, v[2:5]
	s_and_not1_saveexec_b32 s64, s64
	s_set_vgpr_msb 0                        ;  msbs: dst=0 src0=0 src1=0 src2=0
	s_cbranch_execz .LBB190_62
.LBB190_154:                            ;   in Loop: Header=BB190_4 Depth=1
	v_add_nc_u64_e32 v[4:5], s[46:47], v[14:15]
	flat_load_b128 v[16:19], v[4:5]
	s_wait_loadcnt_dscnt 0x0
	s_set_vgpr_msb 1                        ;  msbs: dst=0 src0=1 src1=0 src2=0
	ds_store_2addr_b64 v27 /*v283*/, v[16:17], v[18:19] offset1:1
	s_wait_xcnt 0x0
	s_or_b32 exec_lo, exec_lo, s64
	s_and_saveexec_b32 s64, s13
	s_delay_alu instid0(SALU_CYCLE_1)
	s_xor_b32 s64, exec_lo, s64
	s_set_vgpr_msb 0                        ;  msbs: dst=0 src0=0 src1=0 src2=0
	s_cbranch_execz .LBB190_63
.LBB190_155:                            ;   in Loop: Header=BB190_4 Depth=1
	v_dual_mov_b32 v3, v2 :: v_dual_mov_b32 v4, v2
	v_mov_b32_e32 v5, v2
	s_set_vgpr_msb 1                        ;  msbs: dst=0 src0=1 src1=0 src2=0
	ds_store_b128 v28 /*v284*/, v[2:5]
	s_and_not1_saveexec_b32 s64, s64
	s_set_vgpr_msb 0                        ;  msbs: dst=0 src0=0 src1=0 src2=0
	s_cbranch_execnz .LBB190_64
	s_branch .LBB190_65
.LBB190_156:
	s_sendmsg sendmsg(MSG_DEALLOC_VGPRS)
	s_endpgm
	.section	.rodata,"a",@progbits
	.p2align	6, 0x0
	.amdhsa_kernel _ZL26rocblas_hemvn_kernel_upperILb0ELi64ELi4ELi33ELi32ELi16El19rocblas_complex_numIdEPKPKS1_PS1_EviT6_lT7_lT5_lS8_lS9_lS7_lT8_i
		.amdhsa_group_segment_fixed_size 19200
		.amdhsa_private_segment_fixed_size 0
		.amdhsa_kernarg_size 392
		.amdhsa_user_sgpr_count 2
		.amdhsa_user_sgpr_dispatch_ptr 0
		.amdhsa_user_sgpr_queue_ptr 0
		.amdhsa_user_sgpr_kernarg_segment_ptr 1
		.amdhsa_user_sgpr_dispatch_id 0
		.amdhsa_user_sgpr_kernarg_preload_length 0
		.amdhsa_user_sgpr_kernarg_preload_offset 0
		.amdhsa_user_sgpr_private_segment_size 0
		.amdhsa_wavefront_size32 1
		.amdhsa_uses_dynamic_stack 0
		.amdhsa_enable_private_segment 0
		.amdhsa_system_sgpr_workgroup_id_x 1
		.amdhsa_system_sgpr_workgroup_id_y 0
		.amdhsa_system_sgpr_workgroup_id_z 1
		.amdhsa_system_sgpr_workgroup_info 0
		.amdhsa_system_vgpr_workitem_id 1
		.amdhsa_next_free_vgpr 326
		.amdhsa_next_free_sgpr 80
		.amdhsa_named_barrier_count 0
		.amdhsa_reserve_vcc 1
		.amdhsa_float_round_mode_32 0
		.amdhsa_float_round_mode_16_64 0
		.amdhsa_float_denorm_mode_32 3
		.amdhsa_float_denorm_mode_16_64 3
		.amdhsa_fp16_overflow 0
		.amdhsa_memory_ordered 1
		.amdhsa_forward_progress 1
		.amdhsa_inst_pref_size 81
		.amdhsa_round_robin_scheduling 0
		.amdhsa_exception_fp_ieee_invalid_op 0
		.amdhsa_exception_fp_denorm_src 0
		.amdhsa_exception_fp_ieee_div_zero 0
		.amdhsa_exception_fp_ieee_overflow 0
		.amdhsa_exception_fp_ieee_underflow 0
		.amdhsa_exception_fp_ieee_inexact 0
		.amdhsa_exception_int_div_zero 0
	.end_amdhsa_kernel
	.section	.text._ZL26rocblas_hemvn_kernel_upperILb0ELi64ELi4ELi33ELi32ELi16El19rocblas_complex_numIdEPKPKS1_PS1_EviT6_lT7_lT5_lS8_lS9_lS7_lT8_i,"axG",@progbits,_ZL26rocblas_hemvn_kernel_upperILb0ELi64ELi4ELi33ELi32ELi16El19rocblas_complex_numIdEPKPKS1_PS1_EviT6_lT7_lT5_lS8_lS9_lS7_lT8_i,comdat
.Lfunc_end190:
	.size	_ZL26rocblas_hemvn_kernel_upperILb0ELi64ELi4ELi33ELi32ELi16El19rocblas_complex_numIdEPKPKS1_PS1_EviT6_lT7_lT5_lS8_lS9_lS7_lT8_i, .Lfunc_end190-_ZL26rocblas_hemvn_kernel_upperILb0ELi64ELi4ELi33ELi32ELi16El19rocblas_complex_numIdEPKPKS1_PS1_EviT6_lT7_lT5_lS8_lS9_lS7_lT8_i
                                        ; -- End function
	.set _ZL26rocblas_hemvn_kernel_upperILb0ELi64ELi4ELi33ELi32ELi16El19rocblas_complex_numIdEPKPKS1_PS1_EviT6_lT7_lT5_lS8_lS9_lS7_lT8_i.num_vgpr, 326
	.set _ZL26rocblas_hemvn_kernel_upperILb0ELi64ELi4ELi33ELi32ELi16El19rocblas_complex_numIdEPKPKS1_PS1_EviT6_lT7_lT5_lS8_lS9_lS7_lT8_i.num_agpr, 0
	.set _ZL26rocblas_hemvn_kernel_upperILb0ELi64ELi4ELi33ELi32ELi16El19rocblas_complex_numIdEPKPKS1_PS1_EviT6_lT7_lT5_lS8_lS9_lS7_lT8_i.numbered_sgpr, 80
	.set _ZL26rocblas_hemvn_kernel_upperILb0ELi64ELi4ELi33ELi32ELi16El19rocblas_complex_numIdEPKPKS1_PS1_EviT6_lT7_lT5_lS8_lS9_lS7_lT8_i.num_named_barrier, 0
	.set _ZL26rocblas_hemvn_kernel_upperILb0ELi64ELi4ELi33ELi32ELi16El19rocblas_complex_numIdEPKPKS1_PS1_EviT6_lT7_lT5_lS8_lS9_lS7_lT8_i.private_seg_size, 0
	.set _ZL26rocblas_hemvn_kernel_upperILb0ELi64ELi4ELi33ELi32ELi16El19rocblas_complex_numIdEPKPKS1_PS1_EviT6_lT7_lT5_lS8_lS9_lS7_lT8_i.uses_vcc, 1
	.set _ZL26rocblas_hemvn_kernel_upperILb0ELi64ELi4ELi33ELi32ELi16El19rocblas_complex_numIdEPKPKS1_PS1_EviT6_lT7_lT5_lS8_lS9_lS7_lT8_i.uses_flat_scratch, 0
	.set _ZL26rocblas_hemvn_kernel_upperILb0ELi64ELi4ELi33ELi32ELi16El19rocblas_complex_numIdEPKPKS1_PS1_EviT6_lT7_lT5_lS8_lS9_lS7_lT8_i.has_dyn_sized_stack, 0
	.set _ZL26rocblas_hemvn_kernel_upperILb0ELi64ELi4ELi33ELi32ELi16El19rocblas_complex_numIdEPKPKS1_PS1_EviT6_lT7_lT5_lS8_lS9_lS7_lT8_i.has_recursion, 0
	.set _ZL26rocblas_hemvn_kernel_upperILb0ELi64ELi4ELi33ELi32ELi16El19rocblas_complex_numIdEPKPKS1_PS1_EviT6_lT7_lT5_lS8_lS9_lS7_lT8_i.has_indirect_call, 0
	.section	.AMDGPU.csdata,"",@progbits
; Kernel info:
; codeLenInByte = 10312
; TotalNumSgprs: 82
; NumVgprs: 326
; ScratchSize: 0
; MemoryBound: 1
; FloatMode: 240
; IeeeMode: 1
; LDSByteSize: 19200 bytes/workgroup (compile time only)
; SGPRBlocks: 0
; VGPRBlocks: 20
; NumSGPRsForWavesPerEU: 82
; NumVGPRsForWavesPerEU: 326
; NamedBarCnt: 0
; Occupancy: 3
; WaveLimiterHint : 1
; COMPUTE_PGM_RSRC2:SCRATCH_EN: 0
; COMPUTE_PGM_RSRC2:USER_SGPR: 2
; COMPUTE_PGM_RSRC2:TRAP_HANDLER: 0
; COMPUTE_PGM_RSRC2:TGID_X_EN: 1
; COMPUTE_PGM_RSRC2:TGID_Y_EN: 0
; COMPUTE_PGM_RSRC2:TGID_Z_EN: 1
; COMPUTE_PGM_RSRC2:TIDIG_COMP_CNT: 1
	.section	.text._ZL26rocblas_hemvn_kernel_upperILb0ELi64ELi4ELi33ELi32ELi16Ei19rocblas_complex_numIdEPKPKS1_PS1_EviT6_lT7_lT5_lS8_lS9_lS7_lT8_i,"axG",@progbits,_ZL26rocblas_hemvn_kernel_upperILb0ELi64ELi4ELi33ELi32ELi16Ei19rocblas_complex_numIdEPKPKS1_PS1_EviT6_lT7_lT5_lS8_lS9_lS7_lT8_i,comdat
	.globl	_ZL26rocblas_hemvn_kernel_upperILb0ELi64ELi4ELi33ELi32ELi16Ei19rocblas_complex_numIdEPKPKS1_PS1_EviT6_lT7_lT5_lS8_lS9_lS7_lT8_i ; -- Begin function _ZL26rocblas_hemvn_kernel_upperILb0ELi64ELi4ELi33ELi32ELi16Ei19rocblas_complex_numIdEPKPKS1_PS1_EviT6_lT7_lT5_lS8_lS9_lS7_lT8_i
	.p2align	8
	.type	_ZL26rocblas_hemvn_kernel_upperILb0ELi64ELi4ELi33ELi32ELi16Ei19rocblas_complex_numIdEPKPKS1_PS1_EviT6_lT7_lT5_lS8_lS9_lS7_lT8_i,@function
_ZL26rocblas_hemvn_kernel_upperILb0ELi64ELi4ELi33ELi32ELi16Ei19rocblas_complex_numIdEPKPKS1_PS1_EviT6_lT7_lT5_lS8_lS9_lS7_lT8_i: ; @_ZL26rocblas_hemvn_kernel_upperILb0ELi64ELi4ELi33ELi32ELi16Ei19rocblas_complex_numIdEPKPKS1_PS1_EviT6_lT7_lT5_lS8_lS9_lS7_lT8_i
; %bb.0:
	s_clause 0x1
	s_load_b64 s[2:3], s[0:1], 0x94
	s_load_b32 s33, s[0:1], 0x80
	s_bfe_u32 s4, ttmp6, 0x40014
	s_lshr_b32 s5, ttmp7, 16
	s_add_co_i32 s4, s4, 1
	s_bfe_u32 s6, ttmp6, 0x40008
	s_mul_i32 s4, s5, s4
	s_getreg_b32 s10, hwreg(HW_REG_IB_STS2, 6, 4)
	s_add_co_i32 s6, s6, s4
	s_mov_b32 s19, 0
	s_wait_kmcnt 0x0
	s_lshr_b32 s4, s2, 16
	s_and_b32 s2, s2, 0xffff
	s_and_b32 s3, s3, 0xffff
	s_mul_i32 s2, s4, s2
	s_cmp_eq_u32 s10, 0
	s_mul_i32 s2, s2, s3
	s_cselect_b32 s18, s5, s6
	s_cmp_lg_u32 s2, 0x100
	s_cselect_b32 s2, -1, 0
	s_cmp_ge_u32 s18, s33
	s_cselect_b32 s3, -1, 0
	s_delay_alu instid0(SALU_CYCLE_1) | instskip(NEXT) | instid1(SALU_CYCLE_1)
	s_or_b32 s2, s2, s3
	s_and_b32 vcc_lo, exec_lo, s2
	s_cbranch_vccnz .LBB191_156
; %bb.1:
	s_clause 0x7
	s_load_b128 s[4:7], s[0:1], 0x8
	s_load_b128 s[12:15], s[0:1], 0x60
	s_load_b32 s8, s[0:1], 0x0
	s_load_b64 s[2:3], s[0:1], 0x78
	s_load_b128 s[20:23], s[0:1], 0x20
	s_load_b32 s56, s[0:1], 0x30
	s_load_b128 s[24:27], s[0:1], 0x40
	s_load_b32 s58, s[0:1], 0x50
	v_bfe_u32 v3, v0, 10, 10
	s_add_nc_u64 s[16:17], s[0:1], 0x88
	s_set_vgpr_msb 64                       ;  msbs: dst=1 src0=0 src1=0 src2=0
	v_and_b32_e32 v6 /*v262*/, 0x3ff, v0
	s_set_vgpr_msb 0                        ;  msbs: dst=0 src0=0 src1=0 src2=0
	v_and_b32_e32 v4, 31, v0
	s_load_b32 s28, s[16:17], 0x0
	v_dual_mov_b32 v2, 0 :: v_dual_lshlrev_b32 v1, 6, v3
	s_wait_xcnt 0x0
	s_bfe_u32 s0, ttmp6, 0x4000c
	s_and_b32 s1, ttmp6, 15
	s_add_co_i32 s0, s0, 1
	s_set_vgpr_msb 4                        ;  msbs: dst=0 src0=0 src1=1 src2=0
	v_add_nc_u32_e32 v8, v1, v6 /*v262*/
	s_mul_i32 s9, ttmp9, s0
	s_set_vgpr_msb 0                        ;  msbs: dst=0 src0=0 src1=0 src2=0
	v_mul_u32_u24_e32 v15, 33, v4
	v_mov_b32_e32 v5, v2
	s_add_co_i32 s1, s1, s9
	s_wait_kmcnt 0x0
	v_cmp_eq_f64_e64 s4, s[4:5], 0
	v_cmp_eq_f64_e64 s5, s[6:7], 0
	v_cmp_neq_f64_e64 s6, s[12:13], 1.0
	v_cmp_neq_f64_e64 s7, s[14:15], 0
	v_lshrrev_b32_e32 v7, 5, v8
	v_lshlrev_b32_e32 v6, 4, v4
	s_ashr_i32 s9, s8, 31
	s_ashr_i32 s57, s56, 31
	s_cmp_eq_u32 s10, 0
	v_add_nc_u32_e32 v9, 8, v7
	s_cselect_b32 s30, ttmp9, s1
	s_lshr_b32 s1, s9, 26
	v_dual_lshlrev_b32 v12, 2, v7 :: v_dual_lshlrev_b32 v14, 6, v7
	v_lshl_or_b32 v13, v4, 9, v6
	s_add_co_i32 s1, s8, s1
	s_mov_b32 s29, s19
	s_and_not1_b32 s1, s1, 63
	s_add_co_i32 s10, s28, -1
	s_set_vgpr_msb 64                       ;  msbs: dst=1 src0=0 src1=0 src2=0
	v_dual_add_nc_u32 v9 /*v265*/, v13, v14 :: v_dual_lshlrev_b32 v11 /*v267*/, 4, v15
	s_set_vgpr_msb 0                        ;  msbs: dst=0 src0=0 src1=0 src2=0
	v_dual_lshlrev_b32 v17, 4, v7 :: v_dual_bitop2_b32 v13, 1, v12 bitop3:0x54
	s_lshl_b32 s62, s30, 6
	s_mul_u64 s[34:35], s[28:29], s[8:9]
	s_sub_co_i32 s29, s8, s1
	s_set_vgpr_msb 4                        ;  msbs: dst=0 src0=0 src1=1 src2=0
	v_add_nc_u32_e32 v170, s62, v6 /*v262*/
	s_set_vgpr_msb 0x41                     ;  msbs: dst=1 src0=1 src1=0 src2=0
	v_mad_u32_u24 v8 /*v264*/, 0x210, v7, v6
	v_mad_u32_u24 v10 /*v266*/, 0x840, v7, v6
	v_mad_u32_u24 v12 /*v268*/, 0x210, v13, v6
	v_dual_add_nc_u32 v14 /*v270*/, v11 /*v267*/, v17 :: v_dual_lshlrev_b32 v15 /*v271*/, 2, v3
	s_set_vgpr_msb 0                        ;  msbs: dst=0 src0=0 src1=0 src2=0
	v_dual_ashrrev_i32 v171, 31, v170 :: v_dual_bitop2_b32 v6, 32, v4 bitop3:0x54
	s_and_b32 s68, s4, s5
	s_or_b32 s69, s6, s7
	s_cmp_eq_u32 s30, s10
	v_dual_add_nc_u32 v10, 16, v7 :: v_dual_add_nc_u32 v11, 24, v7
	s_cselect_b32 s38, s29, 0
	v_cmp_ge_u32_e64 s7, v12, v4
	s_cmp_lg_u32 s38, 0
	v_cmp_gt_i32_e64 s11, s38, v6
	s_cselect_b32 s70, -1, 0
	s_cmp_eq_u32 s38, 0
	s_set_vgpr_msb 20                       ;  msbs: dst=0 src0=0 src1=1 src2=1
	v_mad_u32 v6, s56, v15 /*v271*/, v6 /*v262*/
	s_cselect_b32 s6, -1, 0
	s_ashr_i32 s31, s30, 31
	v_cmp_gt_i32_e32 vcc_lo, s38, v6 /*v262*/
	s_mul_u64 s[4:5], s[8:9], s[30:31]
	s_sub_co_i32 s15, s38, 32
	s_lshl_b64 s[4:5], s[4:5], 4
	s_set_vgpr_msb 0                        ;  msbs: dst=0 src0=0 src1=0 src2=0
	v_or_b32_e32 v16, 2, v12
	s_or_b32 s52, s6, vcc_lo
	s_add_nc_u64 s[40:41], s[2:3], s[4:5]
	v_cmp_le_i32_e64 s3, s38, v9
	v_cmp_gt_u32_e64 s6, v12, v4
	v_cmp_le_i32_e64 s13, s15, v9
	v_lshrrev_b32_e32 v9, 4, v8
	v_or_b32_e32 v12, 3, v12
	v_mad_u32 v172, s56, v7, v4
	v_cmp_le_i32_e64 s2, s38, v7
	v_cmp_le_i32_e64 s4, s38, v10
	;; [unrolled: 1-line block ×6, first 2 shown]
	v_cmp_eq_u32_e64 s16, 1, v7
	v_dual_lshlrev_b32 v11, 6, v9 :: v_dual_bitop2_b32 v10, 15, v0 bitop3:0x40
	v_cmp_gt_u32_e64 s9, v12, v4
	v_mul_i32_i24_e32 v12, 0xffffffd0, v7
	v_dual_ashrrev_i32 v7, 31, v6 :: v_dual_bitop2_b32 v0, 48, v0 bitop3:0x40
	s_lshl_b32 s48, s56, 5
	s_set_vgpr_msb 0x44                     ;  msbs: dst=1 src0=0 src1=1 src2=0
	v_dual_lshlrev_b32 v7 /*v263*/, 4, v6 /*v262*/ :: v_dual_add_nc_u32 v30 /*v286*/, 16, v9 /*v265*/
	s_ashr_i32 s49, s48, 31
	s_set_vgpr_msb 64                       ;  msbs: dst=1 src0=0 src1=0 src2=0
	v_add_nc_u32_e32 v18 /*v274*/, 0x4300, v1
	v_mad_u32_u24 v20 /*v276*/, 0x430, v10, v11
	s_set_vgpr_msb 0                        ;  msbs: dst=0 src0=0 src1=0 src2=0
	v_lshlrev_b32_e32 v11, 4, v0
	v_add_nc_u64_e32 v[0:1], s[48:49], v[6:7]
	v_mul_i32_i24_e32 v13, 0xffffffd0, v9
	s_set_vgpr_msb 4                        ;  msbs: dst=0 src0=0 src1=1 src2=0
	v_or_b32_e32 v9, 0xf0, v7 /*v263*/
	s_set_vgpr_msb 64                       ;  msbs: dst=1 src0=0 src1=0 src2=0
	v_cmp_gt_u32_e64 s10, 32, v8
	v_cmp_gt_u32_e64 s17, 64, v8
	s_mul_i32 s36, s56, s62
	s_lshl_b32 s42, s56, 3
	v_mad_u32_u24 v22 /*v278*/, 0x430, v10, v9
	s_set_vgpr_msb 0                        ;  msbs: dst=0 src0=0 src1=0 src2=0
	v_lshlrev_b64_e32 v[8:9], 4, v[0:1]
	s_lshl_b32 s44, s56, 4
	s_mul_i32 s46, s56, 24
	s_mul_i32 s50, s58, s62
	s_add_co_i32 s59, s30, 1
	v_mul_lo_u32 v174, s58, v170
	s_ashr_i32 s63, s62, 31
	s_ashr_i32 s37, s36, 31
	;; [unrolled: 1-line block ×3, first 2 shown]
	s_xor_b32 s31, s52, -1
	s_ashr_i32 s43, s42, 31
	s_ashr_i32 s45, s44, 31
	;; [unrolled: 1-line block ×4, first 2 shown]
	s_cmp_lt_u32 s59, s28
	s_mul_i32 s66, s56, 3
	v_mad_nc_i64_i32 v[0:1], s44, 48, v[8:9]
	s_cselect_b32 s71, -1, 0
	s_ashr_i32 s67, s66, 31
	v_lshlrev_b64_e32 v[6:7], 4, v[6:7]
	s_lshl_b32 s73, s58, 6
	s_lshl_b32 s60, s56, 1
	s_lshl_b64 s[54:55], s[56:57], 7
	s_lshl_b64 s[64:65], s[56:57], 4
	;; [unrolled: 1-line block ×4, first 2 shown]
	s_mul_i32 s56, s58, s59
	s_lshl_b64 s[58:59], s[66:67], 4
	s_mul_u64 s[66:67], s[44:45], 48
	v_dual_ashrrev_i32 v173, 31, v172 :: v_dual_ashrrev_i32 v175, 31, v174
	s_ashr_i32 s61, s60, 31
	s_add_nc_u64 s[80:81], s[76:77], s[78:79]
	s_add_nc_u64 s[66:67], s[66:67], s[76:77]
	s_lshl_b64 s[76:77], s[44:45], 5
	s_lshl_b64 s[88:89], s[44:45], 4
	;; [unrolled: 1-line block ×3, first 2 shown]
	s_add_nc_u64 s[90:91], s[76:77], s[78:79]
	s_add_nc_u64 s[92:93], s[80:81], s[88:89]
	s_set_vgpr_msb 64                       ;  msbs: dst=1 src0=0 src1=0 src2=0
	v_mad_u32_u24 v21 /*v277*/, 0x430, v10, v11
	s_set_vgpr_msb 0                        ;  msbs: dst=0 src0=0 src1=0 src2=0
	v_lshlrev_b64_e32 v[10:11], 4, v[172:173]
	s_add_nc_u64 s[94:95], s[90:91], s[58:59]
	v_add_nc_u64_e32 v[188:189], s[92:93], v[6:7]
	s_add_nc_u64 s[92:93], s[90:91], s[60:61]
	v_add_nc_u64_e32 v[192:193], s[66:67], v[8:9]
	s_add_nc_u64 s[66:67], s[90:91], s[64:65]
	s_add_nc_u64 s[76:77], s[80:81], s[76:77]
	v_add_nc_u64_e32 v[176:177], s[80:81], v[6:7]
	v_add_nc_u64_e32 v[178:179], s[58:59], v[0:1]
	;; [unrolled: 1-line block ×3, first 2 shown]
	v_or_b32_e32 v0, 8, v0
	v_add_nc_u64_e32 v[190:191], s[94:95], v[6:7]
	v_add_nc_u64_e32 v[194:195], s[92:93], v[6:7]
	;; [unrolled: 1-line block ×5, first 2 shown]
	s_add_nc_u64 s[82:83], s[64:65], s[78:79]
	v_add_nc_u64_e32 v[186:187], s[78:79], v[6:7]
	s_add_nc_u64 s[84:85], s[78:79], s[60:61]
	s_add_nc_u64 s[86:87], s[78:79], s[58:59]
	;; [unrolled: 1-line block ×3, first 2 shown]
	s_set_vgpr_msb 0x41                     ;  msbs: dst=1 src0=1 src1=0 src2=0
	v_dual_add_nc_u32 v16 /*v272*/, v11 /*v267*/, v14 :: v_dual_add_nc_u32 v25 /*v281*/, v20 /*v276*/, v13
	s_add_nc_u64 s[66:67], s[82:83], s[88:89]
	s_add_nc_u64 s[60:61], s[78:79], s[60:61]
	;; [unrolled: 1-line block ×3, first 2 shown]
	v_cmp_eq_u32_e64 s0, 0, v3
	s_set_vgpr_msb 0                        ;  msbs: dst=0 src0=0 src1=0 src2=0
	v_sub_nc_u64_e32 v[180:181], 0, v[10:11]
	v_add_nc_u64_e32 v[184:185], s[82:83], v[6:7]
	v_add_nc_u64_e32 v[202:203], s[84:85], v[6:7]
	;; [unrolled: 1-line block ×7, first 2 shown]
	v_sub_nc_u64_e32 v[214:215], 0, v[4:5]
	v_add_nc_u64_e32 v[218:219], s[64:65], v[0:1]
	v_cmp_gt_i32_e64 s1, s38, v4
	v_cmp_gt_u32_e64 s8, v16, v4
	s_set_vgpr_msb 0x50                     ;  msbs: dst=1 src0=0 src1=0 src2=1
	v_add_nc_u32_e32 v13 /*v269*/, 0x4700, v14
	v_add_nc_u32_e32 v17 /*v273*/, 0x4700, v17
	v_mad_u32_u24 v19 /*v275*/, 0x10c0, v3, v7 /*v263*/
	v_mad_u32_u24 v23 /*v279*/, 0x430, v3, v7 /*v263*/
	s_set_vgpr_msb 0                        ;  msbs: dst=0 src0=0 src1=0 src2=0
	v_or_b32_e32 v176, 8, v176
	v_or_b32_e32 v178, 8, v178
	v_dual_lshlrev_b32 v216, 4, v4 :: v_dual_bitop2_b32 v182, 8, v182 bitop3:0x54
	v_or_b32_e32 v188, 8, v188
	v_or_b32_e32 v190, 8, v190
	;; [unrolled: 1-line block ×6, first 2 shown]
	s_set_vgpr_msb 0x41                     ;  msbs: dst=1 src0=1 src1=0 src2=0
	v_dual_add_nc_u32 v24 /*v280*/, v16 /*v272*/, v12 :: v_dual_add_nc_u32 v54 /*v310*/, 64, v170
	s_set_vgpr_msb 0x44                     ;  msbs: dst=1 src0=0 src1=1 src2=0
	v_add_nc_u32_e32 v26 /*v282*/, 0x4700, v7 /*v263*/
	v_add_nc_u32_e32 v27 /*v283*/, 0x1080, v8 /*v264*/
	;; [unrolled: 1-line block ×4, first 2 shown]
	v_dual_add_nc_u32 v31 /*v287*/, 32, v9 /*v265*/ :: v_dual_add_nc_u32 v33 /*v289*/, 48, v9 /*v265*/
	v_add_nc_u32_e32 v32 /*v288*/, 0x210, v12 /*v268*/
	v_add_nc_u32_e32 v34 /*v290*/, 0x420, v12 /*v268*/
	v_dual_add_nc_u32 v35 /*v291*/, 16, v16 /*v272*/ :: v_dual_add_nc_u32 v36 /*v292*/, 32, v16 /*v272*/
	v_dual_add_nc_u32 v37 /*v293*/, 48, v16 /*v272*/ :: v_dual_bitop2_b32 v39 /*v295*/, 1, v15 /*v271*/ bitop3:0x54
	v_add_nc_u32_e32 v38 /*v294*/, 0x4300, v7 /*v263*/
	v_dual_add_nc_u32 v42 /*v298*/, 16, v15 /*v271*/ :: v_dual_bitop2_b32 v40 /*v296*/, 2, v15 /*v271*/ bitop3:0x54
	v_dual_add_nc_u32 v43 /*v299*/, 17, v15 /*v271*/ :: v_dual_bitop2_b32 v41 /*v297*/, 3, v15 /*v271*/ bitop3:0x54
	v_dual_add_nc_u32 v44 /*v300*/, 18, v15 /*v271*/ :: v_dual_add_nc_u32 v45 /*v301*/, 19, v15 /*v271*/
	v_dual_add_nc_u32 v46 /*v302*/, 32, v15 /*v271*/ :: v_dual_add_nc_u32 v47 /*v303*/, 33, v15 /*v271*/
	;; [unrolled: 1-line block ×5, first 2 shown]
	s_sub_nc_u64 s[50:51], 0, s[50:51]
	s_add_co_i32 s72, s28, -2
	s_and_b32 s74, s0, s52
	s_sub_nc_u64 s[52:53], 0, s[38:39]
	s_lshl_b32 s75, s56, 6
	s_lshl_b64 s[56:57], s[44:45], 6
	s_mov_b64 s[58:59], 0xfffffffffffffe00
	s_mov_b64 s[60:61], 0xfffffffffffffdf0
	s_lshl_b64 s[26:27], s[26:27], 4
	s_lshl_b64 s[22:23], s[22:23], 4
	;; [unrolled: 1-line block ×3, first 2 shown]
	s_set_vgpr_msb 0                        ;  msbs: dst=0 src0=0 src1=0 src2=0
	s_branch .LBB191_4
.LBB191_2:                              ;   in Loop: Header=BB191_4 Depth=1
	s_wait_xcnt 0x0
	s_or_b32 exec_lo, exec_lo, s66
.LBB191_3:                              ;   in Loop: Header=BB191_4 Depth=1
	s_add_co_i32 s18, s18, 0x10000
	s_delay_alu instid0(SALU_CYCLE_1)
	s_cmp_lt_u32 s18, s33
	s_cbranch_scc0 .LBB191_156
.LBB191_4:                              ; =>This Loop Header: Depth=1
                                        ;     Child Loop BB191_78 Depth 2
	s_and_not1_b32 vcc_lo, exec_lo, s68
	s_mov_b32 s64, -1
	s_cbranch_vccz .LBB191_6
; %bb.5:                                ;   in Loop: Header=BB191_4 Depth=1
	s_and_not1_b32 vcc_lo, exec_lo, s64
	s_cbranch_vccnz .LBB191_3
	s_branch .LBB191_7
.LBB191_6:                              ;   in Loop: Header=BB191_4 Depth=1
	s_and_b32 vcc_lo, exec_lo, s69
	s_cbranch_execnz .LBB191_3
.LBB191_7:                              ;   in Loop: Header=BB191_4 Depth=1
	v_mov_b32_e32 v3, s18
	s_clause 0x1
	global_load_b64 v[4:5], v3, s[24:25] scale_offset
	global_load_b64 v[6:7], v3, s[20:21] scale_offset
	s_wait_loadcnt 0x1
	v_add_nc_u64_e32 v[4:5], s[26:27], v[4:5]
	s_delay_alu instid0(VALU_DEP_1)
	v_lshl_add_u64 v[42:43], v[174:175], 4, v[4:5]
	s_wait_xcnt 0x0
	s_and_saveexec_b32 s64, s0
	s_cbranch_execz .LBB191_12
; %bb.8:                                ;   in Loop: Header=BB191_4 Depth=1
	s_and_saveexec_b32 s65, s31
	s_delay_alu instid0(SALU_CYCLE_1)
	s_xor_b32 s65, exec_lo, s65
; %bb.9:                                ;   in Loop: Header=BB191_4 Depth=1
	v_dual_mov_b32 v3, v2 :: v_dual_mov_b32 v4, v2
	v_mov_b32_e32 v5, v2
	s_set_vgpr_msb 1                        ;  msbs: dst=0 src0=1 src1=0 src2=0
	ds_store_b128 v26 /*v282*/, v[2:5]
; %bb.10:                               ;   in Loop: Header=BB191_4 Depth=1
	s_and_not1_saveexec_b32 s65, s65
	s_set_vgpr_msb 0                        ;  msbs: dst=0 src0=0 src1=0 src2=0
	s_cbranch_execz .LBB191_12
; %bb.11:                               ;   in Loop: Header=BB191_4 Depth=1
	flat_load_b128 v[8:11], v[42:43]
	s_wait_loadcnt_dscnt 0x0
	s_set_vgpr_msb 1                        ;  msbs: dst=0 src0=1 src1=0 src2=0
	ds_store_2addr_b64 v26 /*v282*/, v[8:9], v[10:11] offset1:1
.LBB191_12:                             ;   in Loop: Header=BB191_4 Depth=1
	s_wait_xcnt 0x0
	s_or_b32 exec_lo, exec_lo, s64
	s_wait_loadcnt 0x0
	s_set_vgpr_msb 0                        ;  msbs: dst=0 src0=0 src1=0 src2=0
	v_add_nc_u64_e32 v[4:5], s[22:23], v[6:7]
	s_and_b32 vcc_lo, exec_lo, s70
	s_mov_b32 s64, -1
	s_delay_alu instid0(VALU_DEP_1) | instskip(NEXT) | instid1(VALU_DEP_1)
	v_add_nc_u64_e32 v[4:5], s[62:63], v[4:5]
	v_lshl_add_u64 v[4:5], v[172:173], 4, v[4:5]
	s_delay_alu instid0(VALU_DEP_1)
	v_lshl_add_u64 v[6:7], s[36:37], 4, v[4:5]
                                        ; implicit-def: $vgpr4_vgpr5
	s_cbranch_vccz .LBB191_24
; %bb.13:                               ;   in Loop: Header=BB191_4 Depth=1
	s_and_saveexec_b32 s64, s2
	s_delay_alu instid0(SALU_CYCLE_1)
	s_xor_b32 s64, exec_lo, s64
; %bb.14:                               ;   in Loop: Header=BB191_4 Depth=1
	v_dual_mov_b32 v3, v2 :: v_dual_mov_b32 v4, v2
	v_mov_b32_e32 v5, v2
	s_set_vgpr_msb 1                        ;  msbs: dst=0 src0=1 src1=0 src2=0
	ds_store_b128 v8 /*v264*/, v[2:5]
; %bb.15:                               ;   in Loop: Header=BB191_4 Depth=1
	s_or_saveexec_b32 s64, s64
	s_set_vgpr_msb 0                        ;  msbs: dst=0 src0=0 src1=0 src2=0
	v_lshl_add_u64 v[4:5], v[214:215], 4, v[6:7]
	s_delay_alu instid0(VALU_DEP_1) | instskip(NEXT) | instid1(VALU_DEP_1)
	v_lshl_add_u64 v[4:5], s[38:39], 4, v[4:5]
	v_add_nc_u64_e32 v[4:5], -16, v[4:5]
	s_delay_alu instid0(VALU_DEP_1)
	v_dual_cndmask_b32 v9, v5, v7, s1 :: v_dual_cndmask_b32 v8, v4, v6, s1
	s_xor_b32 exec_lo, exec_lo, s64
	s_cbranch_execnz .LBB191_138
; %bb.16:                               ;   in Loop: Header=BB191_4 Depth=1
	s_or_b32 exec_lo, exec_lo, s64
	s_and_saveexec_b32 s64, s3
	s_delay_alu instid0(SALU_CYCLE_1)
	s_xor_b32 s64, exec_lo, s64
	s_cbranch_execnz .LBB191_139
.LBB191_17:                             ;   in Loop: Header=BB191_4 Depth=1
	s_and_not1_saveexec_b32 s64, s64
	s_cbranch_execnz .LBB191_140
.LBB191_18:                             ;   in Loop: Header=BB191_4 Depth=1
	s_or_b32 exec_lo, exec_lo, s64
	s_and_saveexec_b32 s64, s4
	s_delay_alu instid0(SALU_CYCLE_1)
	s_xor_b32 s64, exec_lo, s64
	s_cbranch_execnz .LBB191_141
.LBB191_19:                             ;   in Loop: Header=BB191_4 Depth=1
	s_and_not1_saveexec_b32 s64, s64
	s_cbranch_execnz .LBB191_142
.LBB191_20:                             ;   in Loop: Header=BB191_4 Depth=1
	s_or_b32 exec_lo, exec_lo, s64
	s_and_saveexec_b32 s64, s5
	s_delay_alu instid0(SALU_CYCLE_1)
	s_xor_b32 s64, exec_lo, s64
	s_cbranch_execnz .LBB191_143
.LBB191_21:                             ;   in Loop: Header=BB191_4 Depth=1
	s_and_not1_saveexec_b32 s64, s64
	s_cbranch_execz .LBB191_23
.LBB191_22:                             ;   in Loop: Header=BB191_4 Depth=1
	v_lshl_add_u64 v[4:5], s[46:47], 4, v[8:9]
	flat_load_b128 v[10:13], v[4:5]
	s_wait_loadcnt_dscnt 0x0
	s_set_vgpr_msb 1                        ;  msbs: dst=0 src0=1 src1=0 src2=0
	ds_store_2addr_b64 v29 /*v285*/, v[10:11], v[12:13] offset1:1
.LBB191_23:                             ;   in Loop: Header=BB191_4 Depth=1
	s_wait_xcnt 0x0
	s_or_b32 exec_lo, exec_lo, s64
	s_set_vgpr_msb 0                        ;  msbs: dst=0 src0=0 src1=0 src2=0
	v_mov_b32_e32 v217, v2
	s_mov_b32 s64, 0
	s_delay_alu instid0(VALU_DEP_1) | instskip(NEXT) | instid1(VALU_DEP_1)
	v_add_nc_u64_e32 v[4:5], v[8:9], v[216:217]
	v_lshl_add_u64 v[4:5], s[52:53], 4, v[4:5]
	s_delay_alu instid0(VALU_DEP_1) | instskip(NEXT) | instid1(VALU_DEP_1)
	v_add_nc_u64_e32 v[4:5], 16, v[4:5]
	v_dual_cndmask_b32 v5, v5, v7, s1 :: v_dual_cndmask_b32 v4, v4, v6, s1
.LBB191_24:                             ;   in Loop: Header=BB191_4 Depth=1
	s_and_b32 vcc_lo, exec_lo, s64
	s_cbranch_vccz .LBB191_26
; %bb.25:                               ;   in Loop: Header=BB191_4 Depth=1
	flat_load_b128 v[8:11], v[6:7]
	v_lshl_add_u64 v[4:5], s[42:43], 4, v[6:7]
	s_wait_loadcnt_dscnt 0x0
	s_set_vgpr_msb 1                        ;  msbs: dst=0 src0=1 src1=0 src2=0
	ds_store_2addr_b64 v8 /*v264*/, v[8:9], v[10:11] offset1:1
	s_set_vgpr_msb 0                        ;  msbs: dst=0 src0=0 src1=0 src2=0
	flat_load_b128 v[8:11], v[4:5]
	s_wait_xcnt 0x0
	v_add_nc_u64_e32 v[4:5], s[54:55], v[4:5]
	s_wait_loadcnt_dscnt 0x0
	s_set_vgpr_msb 1                        ;  msbs: dst=0 src0=1 src1=0 src2=0
	ds_store_2addr_b64 v27 /*v283*/, v[8:9], v[10:11] offset1:1
	s_set_vgpr_msb 0                        ;  msbs: dst=0 src0=0 src1=0 src2=0
	flat_load_b128 v[8:11], v[4:5]
	s_wait_xcnt 0x0
	v_add_nc_u64_e32 v[4:5], s[54:55], v[4:5]
	s_wait_loadcnt_dscnt 0x0
	s_set_vgpr_msb 1                        ;  msbs: dst=0 src0=1 src1=0 src2=0
	ds_store_2addr_b64 v28 /*v284*/, v[8:9], v[10:11] offset1:1
	s_set_vgpr_msb 0                        ;  msbs: dst=0 src0=0 src1=0 src2=0
	flat_load_b128 v[8:11], v[4:5]
	s_wait_xcnt 0x0
	v_mov_b64_e32 v[4:5], v[6:7]
	s_wait_loadcnt_dscnt 0x0
	s_set_vgpr_msb 1                        ;  msbs: dst=0 src0=1 src1=0 src2=0
	ds_store_2addr_b64 v29 /*v285*/, v[8:9], v[10:11] offset1:1
.LBB191_26:                             ;   in Loop: Header=BB191_4 Depth=1
	s_wait_dscnt 0x0
	s_barrier_signal -1
	s_barrier_wait -1
	s_and_saveexec_b32 s64, s6
	s_set_vgpr_msb 0                        ;  msbs: dst=0 src0=0 src1=0 src2=0
	s_cbranch_execnz .LBB191_132
; %bb.27:                               ;   in Loop: Header=BB191_4 Depth=1
	s_or_b32 exec_lo, exec_lo, s64
	s_and_saveexec_b32 s64, s7
	s_cbranch_execnz .LBB191_133
.LBB191_28:                             ;   in Loop: Header=BB191_4 Depth=1
	s_or_b32 exec_lo, exec_lo, s64
	s_and_saveexec_b32 s64, s8
	s_cbranch_execnz .LBB191_134
.LBB191_29:                             ;   in Loop: Header=BB191_4 Depth=1
	s_or_b32 exec_lo, exec_lo, s64
	s_and_saveexec_b32 s64, s9
	s_cbranch_execz .LBB191_31
.LBB191_30:                             ;   in Loop: Header=BB191_4 Depth=1
	s_set_vgpr_msb 1                        ;  msbs: dst=0 src0=1 src1=0 src2=0
	ds_load_b128 v[6:9], v34 /*v290*/
	s_wait_dscnt 0x0
	ds_store_b128 v33 /*v289*/, v[6:9]
.LBB191_31:                             ;   in Loop: Header=BB191_4 Depth=1
	s_or_b32 exec_lo, exec_lo, s64
	s_wait_dscnt 0x0
	s_barrier_signal -1
	s_barrier_wait -1
	s_set_vgpr_msb 1                        ;  msbs: dst=0 src0=1 src1=0 src2=0
	ds_load_b128 v[6:9], v10 /*v266*/
	ds_load_b128 v[10:13], v13 /*v269*/
	ds_load_b128 v[14:17], v13 /*v269*/ offset:16
	ds_load_b128 v[18:21], v12 /*v268*/
	s_wait_dscnt 0x2
	s_set_vgpr_msb 0                        ;  msbs: dst=0 src0=0 src1=0 src2=0
	v_mul_f64_e32 v[22:23], v[12:13], v[8:9]
	v_mul_f64_e32 v[28:29], v[10:11], v[8:9]
	s_wait_dscnt 0x0
	v_mul_f64_e32 v[30:31], v[16:17], v[20:21]
	v_mul_f64_e32 v[32:33], v[14:15], v[20:21]
	s_delay_alu instid0(VALU_DEP_4) | instskip(NEXT) | instid1(VALU_DEP_4)
	v_fma_f64 v[34:35], v[10:11], v[6:7], -v[22:23]
	v_fmac_f64_e32 v[28:29], v[12:13], v[6:7]
	s_set_vgpr_msb 1                        ;  msbs: dst=0 src0=1 src1=0 src2=0
	ds_load_b128 v[6:9], v32 /*v288*/
	ds_load_b128 v[10:13], v13 /*v269*/ offset:32
	ds_load_b128 v[20:23], v13 /*v269*/ offset:48
	ds_load_b128 v[24:27], v34 /*v290*/
	s_set_vgpr_msb 0                        ;  msbs: dst=0 src0=0 src1=0 src2=0
	v_fma_f64 v[14:15], v[14:15], v[18:19], -v[30:31]
	v_fmac_f64_e32 v[32:33], v[16:17], v[18:19]
	s_wait_dscnt 0x0
	s_barrier_signal -1
	s_barrier_wait -1
	v_mul_f64_e32 v[36:37], v[12:13], v[8:9]
	v_mul_f64_e32 v[8:9], v[10:11], v[8:9]
	v_add_f64_e32 v[16:17], 0, v[34:35]
	v_add_f64_e32 v[18:19], 0, v[28:29]
	v_mul_f64_e32 v[28:29], v[22:23], v[26:27]
	v_mul_f64_e32 v[26:27], v[20:21], v[26:27]
	v_fma_f64 v[10:11], v[10:11], v[6:7], -v[36:37]
	v_fmac_f64_e32 v[8:9], v[12:13], v[6:7]
	v_add_f64_e32 v[6:7], v[16:17], v[14:15]
	v_add_f64_e32 v[12:13], v[18:19], v[32:33]
	v_fma_f64 v[14:15], v[20:21], v[24:25], -v[28:29]
	v_fmac_f64_e32 v[26:27], v[22:23], v[24:25]
	s_delay_alu instid0(VALU_DEP_4) | instskip(NEXT) | instid1(VALU_DEP_4)
	v_add_f64_e32 v[6:7], v[6:7], v[10:11]
	v_add_f64_e32 v[8:9], v[12:13], v[8:9]
	s_delay_alu instid0(VALU_DEP_2) | instskip(NEXT) | instid1(VALU_DEP_2)
	v_add_f64_e32 v[10:11], v[6:7], v[14:15]
	v_add_f64_e32 v[12:13], v[8:9], v[26:27]
	v_mov_b64_e32 v[6:7], 0
	v_mov_b64_e32 v[8:9], 0
	s_set_vgpr_msb 1                        ;  msbs: dst=0 src0=1 src1=0 src2=0
	ds_store_b128 v14 /*v270*/, v[10:13]
	s_wait_dscnt 0x0
	s_barrier_signal -1
	s_barrier_wait -1
	s_and_saveexec_b32 s64, s10
	s_set_vgpr_msb 0                        ;  msbs: dst=0 src0=0 src1=0 src2=0
	s_cbranch_execz .LBB191_33
; %bb.32:                               ;   in Loop: Header=BB191_4 Depth=1
	s_set_vgpr_msb 1                        ;  msbs: dst=0 src0=1 src1=0 src2=0
	ds_load_b128 v[6:9], v11 /*v267*/
	ds_load_b128 v[10:13], v11 /*v267*/ offset:16
	s_wait_dscnt 0x0
	s_set_vgpr_msb 0                        ;  msbs: dst=0 src0=0 src1=0 src2=0
	v_add_f64_e32 v[14:15], v[10:11], v[6:7]
	v_add_f64_e32 v[16:17], v[12:13], v[8:9]
	s_set_vgpr_msb 1                        ;  msbs: dst=0 src0=1 src1=0 src2=0
	ds_load_b128 v[6:9], v11 /*v267*/ offset:32
	ds_load_b128 v[10:13], v11 /*v267*/ offset:48
	s_wait_dscnt 0x1
	s_set_vgpr_msb 0                        ;  msbs: dst=0 src0=0 src1=0 src2=0
	v_add_f64_e32 v[6:7], v[14:15], v[6:7]
	v_add_f64_e32 v[8:9], v[16:17], v[8:9]
	s_wait_dscnt 0x0
	s_delay_alu instid0(VALU_DEP_2) | instskip(NEXT) | instid1(VALU_DEP_2)
	v_add_f64_e32 v[14:15], v[6:7], v[10:11]
	v_add_f64_e32 v[16:17], v[8:9], v[12:13]
	s_set_vgpr_msb 1                        ;  msbs: dst=0 src0=1 src1=0 src2=0
	ds_load_b128 v[6:9], v11 /*v267*/ offset:64
	ds_load_b128 v[10:13], v11 /*v267*/ offset:80
	s_wait_dscnt 0x1
	s_set_vgpr_msb 0                        ;  msbs: dst=0 src0=0 src1=0 src2=0
	v_add_f64_e32 v[6:7], v[14:15], v[6:7]
	v_add_f64_e32 v[8:9], v[16:17], v[8:9]
	s_wait_dscnt 0x0
	s_delay_alu instid0(VALU_DEP_2) | instskip(NEXT) | instid1(VALU_DEP_2)
	;; [unrolled: 11-line block ×3, first 2 shown]
	v_add_f64_e32 v[6:7], v[6:7], v[10:11]
	v_add_f64_e32 v[8:9], v[8:9], v[12:13]
.LBB191_33:                             ;   in Loop: Header=BB191_4 Depth=1
	s_or_b32 exec_lo, exec_lo, s64
	v_lshl_add_u64 v[14:15], s[48:49], 4, v[4:5]
	s_and_b32 vcc_lo, exec_lo, s70
	s_mov_b32 s64, -1
	s_barrier_signal -1
	s_delay_alu instid0(VALU_DEP_1)
	v_add_nc_u64_e32 v[12:13], 0x200, v[14:15]
	s_barrier_wait -1
                                        ; implicit-def: $vgpr10_vgpr11
	s_cbranch_vccz .LBB191_45
; %bb.34:                               ;   in Loop: Header=BB191_4 Depth=1
	s_and_saveexec_b32 s64, s12
	s_delay_alu instid0(SALU_CYCLE_1)
	s_xor_b32 s64, exec_lo, s64
; %bb.35:                               ;   in Loop: Header=BB191_4 Depth=1
	v_dual_mov_b32 v3, v2 :: v_dual_mov_b32 v4, v2
	v_mov_b32_e32 v5, v2
	s_set_vgpr_msb 1                        ;  msbs: dst=0 src0=1 src1=0 src2=0
	ds_store_b128 v8 /*v264*/, v[2:5]
; %bb.36:                               ;   in Loop: Header=BB191_4 Depth=1
	s_or_saveexec_b32 s64, s64
	s_set_vgpr_msb 0                        ;  msbs: dst=0 src0=0 src1=0 src2=0
	v_lshl_add_u64 v[4:5], v[214:215], 4, v[14:15]
	s_delay_alu instid0(VALU_DEP_1) | instskip(NEXT) | instid1(VALU_DEP_1)
	v_lshl_add_u64 v[4:5], s[38:39], 4, v[4:5]
	v_add_nc_u64_e32 v[4:5], -16, v[4:5]
	s_delay_alu instid0(VALU_DEP_1)
	v_dual_cndmask_b32 v11, v5, v13, s11 :: v_dual_cndmask_b32 v10, v4, v12, s11
	s_xor_b32 exec_lo, exec_lo, s64
	s_cbranch_execnz .LBB191_144
; %bb.37:                               ;   in Loop: Header=BB191_4 Depth=1
	s_or_b32 exec_lo, exec_lo, s64
	s_and_saveexec_b32 s64, s13
	s_delay_alu instid0(SALU_CYCLE_1)
	s_xor_b32 s64, exec_lo, s64
	s_cbranch_execnz .LBB191_145
.LBB191_38:                             ;   in Loop: Header=BB191_4 Depth=1
	s_and_not1_saveexec_b32 s64, s64
	s_cbranch_execnz .LBB191_146
.LBB191_39:                             ;   in Loop: Header=BB191_4 Depth=1
	s_or_b32 exec_lo, exec_lo, s64
	s_and_saveexec_b32 s64, s14
	s_delay_alu instid0(SALU_CYCLE_1)
	s_xor_b32 s64, exec_lo, s64
	s_cbranch_execnz .LBB191_147
.LBB191_40:                             ;   in Loop: Header=BB191_4 Depth=1
	s_and_not1_saveexec_b32 s64, s64
	s_cbranch_execnz .LBB191_148
.LBB191_41:                             ;   in Loop: Header=BB191_4 Depth=1
	s_or_b32 exec_lo, exec_lo, s64
	s_and_saveexec_b32 s64, s15
	s_delay_alu instid0(SALU_CYCLE_1)
	s_xor_b32 s64, exec_lo, s64
	s_cbranch_execnz .LBB191_149
.LBB191_42:                             ;   in Loop: Header=BB191_4 Depth=1
	s_and_not1_saveexec_b32 s64, s64
	s_cbranch_execz .LBB191_44
.LBB191_43:                             ;   in Loop: Header=BB191_4 Depth=1
	v_lshl_add_u64 v[4:5], s[46:47], 4, v[10:11]
	flat_load_b128 v[16:19], v[4:5]
	s_wait_loadcnt_dscnt 0x0
	s_set_vgpr_msb 1                        ;  msbs: dst=0 src0=1 src1=0 src2=0
	ds_store_2addr_b64 v29 /*v285*/, v[16:17], v[18:19] offset1:1
.LBB191_44:                             ;   in Loop: Header=BB191_4 Depth=1
	s_wait_xcnt 0x0
	s_or_b32 exec_lo, exec_lo, s64
	s_set_vgpr_msb 0                        ;  msbs: dst=0 src0=0 src1=0 src2=0
	v_mov_b32_e32 v217, v2
	s_mov_b32 s64, 0
	s_delay_alu instid0(VALU_DEP_1) | instskip(NEXT) | instid1(VALU_DEP_1)
	v_add_nc_u64_e32 v[4:5], v[10:11], v[216:217]
	v_lshl_add_u64 v[4:5], s[52:53], 4, v[4:5]
	s_delay_alu instid0(VALU_DEP_1) | instskip(NEXT) | instid1(VALU_DEP_1)
	v_add_nc_u64_e32 v[4:5], 0x210, v[4:5]
	v_dual_cndmask_b32 v11, v5, v13, s11 :: v_dual_cndmask_b32 v10, v4, v12, s11
.LBB191_45:                             ;   in Loop: Header=BB191_4 Depth=1
	s_and_b32 vcc_lo, exec_lo, s64
	s_cbranch_vccz .LBB191_47
; %bb.46:                               ;   in Loop: Header=BB191_4 Depth=1
	flat_load_b128 v[16:19], v[12:13]
	v_lshl_add_u64 v[4:5], s[42:43], 4, v[14:15]
	v_mov_b64_e32 v[10:11], v[12:13]
	s_wait_loadcnt_dscnt 0x0
	s_set_vgpr_msb 1                        ;  msbs: dst=0 src0=1 src1=0 src2=0
	ds_store_2addr_b64 v8 /*v264*/, v[16:17], v[18:19] offset1:1
	s_set_vgpr_msb 0                        ;  msbs: dst=0 src0=0 src1=0 src2=0
	flat_load_b128 v[14:17], v[4:5] offset:512
	s_wait_xcnt 0x0
	v_add_nc_u64_e32 v[4:5], s[54:55], v[4:5]
	s_wait_loadcnt_dscnt 0x0
	s_set_vgpr_msb 1                        ;  msbs: dst=0 src0=1 src1=0 src2=0
	ds_store_2addr_b64 v27 /*v283*/, v[14:15], v[16:17] offset1:1
	s_set_vgpr_msb 0                        ;  msbs: dst=0 src0=0 src1=0 src2=0
	flat_load_b128 v[14:17], v[4:5] offset:512
	s_wait_xcnt 0x0
	v_add_nc_u64_e32 v[4:5], s[54:55], v[4:5]
	s_wait_loadcnt_dscnt 0x0
	s_set_vgpr_msb 1                        ;  msbs: dst=0 src0=1 src1=0 src2=0
	ds_store_2addr_b64 v28 /*v284*/, v[14:15], v[16:17] offset1:1
	s_set_vgpr_msb 0                        ;  msbs: dst=0 src0=0 src1=0 src2=0
	flat_load_b128 v[14:17], v[4:5] offset:512
	s_wait_loadcnt_dscnt 0x0
	s_set_vgpr_msb 1                        ;  msbs: dst=0 src0=1 src1=0 src2=0
	ds_store_2addr_b64 v29 /*v285*/, v[14:15], v[16:17] offset1:1
.LBB191_47:                             ;   in Loop: Header=BB191_4 Depth=1
	s_wait_dscnt 0x0
	s_barrier_signal -1
	s_barrier_wait -1
	s_wait_xcnt 0x0
	s_and_saveexec_b32 s64, s6
	s_set_vgpr_msb 0                        ;  msbs: dst=0 src0=0 src1=0 src2=0
	s_cbranch_execnz .LBB191_135
; %bb.48:                               ;   in Loop: Header=BB191_4 Depth=1
	s_or_b32 exec_lo, exec_lo, s64
	s_and_saveexec_b32 s64, s7
	s_cbranch_execnz .LBB191_136
.LBB191_49:                             ;   in Loop: Header=BB191_4 Depth=1
	s_or_b32 exec_lo, exec_lo, s64
	s_and_saveexec_b32 s64, s8
	s_cbranch_execnz .LBB191_137
.LBB191_50:                             ;   in Loop: Header=BB191_4 Depth=1
	s_or_b32 exec_lo, exec_lo, s64
	s_and_saveexec_b32 s64, s9
	s_cbranch_execz .LBB191_52
.LBB191_51:                             ;   in Loop: Header=BB191_4 Depth=1
	s_set_vgpr_msb 1                        ;  msbs: dst=0 src0=1 src1=0 src2=0
	ds_load_b128 v[12:15], v34 /*v290*/
	s_wait_dscnt 0x0
	ds_store_b128 v37 /*v293*/, v[12:15]
.LBB191_52:                             ;   in Loop: Header=BB191_4 Depth=1
	s_or_b32 exec_lo, exec_lo, s64
	s_wait_dscnt 0x0
	s_barrier_signal -1
	s_barrier_wait -1
	s_set_vgpr_msb 1                        ;  msbs: dst=0 src0=1 src1=0 src2=0
	ds_load_b128 v[12:15], v10 /*v266*/
	ds_load_b128 v[16:19], v13 /*v269*/ offset:512
	ds_load_b128 v[20:23], v13 /*v269*/ offset:528
	ds_load_b128 v[24:27], v12 /*v268*/
	s_wait_dscnt 0x2
	s_set_vgpr_msb 0                        ;  msbs: dst=0 src0=0 src1=0 src2=0
	v_mul_f64_e32 v[4:5], v[18:19], v[14:15]
	v_mul_f64_e32 v[34:35], v[16:17], v[14:15]
	s_wait_dscnt 0x0
	v_mul_f64_e32 v[36:37], v[22:23], v[26:27]
	v_mul_f64_e32 v[38:39], v[20:21], v[26:27]
	s_delay_alu instid0(VALU_DEP_4) | instskip(NEXT) | instid1(VALU_DEP_4)
	v_fma_f64 v[4:5], v[16:17], v[12:13], -v[4:5]
	v_fmac_f64_e32 v[34:35], v[18:19], v[12:13]
	s_set_vgpr_msb 1                        ;  msbs: dst=0 src0=1 src1=0 src2=0
	ds_load_b128 v[12:15], v32 /*v288*/
	ds_load_b128 v[16:19], v13 /*v269*/ offset:544
	ds_load_b128 v[26:29], v13 /*v269*/ offset:560
	ds_load_b128 v[30:33], v34 /*v290*/
	s_set_vgpr_msb 0                        ;  msbs: dst=0 src0=0 src1=0 src2=0
	v_fma_f64 v[20:21], v[20:21], v[24:25], -v[36:37]
	v_fmac_f64_e32 v[38:39], v[22:23], v[24:25]
	s_wait_dscnt 0x0
	s_barrier_signal -1
	s_barrier_wait -1
	v_mul_f64_e32 v[40:41], v[18:19], v[14:15]
	v_mul_f64_e32 v[14:15], v[16:17], v[14:15]
	;; [unrolled: 1-line block ×4, first 2 shown]
	v_add_f64_e32 v[4:5], 0, v[4:5]
	v_add_f64_e32 v[22:23], 0, v[34:35]
	v_fma_f64 v[16:17], v[16:17], v[12:13], -v[40:41]
	v_fmac_f64_e32 v[14:15], v[18:19], v[12:13]
	v_fma_f64 v[18:19], v[26:27], v[30:31], -v[24:25]
	v_fmac_f64_e32 v[32:33], v[28:29], v[30:31]
	v_add_f64_e32 v[4:5], v[4:5], v[20:21]
	v_add_f64_e32 v[12:13], v[22:23], v[38:39]
	s_delay_alu instid0(VALU_DEP_2) | instskip(NEXT) | instid1(VALU_DEP_2)
	v_add_f64_e32 v[4:5], v[4:5], v[16:17]
	v_add_f64_e32 v[14:15], v[12:13], v[14:15]
	s_delay_alu instid0(VALU_DEP_2) | instskip(NEXT) | instid1(VALU_DEP_2)
	v_add_f64_e32 v[12:13], v[4:5], v[18:19]
	v_add_f64_e32 v[14:15], v[14:15], v[32:33]
	s_set_vgpr_msb 1                        ;  msbs: dst=0 src0=1 src1=0 src2=0
	ds_store_b128 v14 /*v270*/, v[12:15]
	s_wait_dscnt 0x0
	s_barrier_signal -1
	s_barrier_wait -1
	s_and_saveexec_b32 s64, s16
	s_set_vgpr_msb 0                        ;  msbs: dst=0 src0=0 src1=0 src2=0
	s_cbranch_execz .LBB191_54
; %bb.53:                               ;   in Loop: Header=BB191_4 Depth=1
	s_set_vgpr_msb 1                        ;  msbs: dst=0 src0=1 src1=0 src2=0
	ds_load_b128 v[4:7], v11 /*v267*/
	ds_load_b128 v[12:15], v11 /*v267*/ offset:16
	s_wait_dscnt 0x0
	s_set_vgpr_msb 0                        ;  msbs: dst=0 src0=0 src1=0 src2=0
	v_add_f64_e32 v[8:9], v[12:13], v[4:5]
	v_add_f64_e32 v[16:17], v[14:15], v[6:7]
	s_set_vgpr_msb 1                        ;  msbs: dst=0 src0=1 src1=0 src2=0
	ds_load_b128 v[4:7], v11 /*v267*/ offset:32
	ds_load_b128 v[12:15], v11 /*v267*/ offset:48
	s_wait_dscnt 0x1
	s_set_vgpr_msb 0                        ;  msbs: dst=0 src0=0 src1=0 src2=0
	v_add_f64_e32 v[4:5], v[8:9], v[4:5]
	v_add_f64_e32 v[6:7], v[16:17], v[6:7]
	s_wait_dscnt 0x0
	s_delay_alu instid0(VALU_DEP_2) | instskip(NEXT) | instid1(VALU_DEP_2)
	v_add_f64_e32 v[8:9], v[4:5], v[12:13]
	v_add_f64_e32 v[16:17], v[6:7], v[14:15]
	s_set_vgpr_msb 1                        ;  msbs: dst=0 src0=1 src1=0 src2=0
	ds_load_b128 v[4:7], v11 /*v267*/ offset:64
	ds_load_b128 v[12:15], v11 /*v267*/ offset:80
	s_wait_dscnt 0x1
	s_set_vgpr_msb 0                        ;  msbs: dst=0 src0=0 src1=0 src2=0
	v_add_f64_e32 v[4:5], v[8:9], v[4:5]
	v_add_f64_e32 v[6:7], v[16:17], v[6:7]
	s_wait_dscnt 0x0
	s_delay_alu instid0(VALU_DEP_2) | instskip(NEXT) | instid1(VALU_DEP_2)
	;; [unrolled: 11-line block ×3, first 2 shown]
	v_add_f64_e32 v[6:7], v[4:5], v[12:13]
	v_add_f64_e32 v[8:9], v[8:9], v[14:15]
.LBB191_54:                             ;   in Loop: Header=BB191_4 Depth=1
	s_or_b32 exec_lo, exec_lo, s64
	v_add_nc_u64_e32 v[12:13], s[58:59], v[10:11]
	s_and_b32 vcc_lo, exec_lo, s70
	s_mov_b32 s64, -1
	s_barrier_signal -1
	s_barrier_wait -1
                                        ; implicit-def: $vgpr4_vgpr5
	s_cbranch_vccz .LBB191_66
; %bb.55:                               ;   in Loop: Header=BB191_4 Depth=1
	s_and_saveexec_b32 s64, s12
	s_delay_alu instid0(SALU_CYCLE_1)
	s_xor_b32 s64, exec_lo, s64
; %bb.56:                               ;   in Loop: Header=BB191_4 Depth=1
	v_dual_mov_b32 v3, v2 :: v_dual_mov_b32 v4, v2
	v_mov_b32_e32 v5, v2
	s_set_vgpr_msb 1                        ;  msbs: dst=0 src0=1 src1=0 src2=0
	ds_store_b128 v8 /*v264*/, v[2:5]
; %bb.57:                               ;   in Loop: Header=BB191_4 Depth=1
	s_or_saveexec_b32 s64, s64
	s_set_vgpr_msb 0                        ;  msbs: dst=0 src0=0 src1=0 src2=0
	v_lshl_add_u64 v[4:5], v[214:215], 4, v[10:11]
	s_delay_alu instid0(VALU_DEP_1) | instskip(NEXT) | instid1(VALU_DEP_1)
	v_lshl_add_u64 v[4:5], s[38:39], 4, v[4:5]
	v_add_nc_u64_e32 v[4:5], s[60:61], v[4:5]
	s_delay_alu instid0(VALU_DEP_1)
	v_dual_cndmask_b32 v15, v5, v13, s1 :: v_dual_cndmask_b32 v14, v4, v12, s1
	s_xor_b32 exec_lo, exec_lo, s64
	s_cbranch_execnz .LBB191_150
; %bb.58:                               ;   in Loop: Header=BB191_4 Depth=1
	s_or_b32 exec_lo, exec_lo, s64
	s_and_saveexec_b32 s64, s13
	s_delay_alu instid0(SALU_CYCLE_1)
	s_xor_b32 s64, exec_lo, s64
	s_cbranch_execnz .LBB191_151
.LBB191_59:                             ;   in Loop: Header=BB191_4 Depth=1
	s_and_not1_saveexec_b32 s64, s64
	s_cbranch_execnz .LBB191_152
.LBB191_60:                             ;   in Loop: Header=BB191_4 Depth=1
	s_or_b32 exec_lo, exec_lo, s64
	s_and_saveexec_b32 s64, s14
	s_delay_alu instid0(SALU_CYCLE_1)
	s_xor_b32 s64, exec_lo, s64
	s_cbranch_execnz .LBB191_153
.LBB191_61:                             ;   in Loop: Header=BB191_4 Depth=1
	s_and_not1_saveexec_b32 s64, s64
	s_cbranch_execnz .LBB191_154
.LBB191_62:                             ;   in Loop: Header=BB191_4 Depth=1
	s_or_b32 exec_lo, exec_lo, s64
	s_and_saveexec_b32 s64, s15
	s_delay_alu instid0(SALU_CYCLE_1)
	s_xor_b32 s64, exec_lo, s64
	s_cbranch_execnz .LBB191_155
.LBB191_63:                             ;   in Loop: Header=BB191_4 Depth=1
	s_and_not1_saveexec_b32 s64, s64
	s_cbranch_execz .LBB191_65
.LBB191_64:                             ;   in Loop: Header=BB191_4 Depth=1
	v_lshl_add_u64 v[4:5], s[46:47], 4, v[14:15]
	flat_load_b128 v[16:19], v[4:5]
	s_wait_loadcnt_dscnt 0x0
	s_set_vgpr_msb 1                        ;  msbs: dst=0 src0=1 src1=0 src2=0
	ds_store_2addr_b64 v29 /*v285*/, v[16:17], v[18:19] offset1:1
.LBB191_65:                             ;   in Loop: Header=BB191_4 Depth=1
	s_wait_xcnt 0x0
	s_or_b32 exec_lo, exec_lo, s64
	s_set_vgpr_msb 0                        ;  msbs: dst=0 src0=0 src1=0 src2=0
	v_mov_b32_e32 v217, v2
	s_mov_b32 s64, 0
	s_delay_alu instid0(VALU_DEP_1) | instskip(NEXT) | instid1(VALU_DEP_1)
	v_add_nc_u64_e32 v[4:5], v[14:15], v[216:217]
	v_lshl_add_u64 v[4:5], s[52:53], 4, v[4:5]
	s_delay_alu instid0(VALU_DEP_1) | instskip(NEXT) | instid1(VALU_DEP_1)
	v_add_nc_u64_e32 v[4:5], 16, v[4:5]
	v_dual_cndmask_b32 v5, v5, v13, s1 :: v_dual_cndmask_b32 v4, v4, v12, s1
.LBB191_66:                             ;   in Loop: Header=BB191_4 Depth=1
	s_and_b32 vcc_lo, exec_lo, s64
	s_cbranch_vccz .LBB191_68
; %bb.67:                               ;   in Loop: Header=BB191_4 Depth=1
	flat_load_b128 v[14:17], v[12:13]
	v_lshl_add_u64 v[4:5], s[42:43], 4, v[10:11]
	s_wait_loadcnt_dscnt 0x0
	s_set_vgpr_msb 1                        ;  msbs: dst=0 src0=1 src1=0 src2=0
	ds_store_2addr_b64 v8 /*v264*/, v[14:15], v[16:17] offset1:1
	s_set_vgpr_msb 0                        ;  msbs: dst=0 src0=0 src1=0 src2=0
	flat_load_b128 v[14:17], v[4:5] offset:-512
	s_wait_xcnt 0x0
	v_add_nc_u64_e32 v[4:5], s[54:55], v[4:5]
	s_wait_loadcnt_dscnt 0x0
	s_set_vgpr_msb 1                        ;  msbs: dst=0 src0=1 src1=0 src2=0
	ds_store_2addr_b64 v27 /*v283*/, v[14:15], v[16:17] offset1:1
	s_set_vgpr_msb 0                        ;  msbs: dst=0 src0=0 src1=0 src2=0
	flat_load_b128 v[14:17], v[4:5] offset:-512
	s_wait_xcnt 0x0
	v_add_nc_u64_e32 v[4:5], s[54:55], v[4:5]
	s_wait_loadcnt_dscnt 0x0
	s_set_vgpr_msb 1                        ;  msbs: dst=0 src0=1 src1=0 src2=0
	ds_store_2addr_b64 v28 /*v284*/, v[14:15], v[16:17] offset1:1
	s_set_vgpr_msb 0                        ;  msbs: dst=0 src0=0 src1=0 src2=0
	flat_load_b128 v[14:17], v[4:5] offset:-512
	s_wait_xcnt 0x0
	v_mov_b64_e32 v[4:5], v[12:13]
	s_wait_loadcnt_dscnt 0x0
	s_set_vgpr_msb 1                        ;  msbs: dst=0 src0=1 src1=0 src2=0
	ds_store_2addr_b64 v29 /*v285*/, v[14:15], v[16:17] offset1:1
.LBB191_68:                             ;   in Loop: Header=BB191_4 Depth=1
	s_wait_dscnt 0x0
	s_barrier_signal -1
	s_barrier_wait -1
	s_set_vgpr_msb 1                        ;  msbs: dst=0 src0=1 src1=0 src2=0
	ds_load_b128 v[10:13], v24 /*v280*/
	ds_load_b128 v[14:17], v17 /*v273*/
	ds_load_b128 v[18:21], v14 /*v270*/ offset:384
	ds_load_b128 v[22:25], v17 /*v273*/ offset:384
	;; [unrolled: 1-line block ×6, first 2 shown]
	s_wait_dscnt 0x6
	s_set_vgpr_msb 0                        ;  msbs: dst=0 src0=0 src1=0 src2=0
	v_mul_f64_e32 v[44:45], v[12:13], v[16:17]
	v_mul_f64_e32 v[16:17], v[10:11], v[16:17]
	s_wait_dscnt 0x2
	v_mul_f64_e32 v[46:47], v[32:33], v[28:29]
	v_mul_f64_e32 v[28:29], v[30:31], v[28:29]
	s_delay_alu instid0(VALU_DEP_4) | instskip(NEXT) | instid1(VALU_DEP_4)
	v_fma_f64 v[10:11], v[10:11], v[14:15], -v[44:45]
	v_fmac_f64_e32 v[16:17], v[12:13], v[14:15]
	s_wait_dscnt 0x0
	v_mul_f64_e32 v[12:13], v[36:37], v[40:41]
	v_mul_f64_e32 v[14:15], v[34:35], v[40:41]
	v_fma_f64 v[30:31], v[30:31], v[26:27], -v[46:47]
	v_fmac_f64_e32 v[28:29], v[32:33], v[26:27]
	v_mul_f64_e32 v[26:27], v[20:21], v[24:25]
	v_mul_f64_e32 v[24:25], v[18:19], v[24:25]
	v_add_f64_e32 v[10:11], 0, v[10:11]
	v_add_f64_e32 v[16:17], 0, v[16:17]
	v_fma_f64 v[12:13], v[34:35], v[38:39], -v[12:13]
	v_fmac_f64_e32 v[14:15], v[36:37], v[38:39]
	v_fma_f64 v[18:19], v[18:19], v[22:23], -v[26:27]
	v_fmac_f64_e32 v[24:25], v[20:21], v[22:23]
	v_add_f64_e32 v[10:11], v[10:11], v[30:31]
	v_add_f64_e32 v[16:17], v[16:17], v[28:29]
	s_delay_alu instid0(VALU_DEP_2) | instskip(NEXT) | instid1(VALU_DEP_2)
	v_add_f64_e32 v[10:11], v[10:11], v[12:13]
	v_add_f64_e32 v[12:13], v[16:17], v[14:15]
	s_delay_alu instid0(VALU_DEP_2) | instskip(NEXT) | instid1(VALU_DEP_2)
	v_add_f64_e32 v[44:45], v[10:11], v[18:19]
	v_add_f64_e32 v[46:47], v[12:13], v[24:25]
	s_set_vgpr_msb 1                        ;  msbs: dst=0 src0=1 src1=0 src2=0
	ds_load_b128 v[34:37], v13 /*v269*/ offset:512
	ds_load_b128 v[26:29], v13 /*v269*/ offset:528
	ds_load_b128 v[14:17], v13 /*v269*/ offset:544
	ds_load_b128 v[10:13], v13 /*v269*/ offset:560
	ds_load_b128 v[38:41], v10 /*v266*/
	ds_load_b128 v[30:33], v12 /*v268*/
	;; [unrolled: 1-line block ×4, first 2 shown]
	s_wait_dscnt 0x0
	s_barrier_signal -1
	s_barrier_wait -1
	ds_store_b128 v14 /*v270*/, v[44:47]
	s_wait_dscnt 0x0
	s_barrier_signal -1
	s_barrier_wait -1
	s_and_saveexec_b32 s64, s16
	s_set_vgpr_msb 0                        ;  msbs: dst=0 src0=0 src1=0 src2=0
	s_cbranch_execz .LBB191_70
; %bb.69:                               ;   in Loop: Header=BB191_4 Depth=1
	s_set_vgpr_msb 1                        ;  msbs: dst=0 src0=1 src1=0 src2=0
	ds_load_b128 v[44:47], v11 /*v267*/
	ds_load_b128 v[48:51], v11 /*v267*/ offset:16
	s_wait_dscnt 0x1
	s_set_vgpr_msb 0                        ;  msbs: dst=0 src0=0 src1=0 src2=0
	v_add_f64_e32 v[6:7], v[6:7], v[44:45]
	v_add_f64_e32 v[8:9], v[8:9], v[46:47]
	s_wait_dscnt 0x0
	s_delay_alu instid0(VALU_DEP_2) | instskip(NEXT) | instid1(VALU_DEP_2)
	v_add_f64_e32 v[48:49], v[6:7], v[48:49]
	v_add_f64_e32 v[50:51], v[8:9], v[50:51]
	s_set_vgpr_msb 1                        ;  msbs: dst=0 src0=1 src1=0 src2=0
	ds_load_b128 v[6:9], v11 /*v267*/ offset:32
	ds_load_b128 v[44:47], v11 /*v267*/ offset:48
	s_wait_dscnt 0x1
	s_set_vgpr_msb 0                        ;  msbs: dst=0 src0=0 src1=0 src2=0
	v_add_f64_e32 v[6:7], v[48:49], v[6:7]
	v_add_f64_e32 v[8:9], v[50:51], v[8:9]
	s_wait_dscnt 0x0
	s_delay_alu instid0(VALU_DEP_2) | instskip(NEXT) | instid1(VALU_DEP_2)
	v_add_f64_e32 v[48:49], v[6:7], v[44:45]
	v_add_f64_e32 v[50:51], v[8:9], v[46:47]
	s_set_vgpr_msb 1                        ;  msbs: dst=0 src0=1 src1=0 src2=0
	ds_load_b128 v[6:9], v11 /*v267*/ offset:64
	;; [unrolled: 11-line block ×3, first 2 shown]
	ds_load_b128 v[44:47], v11 /*v267*/ offset:112
	s_wait_dscnt 0x1
	s_set_vgpr_msb 0                        ;  msbs: dst=0 src0=0 src1=0 src2=0
	v_add_f64_e32 v[6:7], v[48:49], v[6:7]
	v_add_f64_e32 v[8:9], v[50:51], v[8:9]
	s_wait_dscnt 0x0
	s_delay_alu instid0(VALU_DEP_2) | instskip(NEXT) | instid1(VALU_DEP_2)
	v_add_f64_e32 v[6:7], v[6:7], v[44:45]
	v_add_f64_e32 v[8:9], v[8:9], v[46:47]
.LBB191_70:                             ;   in Loop: Header=BB191_4 Depth=1
	s_or_b32 exec_lo, exec_lo, s64
	v_mul_f64_e32 v[44:45], v[36:37], v[40:41]
	v_mul_f64_e32 v[40:41], v[34:35], v[40:41]
	;; [unrolled: 1-line block ×4, first 2 shown]
	s_barrier_signal -1
	s_barrier_wait -1
	s_delay_alu instid0(VALU_DEP_4) | instskip(NEXT) | instid1(VALU_DEP_4)
	v_fma_f64 v[34:35], v[34:35], v[38:39], -v[44:45]
	v_fmac_f64_e32 v[40:41], v[36:37], v[38:39]
	v_mul_f64_e32 v[36:37], v[16:17], v[24:25]
	v_mul_f64_e32 v[24:25], v[14:15], v[24:25]
	v_fma_f64 v[26:27], v[26:27], v[30:31], -v[46:47]
	v_fmac_f64_e32 v[32:33], v[28:29], v[30:31]
	v_add_f64_e32 v[28:29], 0, v[34:35]
	v_add_f64_e32 v[30:31], 0, v[40:41]
	v_mul_f64_e32 v[34:35], v[12:13], v[20:21]
	v_mul_f64_e32 v[20:21], v[10:11], v[20:21]
	v_fma_f64 v[14:15], v[14:15], v[22:23], -v[36:37]
	v_fmac_f64_e32 v[24:25], v[16:17], v[22:23]
	v_add_f64_e32 v[16:17], v[28:29], v[26:27]
	v_add_f64_e32 v[22:23], v[30:31], v[32:33]
	v_fma_f64 v[10:11], v[10:11], v[18:19], -v[34:35]
	v_fmac_f64_e32 v[20:21], v[12:13], v[18:19]
	s_delay_alu instid0(VALU_DEP_4) | instskip(NEXT) | instid1(VALU_DEP_4)
	v_add_f64_e32 v[12:13], v[16:17], v[14:15]
	v_add_f64_e32 v[14:15], v[22:23], v[24:25]
	s_delay_alu instid0(VALU_DEP_2) | instskip(NEXT) | instid1(VALU_DEP_2)
	v_add_f64_e32 v[10:11], v[12:13], v[10:11]
	v_add_f64_e32 v[12:13], v[14:15], v[20:21]
	s_set_vgpr_msb 1                        ;  msbs: dst=0 src0=1 src1=0 src2=0
	ds_store_b128 v14 /*v270*/, v[10:13]
	s_wait_dscnt 0x0
	s_barrier_signal -1
	s_barrier_wait -1
	s_and_saveexec_b32 s64, s10
	s_set_vgpr_msb 0                        ;  msbs: dst=0 src0=0 src1=0 src2=0
	s_cbranch_execz .LBB191_72
; %bb.71:                               ;   in Loop: Header=BB191_4 Depth=1
	s_set_vgpr_msb 1                        ;  msbs: dst=0 src0=1 src1=0 src2=0
	ds_load_b128 v[10:13], v11 /*v267*/
	ds_load_b128 v[14:17], v11 /*v267*/ offset:16
	s_wait_dscnt 0x1
	s_set_vgpr_msb 0                        ;  msbs: dst=0 src0=0 src1=0 src2=0
	v_add_f64_e32 v[6:7], v[6:7], v[10:11]
	v_add_f64_e32 v[8:9], v[8:9], v[12:13]
	s_wait_dscnt 0x0
	s_delay_alu instid0(VALU_DEP_2) | instskip(NEXT) | instid1(VALU_DEP_2)
	v_add_f64_e32 v[14:15], v[6:7], v[14:15]
	v_add_f64_e32 v[16:17], v[8:9], v[16:17]
	s_set_vgpr_msb 1                        ;  msbs: dst=0 src0=1 src1=0 src2=0
	ds_load_b128 v[6:9], v11 /*v267*/ offset:32
	ds_load_b128 v[10:13], v11 /*v267*/ offset:48
	s_wait_dscnt 0x1
	s_set_vgpr_msb 0                        ;  msbs: dst=0 src0=0 src1=0 src2=0
	v_add_f64_e32 v[6:7], v[14:15], v[6:7]
	v_add_f64_e32 v[8:9], v[16:17], v[8:9]
	s_wait_dscnt 0x0
	s_delay_alu instid0(VALU_DEP_2) | instskip(NEXT) | instid1(VALU_DEP_2)
	v_add_f64_e32 v[14:15], v[6:7], v[10:11]
	v_add_f64_e32 v[16:17], v[8:9], v[12:13]
	s_set_vgpr_msb 1                        ;  msbs: dst=0 src0=1 src1=0 src2=0
	ds_load_b128 v[6:9], v11 /*v267*/ offset:64
	;; [unrolled: 11-line block ×3, first 2 shown]
	ds_load_b128 v[10:13], v11 /*v267*/ offset:112
	s_wait_dscnt 0x1
	s_set_vgpr_msb 0                        ;  msbs: dst=0 src0=0 src1=0 src2=0
	v_add_f64_e32 v[6:7], v[14:15], v[6:7]
	v_add_f64_e32 v[8:9], v[16:17], v[8:9]
	s_wait_dscnt 0x0
	s_delay_alu instid0(VALU_DEP_2) | instskip(NEXT) | instid1(VALU_DEP_2)
	v_add_f64_e32 v[6:7], v[6:7], v[10:11]
	v_add_f64_e32 v[8:9], v[8:9], v[12:13]
.LBB191_72:                             ;   in Loop: Header=BB191_4 Depth=1
	s_or_b32 exec_lo, exec_lo, s64
	s_mul_u64 s[64:65], s[34:35], s[18:19]
	s_and_not1_b32 vcc_lo, exec_lo, s71
	s_lshl_b64 s[64:65], s[64:65], 4
	s_delay_alu instid0(SALU_CYCLE_1)
	s_add_nc_u64 s[64:65], s[40:41], s[64:65]
	s_barrier_signal -1
	s_barrier_wait -1
	s_cbranch_vccnz .LBB191_130
; %bb.73:                               ;   in Loop: Header=BB191_4 Depth=1
	v_add_nc_u64_e32 v[220:221], v[4:5], v[176:177]
	v_add_nc_u64_e32 v[222:223], v[4:5], v[178:179]
	;; [unrolled: 1-line block ×18, first 2 shown]
	s_set_vgpr_msb 64                       ;  msbs: dst=1 src0=0 src1=0 src2=0
	v_add_nc_u64_e32 v[0:1] /*v[256:257]*/, v[4:5], v[212:213]
	v_add_nc_u64_e32 v[2:3] /*v[258:259]*/, v[4:5], v[200:201]
	v_lshl_add_u64 v[4:5] /*v[260:261]*/, s[50:51], 4, v[42:43]
	s_set_vgpr_msb 1                        ;  msbs: dst=0 src0=1 src1=0 src2=0
	v_mov_b32_e32 v217, v54 /*v310*/
	s_mov_b32 s66, s75
	s_mov_b32 s76, s30
	s_delay_alu instid0(SALU_CYCLE_1)
	s_cmp_eq_u32 s72, s76
	s_cselect_b32 s77, s29, 0
	s_and_saveexec_b32 s78, s0
	s_set_vgpr_msb 0                        ;  msbs: dst=0 src0=0 src1=0 src2=0
	s_cbranch_execz .LBB191_78
.LBB191_74:                             ;   in Loop: Header=BB191_4 Depth=1
	s_set_vgpr_msb 4                        ;  msbs: dst=0 src0=0 src1=1 src2=0
	v_cmp_le_i32_e32 vcc_lo, s77, v6 /*v262*/
	s_cmp_lg_u32 s77, 0
	s_cselect_b32 s67, -1, 0
	s_delay_alu instid0(SALU_CYCLE_1) | instskip(NEXT) | instid1(SALU_CYCLE_1)
	s_and_b32 s67, s67, vcc_lo
	s_and_saveexec_b32 s79, s67
	s_delay_alu instid0(SALU_CYCLE_1)
	s_xor_b32 s67, exec_lo, s79
; %bb.75:                               ;   in Loop: Header=BB191_4 Depth=1
	v_dual_mov_b32 v3, v2 :: v_dual_mov_b32 v4, v2
	v_mov_b32_e32 v5, v2
	s_set_vgpr_msb 1                        ;  msbs: dst=0 src0=1 src1=0 src2=0
	ds_store_b128 v38 /*v294*/, v[2:5]
; %bb.76:                               ;   in Loop: Header=BB191_4 Depth=1
	s_and_not1_saveexec_b32 s67, s67
	s_set_vgpr_msb 0                        ;  msbs: dst=0 src0=0 src1=0 src2=0
	s_cbranch_execz .LBB191_78
; %bb.77:                               ;   in Loop: Header=BB191_4 Depth=1
	s_ashr_i32 s67, s66, 31
	s_set_vgpr_msb 16                       ;  msbs: dst=0 src0=0 src1=0 src2=1
	v_lshl_add_u64 v[4:5], s[66:67], 4, v[4:5] /*v[260:261]*/
	flat_load_b128 v[10:13], v[4:5]
	s_wait_loadcnt_dscnt 0x0
	s_set_vgpr_msb 1                        ;  msbs: dst=0 src0=1 src1=0 src2=0
	ds_store_2addr_b64 v38 /*v294*/, v[10:11], v[12:13] offset1:1
.LBB191_78:                             ;   Parent Loop BB191_4 Depth=1
                                        ; =>  This Inner Loop Header: Depth=2
	s_wait_xcnt 0x0
	s_or_b32 exec_lo, exec_lo, s78
	s_cmp_eq_u32 s77, 0
	s_set_vgpr_msb 0                        ;  msbs: dst=0 src0=0 src1=0 src2=0
	v_add_nc_u64_e32 v[4:5], v[228:229], v[180:181]
	s_cselect_b32 s67, -1, 0
	s_cmp_lg_u32 s77, 0
	s_wait_dscnt 0x0
	s_cselect_b32 s78, -1, 0
	s_barrier_signal -1
	s_and_b32 vcc_lo, exec_lo, s78
	s_barrier_wait -1
	s_cbranch_vccz .LBB191_86
; %bb.79:                               ;   in Loop: Header=BB191_78 Depth=2
	v_mov_b64_e32 v[10:11], 0
	v_mov_b64_e32 v[14:15], 0
	;; [unrolled: 1-line block ×3, first 2 shown]
	s_mov_b32 s79, exec_lo
	s_set_vgpr_msb 4                        ;  msbs: dst=0 src0=0 src1=1 src2=0
	v_cmpx_gt_i32_e64 s77, v15 /*v271*/
	s_set_vgpr_msb 0                        ;  msbs: dst=0 src0=0 src1=0 src2=0
	s_cbranch_execz .LBB191_81
; %bb.80:                               ;   in Loop: Header=BB191_78 Depth=2
	flat_load_b128 v[14:17], v[4:5]
.LBB191_81:                             ;   in Loop: Header=BB191_78 Depth=2
	s_wait_xcnt 0x0
	s_or_b32 exec_lo, exec_lo, s79
	v_mov_b64_e32 v[12:13], 0
	s_mov_b32 s79, exec_lo
	s_set_vgpr_msb 4                        ;  msbs: dst=0 src0=0 src1=1 src2=0
	v_cmpx_gt_i32_e64 s77, v39 /*v295*/
	s_set_vgpr_msb 0                        ;  msbs: dst=0 src0=0 src1=0 src2=0
	s_cbranch_execz .LBB191_83
; %bb.82:                               ;   in Loop: Header=BB191_78 Depth=2
	v_add_nc_u64_e32 v[10:11], v[224:225], v[180:181]
	flat_load_b128 v[10:13], v[10:11]
.LBB191_83:                             ;   in Loop: Header=BB191_78 Depth=2
	s_wait_xcnt 0x0
	s_or_b32 exec_lo, exec_lo, s79
	v_mov_b64_e32 v[18:19], 0
	v_mov_b64_e32 v[20:21], 0
	s_mov_b32 s79, exec_lo
	s_set_vgpr_msb 4                        ;  msbs: dst=0 src0=0 src1=1 src2=0
	v_cmpx_gt_i32_e64 s77, v40 /*v296*/
	s_set_vgpr_msb 0                        ;  msbs: dst=0 src0=0 src1=0 src2=0
	s_cbranch_execz .LBB191_85
; %bb.84:                               ;   in Loop: Header=BB191_78 Depth=2
	v_add_nc_u64_e32 v[18:19], v[232:233], v[180:181]
	flat_load_b128 v[18:21], v[18:19]
.LBB191_85:                             ;   in Loop: Header=BB191_78 Depth=2
	s_wait_xcnt 0x0
	s_or_b32 exec_lo, exec_lo, s79
	s_set_vgpr_msb 4                        ;  msbs: dst=0 src0=0 src1=1 src2=0
	v_cmp_gt_i32_e64 s79, s77, v41 /*v297*/
	s_set_vgpr_msb 0                        ;  msbs: dst=0 src0=0 src1=0 src2=0
	s_branch .LBB191_88
.LBB191_86:                             ;   in Loop: Header=BB191_78 Depth=2
	s_mov_b32 s79, 0
                                        ; implicit-def: $vgpr20_vgpr21
                                        ; implicit-def: $vgpr12_vgpr13
                                        ; implicit-def: $vgpr16_vgpr17
	s_cbranch_execz .LBB191_88
; %bb.87:                               ;   in Loop: Header=BB191_78 Depth=2
	s_wait_loadcnt_dscnt 0x0
	v_add_nc_u64_e32 v[10:11], v[224:225], v[180:181]
	v_add_nc_u64_e32 v[18:19], v[220:221], v[180:181]
	s_or_b32 s79, s79, exec_lo
	flat_load_b128 v[14:17], v[4:5]
	flat_load_b128 v[10:13], v[10:11]
	flat_load_b128 v[18:21], v[18:19] offset:-8
.LBB191_88:                             ;   in Loop: Header=BB191_78 Depth=2
	v_mov_b64_e32 v[22:23], 0
	v_mov_b64_e32 v[24:25], 0
	s_wait_xcnt 0x0
	s_and_saveexec_b32 s80, s79
	s_cbranch_execz .LBB191_90
; %bb.89:                               ;   in Loop: Header=BB191_78 Depth=2
	v_add_nc_u64_e32 v[4:5], v[236:237], v[180:181]
	flat_load_b128 v[22:25], v[4:5]
.LBB191_90:                             ;   in Loop: Header=BB191_78 Depth=2
	s_wait_xcnt 0x0
	s_or_b32 exec_lo, exec_lo, s80
	s_set_vgpr_msb 1                        ;  msbs: dst=0 src0=1 src1=0 src2=0
	ds_load_b128 v[30:33], v26 /*v282*/
	ds_load_b128 v[26:29], v18 /*v274*/
	v_cndmask_b32_e64 v3, 0, 1, s78
	s_and_not1_b32 vcc_lo, exec_lo, s78
	s_wait_loadcnt_dscnt 0x1
	s_set_vgpr_msb 0                        ;  msbs: dst=0 src0=0 src1=0 src2=0
	v_mul_f64_e32 v[4:5], v[16:17], v[32:33]
	v_mul_f64_e32 v[44:45], v[14:15], v[32:33]
	;; [unrolled: 1-line block ×8, first 2 shown]
	v_fma_f64 v[42:43], v[14:15], v[30:31], -v[4:5]
	v_fmac_f64_e32 v[44:45], v[16:17], v[30:31]
	v_fma_f64 v[46:47], v[10:11], v[30:31], -v[34:35]
	v_fmac_f64_e32 v[48:49], v[12:13], v[30:31]
	;; [unrolled: 2-line block ×4, first 2 shown]
	s_set_vgpr_msb 1                        ;  msbs: dst=0 src0=1 src1=0 src2=0
	ds_load_b128 v[38:41], v18 /*v274*/ offset:16
	ds_load_b128 v[34:37], v18 /*v274*/ offset:32
	;; [unrolled: 1-line block ×3, first 2 shown]
	s_set_vgpr_msb 0                        ;  msbs: dst=0 src0=0 src1=0 src2=0
	v_add_nc_u64_e32 v[4:5], v[248:249], v[180:181]
	s_set_vgpr_msb 1                        ;  msbs: dst=0 src0=1 src1=0 src2=0
	ds_store_b128 v19 /*v275*/, v[42:45]
	ds_store_b128 v19 /*v275*/, v[46:49] offset:1072
	ds_store_b128 v19 /*v275*/, v[50:53] offset:2144
	;; [unrolled: 1-line block ×3, first 2 shown]
	s_wait_dscnt 0x0
	s_barrier_signal -1
	s_barrier_wait -1
	ds_load_b128 v[130:133], v20 /*v276*/
	ds_load_b128 v[126:129], v20 /*v276*/ offset:16
	ds_load_b128 v[122:125], v20 /*v276*/ offset:32
	;; [unrolled: 1-line block ×3, first 2 shown]
	s_wait_dscnt 0x0
	s_barrier_signal -1
	s_barrier_wait -1
	s_set_vgpr_msb 0                        ;  msbs: dst=0 src0=0 src1=0 src2=0
	s_cbranch_vccnz .LBB191_98
; %bb.91:                               ;   in Loop: Header=BB191_78 Depth=2
	v_mov_b64_e32 v[42:43], 0
	v_mov_b64_e32 v[46:47], 0
	;; [unrolled: 1-line block ×3, first 2 shown]
	s_mov_b32 s78, exec_lo
	s_set_vgpr_msb 4                        ;  msbs: dst=0 src0=0 src1=1 src2=0
	v_cmpx_gt_i32_e64 s77, v42 /*v298*/
	s_set_vgpr_msb 0                        ;  msbs: dst=0 src0=0 src1=0 src2=0
	s_cbranch_execz .LBB191_93
; %bb.92:                               ;   in Loop: Header=BB191_78 Depth=2
	flat_load_b128 v[46:49], v[4:5]
.LBB191_93:                             ;   in Loop: Header=BB191_78 Depth=2
	s_wait_xcnt 0x0
	s_or_b32 exec_lo, exec_lo, s78
	v_mov_b64_e32 v[44:45], 0
	s_mov_b32 s78, exec_lo
	s_set_vgpr_msb 4                        ;  msbs: dst=0 src0=0 src1=1 src2=0
	v_cmpx_gt_i32_e64 s77, v43 /*v299*/
	s_set_vgpr_msb 0                        ;  msbs: dst=0 src0=0 src1=0 src2=0
	s_cbranch_execz .LBB191_95
; %bb.94:                               ;   in Loop: Header=BB191_78 Depth=2
	v_add_nc_u64_e32 v[42:43], v[244:245], v[180:181]
	flat_load_b128 v[42:45], v[42:43]
.LBB191_95:                             ;   in Loop: Header=BB191_78 Depth=2
	s_wait_xcnt 0x0
	s_or_b32 exec_lo, exec_lo, s78
	v_mov_b64_e32 v[50:51], 0
	v_mov_b64_e32 v[52:53], 0
	s_mov_b32 s78, exec_lo
	s_set_vgpr_msb 4                        ;  msbs: dst=0 src0=0 src1=1 src2=0
	v_cmpx_gt_i32_e64 s77, v44 /*v300*/
	s_set_vgpr_msb 0                        ;  msbs: dst=0 src0=0 src1=0 src2=0
	s_cbranch_execz .LBB191_97
; %bb.96:                               ;   in Loop: Header=BB191_78 Depth=2
	v_add_nc_u64_e32 v[50:51], v[252:253], v[180:181]
	flat_load_b128 v[50:53], v[50:51]
.LBB191_97:                             ;   in Loop: Header=BB191_78 Depth=2
	s_wait_xcnt 0x0
	s_or_b32 exec_lo, exec_lo, s78
	s_set_vgpr_msb 4                        ;  msbs: dst=0 src0=0 src1=1 src2=0
	v_cmp_gt_i32_e64 s78, s77, v45 /*v301*/
	s_set_vgpr_msb 0                        ;  msbs: dst=0 src0=0 src1=0 src2=0
	s_branch .LBB191_100
.LBB191_98:                             ;   in Loop: Header=BB191_78 Depth=2
	s_mov_b32 s78, 0
                                        ; implicit-def: $vgpr52_vgpr53
                                        ; implicit-def: $vgpr44_vgpr45
                                        ; implicit-def: $vgpr48_vgpr49
	s_cbranch_execz .LBB191_100
; %bb.99:                               ;   in Loop: Header=BB191_78 Depth=2
	s_wait_loadcnt_dscnt 0x0
	v_add_nc_u64_e32 v[42:43], v[244:245], v[180:181]
	v_add_nc_u64_e32 v[50:51], v[240:241], v[180:181]
	s_or_b32 s78, s78, exec_lo
	flat_load_b128 v[46:49], v[4:5]
	flat_load_b128 v[42:45], v[42:43]
	flat_load_b128 v[50:53], v[50:51] offset:-8
.LBB191_100:                            ;   in Loop: Header=BB191_78 Depth=2
	v_mov_b64_e32 v[54:55], 0
	v_mov_b64_e32 v[56:57], 0
	s_wait_xcnt 0x0
	s_and_saveexec_b32 s79, s78
	s_cbranch_execz .LBB191_102
; %bb.101:                              ;   in Loop: Header=BB191_78 Depth=2
	s_set_vgpr_msb 1                        ;  msbs: dst=0 src0=1 src1=0 src2=0
	v_add_nc_u64_e32 v[4:5], v[0:1] /*v[256:257]*/, v[180:181]
	s_set_vgpr_msb 0                        ;  msbs: dst=0 src0=0 src1=0 src2=0
	flat_load_b128 v[54:57], v[4:5]
.LBB191_102:                            ;   in Loop: Header=BB191_78 Depth=2
	s_wait_xcnt 0x0
	s_or_b32 exec_lo, exec_lo, s79
	s_set_vgpr_msb 1                        ;  msbs: dst=0 src0=1 src1=0 src2=0
	ds_load_b128 v[62:65], v26 /*v282*/
	ds_load_b128 v[58:61], v18 /*v274*/ offset:256
	v_cmp_ne_u32_e32 vcc_lo, 1, v3
	s_and_b32 vcc_lo, exec_lo, vcc_lo
	s_wait_loadcnt_dscnt 0x1
	s_set_vgpr_msb 0                        ;  msbs: dst=0 src0=0 src1=0 src2=0
	v_mul_f64_e32 v[4:5], v[48:49], v[64:65]
	v_mul_f64_e32 v[72:73], v[46:47], v[64:65]
	;; [unrolled: 1-line block ×8, first 2 shown]
	v_fma_f64 v[70:71], v[46:47], v[62:63], -v[4:5]
	v_fmac_f64_e32 v[72:73], v[48:49], v[62:63]
	v_fma_f64 v[78:79], v[42:43], v[62:63], -v[66:67]
	v_fmac_f64_e32 v[80:81], v[44:45], v[62:63]
	;; [unrolled: 2-line block ×4, first 2 shown]
	s_set_vgpr_msb 1                        ;  msbs: dst=0 src0=1 src1=0 src2=0
	ds_load_b128 v[74:77], v18 /*v274*/ offset:272
	ds_load_b128 v[66:69], v18 /*v274*/ offset:288
	;; [unrolled: 1-line block ×3, first 2 shown]
	s_set_vgpr_msb 0                        ;  msbs: dst=0 src0=0 src1=0 src2=0
	v_add_nc_u64_e32 v[4:5], v[250:251], v[180:181]
	s_set_vgpr_msb 1                        ;  msbs: dst=0 src0=1 src1=0 src2=0
	ds_store_b128 v19 /*v275*/, v[70:73]
	ds_store_b128 v19 /*v275*/, v[78:81] offset:1072
	ds_store_b128 v19 /*v275*/, v[82:85] offset:2144
	;; [unrolled: 1-line block ×3, first 2 shown]
	s_wait_dscnt 0x0
	s_barrier_signal -1
	s_barrier_wait -1
	ds_load_b128 v[150:153], v20 /*v276*/
	ds_load_b128 v[146:149], v20 /*v276*/ offset:16
	ds_load_b128 v[142:145], v20 /*v276*/ offset:32
	;; [unrolled: 1-line block ×3, first 2 shown]
	s_wait_dscnt 0x0
	s_barrier_signal -1
	s_barrier_wait -1
	s_set_vgpr_msb 0                        ;  msbs: dst=0 src0=0 src1=0 src2=0
	s_cbranch_vccnz .LBB191_110
; %bb.103:                              ;   in Loop: Header=BB191_78 Depth=2
	v_mov_b64_e32 v[70:71], 0
	v_mov_b64_e32 v[78:79], 0
	;; [unrolled: 1-line block ×3, first 2 shown]
	s_mov_b32 s78, exec_lo
	s_set_vgpr_msb 4                        ;  msbs: dst=0 src0=0 src1=1 src2=0
	v_cmpx_gt_i32_e64 s77, v46 /*v302*/
	s_set_vgpr_msb 0                        ;  msbs: dst=0 src0=0 src1=0 src2=0
	s_cbranch_execz .LBB191_105
; %bb.104:                              ;   in Loop: Header=BB191_78 Depth=2
	flat_load_b128 v[78:81], v[4:5] offset:-8
.LBB191_105:                            ;   in Loop: Header=BB191_78 Depth=2
	s_wait_xcnt 0x0
	s_or_b32 exec_lo, exec_lo, s78
	v_mov_b64_e32 v[72:73], 0
	s_mov_b32 s78, exec_lo
	s_set_vgpr_msb 4                        ;  msbs: dst=0 src0=0 src1=1 src2=0
	v_cmpx_gt_i32_e64 s77, v47 /*v303*/
	s_set_vgpr_msb 0                        ;  msbs: dst=0 src0=0 src1=0 src2=0
	s_cbranch_execz .LBB191_107
; %bb.106:                              ;   in Loop: Header=BB191_78 Depth=2
	v_add_nc_u64_e32 v[70:71], v[254:255], v[180:181]
	flat_load_b128 v[70:73], v[70:71] offset:-8
.LBB191_107:                            ;   in Loop: Header=BB191_78 Depth=2
	s_wait_xcnt 0x0
	s_or_b32 exec_lo, exec_lo, s78
	v_mov_b64_e32 v[82:83], 0
	v_mov_b64_e32 v[84:85], 0
	s_mov_b32 s78, exec_lo
	s_set_vgpr_msb 4                        ;  msbs: dst=0 src0=0 src1=1 src2=0
	v_cmpx_gt_i32_e64 s77, v48 /*v304*/
	s_set_vgpr_msb 0                        ;  msbs: dst=0 src0=0 src1=0 src2=0
	s_cbranch_execz .LBB191_109
; %bb.108:                              ;   in Loop: Header=BB191_78 Depth=2
	v_add_nc_u64_e32 v[82:83], v[246:247], v[180:181]
	flat_load_b128 v[82:85], v[82:83] offset:-8
.LBB191_109:                            ;   in Loop: Header=BB191_78 Depth=2
	s_wait_xcnt 0x0
	s_or_b32 exec_lo, exec_lo, s78
	s_set_vgpr_msb 4                        ;  msbs: dst=0 src0=0 src1=1 src2=0
	v_cmp_gt_i32_e64 s78, s77, v49 /*v305*/
	s_set_vgpr_msb 0                        ;  msbs: dst=0 src0=0 src1=0 src2=0
	s_branch .LBB191_112
.LBB191_110:                            ;   in Loop: Header=BB191_78 Depth=2
	s_mov_b32 s78, 0
                                        ; implicit-def: $vgpr84_vgpr85
                                        ; implicit-def: $vgpr72_vgpr73
                                        ; implicit-def: $vgpr80_vgpr81
	s_cbranch_execz .LBB191_112
; %bb.111:                              ;   in Loop: Header=BB191_78 Depth=2
	s_wait_loadcnt_dscnt 0x0
	v_add_nc_u64_e32 v[70:71], v[254:255], v[180:181]
	s_set_vgpr_msb 1                        ;  msbs: dst=0 src0=1 src1=0 src2=0
	v_add_nc_u64_e32 v[82:83], v[2:3] /*v[258:259]*/, v[180:181]
	s_or_b32 s78, s78, exec_lo
	s_set_vgpr_msb 0                        ;  msbs: dst=0 src0=0 src1=0 src2=0
	flat_load_b128 v[78:81], v[4:5] offset:-8
	flat_load_b128 v[70:73], v[70:71] offset:-8
	;; [unrolled: 1-line block ×3, first 2 shown]
.LBB191_112:                            ;   in Loop: Header=BB191_78 Depth=2
	v_mov_b64_e32 v[86:87], 0
	v_mov_b64_e32 v[88:89], 0
	s_wait_xcnt 0x0
	s_and_saveexec_b32 s79, s78
	s_cbranch_execz .LBB191_114
; %bb.113:                              ;   in Loop: Header=BB191_78 Depth=2
	v_add_nc_u64_e32 v[4:5], v[242:243], v[180:181]
	flat_load_b128 v[86:89], v[4:5] offset:-8
.LBB191_114:                            ;   in Loop: Header=BB191_78 Depth=2
	s_wait_xcnt 0x0
	s_or_b32 exec_lo, exec_lo, s79
	s_set_vgpr_msb 1                        ;  msbs: dst=0 src0=1 src1=0 src2=0
	ds_load_b128 v[94:97], v26 /*v282*/
	ds_load_b128 v[90:93], v18 /*v274*/ offset:512
	v_cmp_ne_u32_e32 vcc_lo, 1, v3
	s_and_b32 vcc_lo, exec_lo, vcc_lo
	s_wait_loadcnt_dscnt 0x1
	s_set_vgpr_msb 0                        ;  msbs: dst=0 src0=0 src1=0 src2=0
	v_mul_f64_e32 v[4:5], v[80:81], v[96:97]
	v_mul_f64_e32 v[108:109], v[78:79], v[96:97]
	;; [unrolled: 1-line block ×8, first 2 shown]
	v_fma_f64 v[106:107], v[78:79], v[94:95], -v[4:5]
	v_fmac_f64_e32 v[108:109], v[80:81], v[94:95]
	v_fma_f64 v[110:111], v[70:71], v[94:95], -v[98:99]
	v_fmac_f64_e32 v[112:113], v[72:73], v[94:95]
	;; [unrolled: 2-line block ×4, first 2 shown]
	s_set_vgpr_msb 1                        ;  msbs: dst=0 src0=1 src1=0 src2=0
	ds_load_b128 v[102:105], v18 /*v274*/ offset:528
	ds_load_b128 v[98:101], v18 /*v274*/ offset:544
	;; [unrolled: 1-line block ×3, first 2 shown]
	s_set_vgpr_msb 0                        ;  msbs: dst=0 src0=0 src1=0 src2=0
	v_add_nc_u64_e32 v[4:5], v[230:231], v[180:181]
	s_set_vgpr_msb 1                        ;  msbs: dst=0 src0=1 src1=0 src2=0
	ds_store_b128 v19 /*v275*/, v[106:109]
	ds_store_b128 v19 /*v275*/, v[110:113] offset:1072
	ds_store_b128 v19 /*v275*/, v[114:117] offset:2144
	;; [unrolled: 1-line block ×3, first 2 shown]
	s_wait_dscnt 0x0
	s_barrier_signal -1
	s_barrier_wait -1
	ds_load_b128 v[166:169], v20 /*v276*/
	ds_load_b128 v[162:165], v20 /*v276*/ offset:16
	ds_load_b128 v[158:161], v20 /*v276*/ offset:32
	ds_load_b128 v[154:157], v20 /*v276*/ offset:48
	s_wait_dscnt 0x0
	s_barrier_signal -1
	s_barrier_wait -1
	s_set_vgpr_msb 0                        ;  msbs: dst=0 src0=0 src1=0 src2=0
	s_cbranch_vccnz .LBB191_122
; %bb.115:                              ;   in Loop: Header=BB191_78 Depth=2
	v_mov_b64_e32 v[106:107], 0
	v_mov_b64_e32 v[110:111], 0
	;; [unrolled: 1-line block ×3, first 2 shown]
	s_mov_b32 s78, exec_lo
	s_set_vgpr_msb 4                        ;  msbs: dst=0 src0=0 src1=1 src2=0
	v_cmpx_gt_i32_e64 s77, v50 /*v306*/
	s_set_vgpr_msb 0                        ;  msbs: dst=0 src0=0 src1=0 src2=0
	s_cbranch_execz .LBB191_117
; %bb.116:                              ;   in Loop: Header=BB191_78 Depth=2
	flat_load_b128 v[110:113], v[4:5] offset:-8
.LBB191_117:                            ;   in Loop: Header=BB191_78 Depth=2
	s_wait_xcnt 0x0
	s_or_b32 exec_lo, exec_lo, s78
	v_mov_b64_e32 v[108:109], 0
	s_mov_b32 s78, exec_lo
	s_set_vgpr_msb 4                        ;  msbs: dst=0 src0=0 src1=1 src2=0
	v_cmpx_gt_i32_e64 s77, v51 /*v307*/
	s_set_vgpr_msb 0                        ;  msbs: dst=0 src0=0 src1=0 src2=0
	s_cbranch_execz .LBB191_119
; %bb.118:                              ;   in Loop: Header=BB191_78 Depth=2
	v_add_nc_u64_e32 v[106:107], v[234:235], v[180:181]
	flat_load_b128 v[106:109], v[106:107] offset:-8
.LBB191_119:                            ;   in Loop: Header=BB191_78 Depth=2
	s_wait_xcnt 0x0
	s_or_b32 exec_lo, exec_lo, s78
	v_mov_b64_e32 v[114:115], 0
	v_mov_b64_e32 v[116:117], 0
	s_mov_b32 s78, exec_lo
	s_set_vgpr_msb 4                        ;  msbs: dst=0 src0=0 src1=1 src2=0
	v_cmpx_gt_i32_e64 s77, v52 /*v308*/
	s_set_vgpr_msb 0                        ;  msbs: dst=0 src0=0 src1=0 src2=0
	s_cbranch_execz .LBB191_121
; %bb.120:                              ;   in Loop: Header=BB191_78 Depth=2
	v_add_nc_u64_e32 v[114:115], v[226:227], v[180:181]
	flat_load_b128 v[114:117], v[114:115] offset:-8
.LBB191_121:                            ;   in Loop: Header=BB191_78 Depth=2
	s_wait_xcnt 0x0
	s_or_b32 exec_lo, exec_lo, s78
	s_set_vgpr_msb 4                        ;  msbs: dst=0 src0=0 src1=1 src2=0
	v_cmp_gt_i32_e64 s78, s77, v53 /*v309*/
	s_set_vgpr_msb 0                        ;  msbs: dst=0 src0=0 src1=0 src2=0
	s_branch .LBB191_124
.LBB191_122:                            ;   in Loop: Header=BB191_78 Depth=2
	s_mov_b32 s78, 0
                                        ; implicit-def: $vgpr116_vgpr117
                                        ; implicit-def: $vgpr108_vgpr109
                                        ; implicit-def: $vgpr112_vgpr113
	s_cbranch_execz .LBB191_124
; %bb.123:                              ;   in Loop: Header=BB191_78 Depth=2
	s_wait_loadcnt_dscnt 0x0
	v_add_nc_u64_e32 v[106:107], v[234:235], v[180:181]
	v_add_nc_u64_e32 v[114:115], v[238:239], v[180:181]
	s_or_b32 s78, s78, exec_lo
	flat_load_b128 v[110:113], v[4:5] offset:-8
	flat_load_b128 v[106:109], v[106:107] offset:-8
	flat_load_b128 v[114:117], v[114:115]
.LBB191_124:                            ;   in Loop: Header=BB191_78 Depth=2
	v_mov_b64_e32 v[134:135], 0
	v_mov_b64_e32 v[136:137], 0
	s_wait_xcnt 0x0
	s_and_saveexec_b32 s79, s78
	s_cbranch_execz .LBB191_126
; %bb.125:                              ;   in Loop: Header=BB191_78 Depth=2
	v_add_nc_u64_e32 v[4:5], v[222:223], v[180:181]
	flat_load_b128 v[134:137], v[4:5] offset:-8
.LBB191_126:                            ;   in Loop: Header=BB191_78 Depth=2
	s_wait_xcnt 0x0
	s_or_b32 exec_lo, exec_lo, s79
	v_add_f64_e32 v[4:5], 0, v[166:167]
	v_add_f64_e32 v[166:167], 0, v[168:169]
	s_set_vgpr_msb 4                        ;  msbs: dst=0 src0=0 src1=1 src2=0
	v_cmp_gt_i32_e32 vcc_lo, s77, v6 /*v262*/
	s_or_b32 s67, s67, vcc_lo
	s_delay_alu instid0(SALU_CYCLE_1) | instskip(SKIP_1) | instid1(VALU_DEP_3)
	s_and_b32 s77, s17, s67
	s_set_vgpr_msb 0                        ;  msbs: dst=0 src0=0 src1=0 src2=0
	v_add_f64_e32 v[4:5], v[4:5], v[162:163]
	s_delay_alu instid0(VALU_DEP_3) | instskip(NEXT) | instid1(VALU_DEP_2)
	v_add_f64_e32 v[162:163], v[166:167], v[164:165]
	v_add_f64_e32 v[4:5], v[4:5], v[158:159]
	s_delay_alu instid0(VALU_DEP_2) | instskip(NEXT) | instid1(VALU_DEP_2)
	v_add_f64_e32 v[158:159], v[162:163], v[160:161]
	v_add_f64_e32 v[154:155], v[4:5], v[154:155]
	;; [unrolled: 1-line block ×4, first 2 shown]
	s_delay_alu instid0(VALU_DEP_4) | instskip(NEXT) | instid1(VALU_DEP_3)
	v_add_f64_e32 v[156:157], v[158:159], v[156:157]
	v_add_f64_e32 v[4:5], v[4:5], v[146:147]
	s_delay_alu instid0(VALU_DEP_3) | instskip(NEXT) | instid1(VALU_DEP_2)
	v_add_f64_e32 v[146:147], v[150:151], v[148:149]
	v_add_f64_e32 v[4:5], v[4:5], v[142:143]
	s_delay_alu instid0(VALU_DEP_2) | instskip(NEXT) | instid1(VALU_DEP_2)
	v_add_f64_e32 v[142:143], v[146:147], v[144:145]
	v_add_f64_e32 v[138:139], v[4:5], v[138:139]
	;; [unrolled: 1-line block ×4, first 2 shown]
	s_delay_alu instid0(VALU_DEP_4) | instskip(NEXT) | instid1(VALU_DEP_3)
	v_add_f64_e32 v[140:141], v[142:143], v[140:141]
	v_add_f64_e32 v[4:5], v[4:5], v[126:127]
	s_delay_alu instid0(VALU_DEP_3) | instskip(NEXT) | instid1(VALU_DEP_2)
	v_add_f64_e32 v[126:127], v[130:131], v[128:129]
	v_add_f64_e32 v[4:5], v[4:5], v[122:123]
	s_delay_alu instid0(VALU_DEP_2) | instskip(NEXT) | instid1(VALU_DEP_2)
	v_add_f64_e32 v[122:123], v[126:127], v[124:125]
	v_add_f64_e32 v[142:143], v[4:5], v[118:119]
	s_delay_alu instid0(VALU_DEP_2)
	v_add_f64_e32 v[144:145], v[122:123], v[120:121]
	s_set_vgpr_msb 1                        ;  msbs: dst=0 src0=1 src1=0 src2=0
	ds_load_b128 v[146:149], v26 /*v282*/
	ds_load_b128 v[130:133], v18 /*v274*/ offset:768
	ds_load_b128 v[126:129], v18 /*v274*/ offset:784
	ds_load_b128 v[122:125], v18 /*v274*/ offset:800
	ds_load_b128 v[118:121], v18 /*v274*/ offset:816
	s_wait_loadcnt_dscnt 0x4
	s_set_vgpr_msb 0                        ;  msbs: dst=0 src0=0 src1=0 src2=0
	v_mul_f64_e32 v[4:5], v[112:113], v[148:149]
	v_mul_f64_e32 v[152:153], v[110:111], v[148:149]
	s_delay_alu instid0(VALU_DEP_2) | instskip(NEXT) | instid1(VALU_DEP_2)
	v_fma_f64 v[150:151], v[110:111], v[146:147], -v[4:5]
	v_fmac_f64_e32 v[152:153], v[112:113], v[146:147]
	v_mul_f64_e32 v[4:5], v[108:109], v[148:149]
	s_set_vgpr_msb 1                        ;  msbs: dst=0 src0=1 src1=0 src2=0
	ds_store_b128 v19 /*v275*/, v[150:153]
	s_set_vgpr_msb 0                        ;  msbs: dst=0 src0=0 src1=0 src2=0
	v_mul_f64_e32 v[152:153], v[106:107], v[148:149]
	v_fma_f64 v[150:151], v[106:107], v[146:147], -v[4:5]
	v_mul_f64_e32 v[4:5], v[116:117], v[148:149]
	s_delay_alu instid0(VALU_DEP_3)
	v_fmac_f64_e32 v[152:153], v[108:109], v[146:147]
	s_set_vgpr_msb 1                        ;  msbs: dst=0 src0=1 src1=0 src2=0
	ds_store_b128 v19 /*v275*/, v[150:153] offset:1072
	s_set_vgpr_msb 0                        ;  msbs: dst=0 src0=0 src1=0 src2=0
	v_mul_f64_e32 v[152:153], v[114:115], v[148:149]
	v_fma_f64 v[150:151], v[114:115], v[146:147], -v[4:5]
	v_mul_f64_e32 v[4:5], v[136:137], v[148:149]
	s_delay_alu instid0(VALU_DEP_3)
	v_fmac_f64_e32 v[152:153], v[116:117], v[146:147]
	s_set_vgpr_msb 1                        ;  msbs: dst=0 src0=1 src1=0 src2=0
	ds_store_b128 v19 /*v275*/, v[150:153] offset:2144
	s_set_vgpr_msb 0                        ;  msbs: dst=0 src0=0 src1=0 src2=0
	v_mul_f64_e32 v[152:153], v[134:135], v[148:149]
	v_fma_f64 v[150:151], v[134:135], v[146:147], -v[4:5]
	s_delay_alu instid0(VALU_DEP_2)
	v_fmac_f64_e32 v[152:153], v[136:137], v[146:147]
	s_set_vgpr_msb 1                        ;  msbs: dst=0 src0=1 src1=0 src2=0
	ds_store_b128 v19 /*v275*/, v[150:153] offset:3216
	s_wait_dscnt 0x0
	s_barrier_signal -1
	s_barrier_wait -1
	ds_load_b128 v[146:149], v20 /*v276*/
	ds_load_b128 v[150:153], v20 /*v276*/ offset:16
	ds_load_b128 v[158:161], v20 /*v276*/ offset:32
	;; [unrolled: 1-line block ×3, first 2 shown]
	s_wait_dscnt 0x0
	s_barrier_signal -1
	s_barrier_wait -1
	v_add_f64_e32 v[4:5], 0, v[146:147]
	v_add_f64_e32 v[146:147], 0, v[148:149]
	s_set_vgpr_msb 0                        ;  msbs: dst=0 src0=0 src1=0 src2=0
	s_delay_alu instid0(VALU_DEP_2) | instskip(NEXT) | instid1(VALU_DEP_2)
	v_add_f64_e32 v[4:5], v[4:5], v[150:151]
	v_add_f64_e32 v[146:147], v[146:147], v[152:153]
	s_delay_alu instid0(VALU_DEP_2) | instskip(NEXT) | instid1(VALU_DEP_2)
	v_add_f64_e32 v[4:5], v[4:5], v[158:159]
	v_add_f64_e32 v[148:149], v[146:147], v[160:161]
	;; [unrolled: 3-line block ×3, first 2 shown]
	s_set_vgpr_msb 1                        ;  msbs: dst=0 src0=1 src1=0 src2=0
	ds_store_b128 v25 /*v281*/, v[142:145]
	ds_store_b128 v25 /*v281*/, v[138:141] offset:256
	ds_store_b128 v25 /*v281*/, v[154:157] offset:512
	;; [unrolled: 1-line block ×3, first 2 shown]
	s_wait_dscnt 0x0
	s_barrier_signal -1
	s_barrier_wait -1
	s_and_saveexec_b32 s67, s77
	s_set_vgpr_msb 0                        ;  msbs: dst=0 src0=0 src1=0 src2=0
	s_cbranch_execz .LBB191_128
; %bb.127:                              ;   in Loop: Header=BB191_78 Depth=2
	s_set_vgpr_msb 1                        ;  msbs: dst=0 src0=1 src1=0 src2=0
	ds_load_b128 v[138:141], v21 /*v277*/
	ds_load_b128 v[142:145], v21 /*v277*/ offset:16
	s_wait_dscnt 0x0
	s_set_vgpr_msb 0                        ;  msbs: dst=0 src0=0 src1=0 src2=0
	v_add_f64_e32 v[4:5], v[142:143], v[138:139]
	v_add_f64_e32 v[146:147], v[144:145], v[140:141]
	s_set_vgpr_msb 1                        ;  msbs: dst=0 src0=1 src1=0 src2=0
	ds_load_b128 v[138:141], v21 /*v277*/ offset:32
	ds_load_b128 v[142:145], v21 /*v277*/ offset:48
	s_wait_dscnt 0x1
	s_set_vgpr_msb 0                        ;  msbs: dst=0 src0=0 src1=0 src2=0
	v_add_f64_e32 v[4:5], v[4:5], v[138:139]
	v_add_f64_e32 v[138:139], v[146:147], v[140:141]
	s_wait_dscnt 0x0
	s_delay_alu instid0(VALU_DEP_2) | instskip(NEXT) | instid1(VALU_DEP_2)
	v_add_f64_e32 v[4:5], v[4:5], v[142:143]
	v_add_f64_e32 v[146:147], v[138:139], v[144:145]
	s_set_vgpr_msb 1                        ;  msbs: dst=0 src0=1 src1=0 src2=0
	ds_load_b128 v[138:141], v21 /*v277*/ offset:64
	ds_load_b128 v[142:145], v21 /*v277*/ offset:80
	s_wait_dscnt 0x1
	s_set_vgpr_msb 0                        ;  msbs: dst=0 src0=0 src1=0 src2=0
	v_add_f64_e32 v[4:5], v[4:5], v[138:139]
	v_add_f64_e32 v[138:139], v[146:147], v[140:141]
	s_wait_dscnt 0x0
	s_delay_alu instid0(VALU_DEP_2) | instskip(NEXT) | instid1(VALU_DEP_2)
	;; [unrolled: 11-line block ×6, first 2 shown]
	v_add_f64_e32 v[4:5], v[4:5], v[142:143]
	v_add_f64_e32 v[146:147], v[138:139], v[144:145]
	s_set_vgpr_msb 1                        ;  msbs: dst=0 src0=1 src1=0 src2=0
	ds_load_b128 v[138:141], v21 /*v277*/ offset:224
	ds_load_b128 v[142:145], v22 /*v278*/
	s_wait_dscnt 0x1
	s_set_vgpr_msb 0                        ;  msbs: dst=0 src0=0 src1=0 src2=0
	v_add_f64_e32 v[4:5], v[4:5], v[138:139]
	v_add_f64_e32 v[140:141], v[146:147], v[140:141]
	s_wait_dscnt 0x0
	s_delay_alu instid0(VALU_DEP_2) | instskip(NEXT) | instid1(VALU_DEP_2)
	v_add_f64_e32 v[138:139], v[4:5], v[142:143]
	v_add_f64_e32 v[140:141], v[140:141], v[144:145]
	global_store_b128 v217, v[138:141], s[64:65] scale_offset
.LBB191_128:                            ;   in Loop: Header=BB191_78 Depth=2
	s_wait_xcnt 0x0
	s_or_b32 exec_lo, exec_lo, s67
	v_mul_f64_e32 v[4:5], v[16:17], v[28:29]
	v_mul_f64_e32 v[28:29], v[14:15], v[28:29]
	;; [unrolled: 1-line block ×4, first 2 shown]
	v_add_nc_u64_e32 v[220:221], s[56:57], v[220:221]
	v_add_nc_u64_e32 v[222:223], s[56:57], v[222:223]
	;; [unrolled: 1-line block ×18, first 2 shown]
	s_set_vgpr_msb 0x44                     ;  msbs: dst=1 src0=0 src1=1 src2=0
	v_add_nc_u64_e32 v[0:1] /*v[256:257]*/, s[56:57], v[0:1] /*v[256:257]*/
	v_add_nc_u64_e32 v[2:3] /*v[258:259]*/, s[56:57], v[2:3] /*v[258:259]*/
	s_add_co_i32 s67, s76, 1
	s_add_co_i32 s76, s76, 2
	;; [unrolled: 1-line block ×3, first 2 shown]
	s_cmp_ge_u32 s76, s28
	s_wait_storecnt 0x0
	s_barrier_signal -1
	s_barrier_wait -1
	s_set_vgpr_msb 0                        ;  msbs: dst=0 src0=0 src1=0 src2=0
	v_dual_fma_f64 v[4:5], v[14:15], v[26:27], -v[4:5] :: v_dual_add_nc_u32 v217, 64, v217
	v_fmac_f64_e32 v[28:29], v[16:17], v[26:27]
	v_mul_f64_e32 v[14:15], v[20:21], v[36:37]
	v_mul_f64_e32 v[16:17], v[18:19], v[36:37]
	v_fma_f64 v[10:11], v[10:11], v[38:39], -v[138:139]
	v_fmac_f64_e32 v[40:41], v[12:13], v[38:39]
	v_mul_f64_e32 v[12:13], v[22:23], v[32:33]
	v_add_f64_e32 v[4:5], v[6:7], v[4:5]
	v_add_f64_e32 v[6:7], v[8:9], v[28:29]
	v_mul_f64_e32 v[8:9], v[24:25], v[32:33]
	v_fma_f64 v[14:15], v[18:19], v[34:35], -v[14:15]
	v_fmac_f64_e32 v[16:17], v[20:21], v[34:35]
	v_mul_f64_e32 v[18:19], v[46:47], v[60:61]
	v_fmac_f64_e32 v[12:13], v[24:25], v[30:31]
	v_add_f64_e32 v[4:5], v[4:5], v[10:11]
	v_mul_f64_e32 v[10:11], v[48:49], v[60:61]
	v_add_f64_e32 v[6:7], v[6:7], v[40:41]
	v_fma_f64 v[8:9], v[22:23], v[30:31], -v[8:9]
	v_fmac_f64_e32 v[18:19], v[48:49], v[58:59]
	v_add_f64_e32 v[4:5], v[4:5], v[14:15]
	v_mul_f64_e32 v[14:15], v[44:45], v[76:77]
	v_add_f64_e32 v[6:7], v[6:7], v[16:17]
	v_mul_f64_e32 v[16:17], v[42:43], v[76:77]
	v_fma_f64 v[10:11], v[46:47], v[58:59], -v[10:11]
	v_add_f64_e32 v[4:5], v[4:5], v[8:9]
	v_mul_f64_e32 v[8:9], v[52:53], v[68:69]
	v_add_f64_e32 v[6:7], v[6:7], v[12:13]
	v_mul_f64_e32 v[12:13], v[50:51], v[68:69]
	v_fma_f64 v[14:15], v[42:43], v[74:75], -v[14:15]
	v_fmac_f64_e32 v[16:17], v[44:45], v[74:75]
	v_add_f64_e32 v[4:5], v[4:5], v[10:11]
	v_mul_f64_e32 v[10:11], v[56:57], v[64:65]
	v_add_f64_e32 v[6:7], v[6:7], v[18:19]
	v_mul_f64_e32 v[18:19], v[54:55], v[64:65]
	v_fma_f64 v[8:9], v[50:51], v[66:67], -v[8:9]
	v_fmac_f64_e32 v[12:13], v[52:53], v[66:67]
	;; [unrolled: 6-line block ×10, first 2 shown]
	v_add_f64_e32 v[4:5], v[4:5], v[10:11]
	v_fma_f64 v[8:9], v[134:135], v[118:119], -v[8:9]
	v_add_f64_e32 v[6:7], v[6:7], v[18:19]
	v_fmac_f64_e32 v[12:13], v[136:137], v[118:119]
	s_delay_alu instid0(VALU_DEP_4) | instskip(NEXT) | instid1(VALU_DEP_3)
	v_add_f64_e32 v[4:5], v[4:5], v[14:15]
	v_add_f64_e32 v[10:11], v[6:7], v[16:17]
	s_delay_alu instid0(VALU_DEP_2) | instskip(NEXT) | instid1(VALU_DEP_2)
	v_add_f64_e32 v[6:7], v[4:5], v[8:9]
	v_add_f64_e32 v[8:9], v[10:11], v[12:13]
	s_cbranch_scc1 .LBB191_130
; %bb.129:                              ;   in Loop: Header=BB191_78 Depth=2
	s_mov_b32 s76, s67
	s_delay_alu instid0(SALU_CYCLE_1)
	s_cmp_eq_u32 s72, s76
	s_cselect_b32 s77, s29, 0
	s_and_saveexec_b32 s78, s0
	s_cbranch_execnz .LBB191_74
	s_branch .LBB191_78
.LBB191_130:                            ;   in Loop: Header=BB191_4 Depth=1
	s_set_vgpr_msb 1                        ;  msbs: dst=0 src0=1 src1=0 src2=0
	ds_store_b128 v23 /*v279*/, v[6:9]
	s_wait_dscnt 0x0
	s_barrier_signal -1
	s_barrier_wait -1
	s_and_saveexec_b32 s66, s74
	s_set_vgpr_msb 0                        ;  msbs: dst=0 src0=0 src1=0 src2=0
	s_cbranch_execz .LBB191_2
; %bb.131:                              ;   in Loop: Header=BB191_4 Depth=1
	s_set_vgpr_msb 1                        ;  msbs: dst=0 src0=1 src1=0 src2=0
	ds_load_b128 v[4:7], v7 /*v263*/ offset:1072
	ds_load_b128 v[8:11], v7 /*v263*/
	s_wait_dscnt 0x0
	s_set_vgpr_msb 0                        ;  msbs: dst=0 src0=0 src1=0 src2=0
	v_add_f64_e32 v[12:13], v[4:5], v[8:9]
	v_add_f64_e32 v[14:15], v[6:7], v[10:11]
	s_set_vgpr_msb 1                        ;  msbs: dst=0 src0=1 src1=0 src2=0
	ds_load_b128 v[4:7], v7 /*v263*/ offset:2144
	ds_load_b128 v[8:11], v7 /*v263*/ offset:3216
	s_wait_dscnt 0x1
	s_set_vgpr_msb 0                        ;  msbs: dst=0 src0=0 src1=0 src2=0
	v_add_f64_e32 v[4:5], v[12:13], v[4:5]
	v_add_f64_e32 v[6:7], v[14:15], v[6:7]
	s_wait_dscnt 0x0
	s_delay_alu instid0(VALU_DEP_2) | instskip(NEXT) | instid1(VALU_DEP_2)
	v_add_f64_e32 v[4:5], v[4:5], v[8:9]
	v_add_f64_e32 v[6:7], v[6:7], v[10:11]
	v_lshl_add_u64 v[8:9], v[170:171], 4, s[64:65]
	global_store_b128 v[8:9], v[4:7], off
	s_branch .LBB191_2
.LBB191_132:                            ;   in Loop: Header=BB191_4 Depth=1
	s_set_vgpr_msb 1                        ;  msbs: dst=0 src0=1 src1=0 src2=0
	ds_load_b128 v[6:9], v10 /*v266*/
	s_wait_dscnt 0x0
	ds_store_b128 v9 /*v265*/, v[6:9]
	s_or_b32 exec_lo, exec_lo, s64
	s_and_saveexec_b32 s64, s7
	s_set_vgpr_msb 0                        ;  msbs: dst=0 src0=0 src1=0 src2=0
	s_cbranch_execz .LBB191_28
.LBB191_133:                            ;   in Loop: Header=BB191_4 Depth=1
	s_set_vgpr_msb 1                        ;  msbs: dst=0 src0=1 src1=0 src2=0
	ds_load_b128 v[6:9], v12 /*v268*/
	s_wait_dscnt 0x0
	ds_store_b128 v30 /*v286*/, v[6:9]
	s_or_b32 exec_lo, exec_lo, s64
	s_and_saveexec_b32 s64, s8
	s_set_vgpr_msb 0                        ;  msbs: dst=0 src0=0 src1=0 src2=0
	s_cbranch_execz .LBB191_29
.LBB191_134:                            ;   in Loop: Header=BB191_4 Depth=1
	s_set_vgpr_msb 1                        ;  msbs: dst=0 src0=1 src1=0 src2=0
	ds_load_b128 v[6:9], v32 /*v288*/
	s_wait_dscnt 0x0
	ds_store_b128 v31 /*v287*/, v[6:9]
	s_or_b32 exec_lo, exec_lo, s64
	s_and_saveexec_b32 s64, s9
	s_set_vgpr_msb 0                        ;  msbs: dst=0 src0=0 src1=0 src2=0
	s_cbranch_execnz .LBB191_30
	s_branch .LBB191_31
.LBB191_135:                            ;   in Loop: Header=BB191_4 Depth=1
	s_set_vgpr_msb 1                        ;  msbs: dst=0 src0=1 src1=0 src2=0
	ds_load_b128 v[12:15], v10 /*v266*/
	s_wait_dscnt 0x0
	ds_store_b128 v16 /*v272*/, v[12:15]
	s_or_b32 exec_lo, exec_lo, s64
	s_and_saveexec_b32 s64, s7
	s_set_vgpr_msb 0                        ;  msbs: dst=0 src0=0 src1=0 src2=0
	s_cbranch_execz .LBB191_49
.LBB191_136:                            ;   in Loop: Header=BB191_4 Depth=1
	s_set_vgpr_msb 1                        ;  msbs: dst=0 src0=1 src1=0 src2=0
	ds_load_b128 v[12:15], v12 /*v268*/
	s_wait_dscnt 0x0
	ds_store_b128 v35 /*v291*/, v[12:15]
	s_or_b32 exec_lo, exec_lo, s64
	s_and_saveexec_b32 s64, s8
	s_set_vgpr_msb 0                        ;  msbs: dst=0 src0=0 src1=0 src2=0
	s_cbranch_execz .LBB191_50
.LBB191_137:                            ;   in Loop: Header=BB191_4 Depth=1
	s_set_vgpr_msb 1                        ;  msbs: dst=0 src0=1 src1=0 src2=0
	ds_load_b128 v[12:15], v32 /*v288*/
	s_wait_dscnt 0x0
	ds_store_b128 v36 /*v292*/, v[12:15]
	s_or_b32 exec_lo, exec_lo, s64
	s_and_saveexec_b32 s64, s9
	s_set_vgpr_msb 0                        ;  msbs: dst=0 src0=0 src1=0 src2=0
	s_cbranch_execnz .LBB191_51
	s_branch .LBB191_52
.LBB191_138:                            ;   in Loop: Header=BB191_4 Depth=1
	flat_load_b128 v[10:13], v[8:9]
	s_wait_loadcnt_dscnt 0x0
	s_set_vgpr_msb 1                        ;  msbs: dst=0 src0=1 src1=0 src2=0
	ds_store_2addr_b64 v8 /*v264*/, v[10:11], v[12:13] offset1:1
	s_wait_xcnt 0x0
	s_or_b32 exec_lo, exec_lo, s64
	s_and_saveexec_b32 s64, s3
	s_delay_alu instid0(SALU_CYCLE_1)
	s_xor_b32 s64, exec_lo, s64
	s_set_vgpr_msb 0                        ;  msbs: dst=0 src0=0 src1=0 src2=0
	s_cbranch_execz .LBB191_17
.LBB191_139:                            ;   in Loop: Header=BB191_4 Depth=1
	v_dual_mov_b32 v3, v2 :: v_dual_mov_b32 v4, v2
	v_mov_b32_e32 v5, v2
	s_set_vgpr_msb 1                        ;  msbs: dst=0 src0=1 src1=0 src2=0
	ds_store_b128 v27 /*v283*/, v[2:5]
	s_and_not1_saveexec_b32 s64, s64
	s_set_vgpr_msb 0                        ;  msbs: dst=0 src0=0 src1=0 src2=0
	s_cbranch_execz .LBB191_18
.LBB191_140:                            ;   in Loop: Header=BB191_4 Depth=1
	v_lshl_add_u64 v[4:5], s[42:43], 4, v[8:9]
	flat_load_b128 v[10:13], v[4:5]
	s_wait_loadcnt_dscnt 0x0
	s_set_vgpr_msb 1                        ;  msbs: dst=0 src0=1 src1=0 src2=0
	ds_store_2addr_b64 v27 /*v283*/, v[10:11], v[12:13] offset1:1
	s_wait_xcnt 0x0
	s_or_b32 exec_lo, exec_lo, s64
	s_and_saveexec_b32 s64, s4
	s_delay_alu instid0(SALU_CYCLE_1)
	s_xor_b32 s64, exec_lo, s64
	s_set_vgpr_msb 0                        ;  msbs: dst=0 src0=0 src1=0 src2=0
	s_cbranch_execz .LBB191_19
.LBB191_141:                            ;   in Loop: Header=BB191_4 Depth=1
	v_dual_mov_b32 v3, v2 :: v_dual_mov_b32 v4, v2
	v_mov_b32_e32 v5, v2
	s_set_vgpr_msb 1                        ;  msbs: dst=0 src0=1 src1=0 src2=0
	ds_store_b128 v28 /*v284*/, v[2:5]
	s_and_not1_saveexec_b32 s64, s64
	s_set_vgpr_msb 0                        ;  msbs: dst=0 src0=0 src1=0 src2=0
	s_cbranch_execz .LBB191_20
.LBB191_142:                            ;   in Loop: Header=BB191_4 Depth=1
	v_lshl_add_u64 v[4:5], s[44:45], 4, v[8:9]
	flat_load_b128 v[10:13], v[4:5]
	s_wait_loadcnt_dscnt 0x0
	s_set_vgpr_msb 1                        ;  msbs: dst=0 src0=1 src1=0 src2=0
	ds_store_2addr_b64 v28 /*v284*/, v[10:11], v[12:13] offset1:1
	s_wait_xcnt 0x0
	s_or_b32 exec_lo, exec_lo, s64
	s_and_saveexec_b32 s64, s5
	s_delay_alu instid0(SALU_CYCLE_1)
	s_xor_b32 s64, exec_lo, s64
	s_set_vgpr_msb 0                        ;  msbs: dst=0 src0=0 src1=0 src2=0
	s_cbranch_execz .LBB191_21
.LBB191_143:                            ;   in Loop: Header=BB191_4 Depth=1
	v_dual_mov_b32 v3, v2 :: v_dual_mov_b32 v4, v2
	v_mov_b32_e32 v5, v2
	s_set_vgpr_msb 1                        ;  msbs: dst=0 src0=1 src1=0 src2=0
	ds_store_b128 v29 /*v285*/, v[2:5]
	s_and_not1_saveexec_b32 s64, s64
	s_set_vgpr_msb 0                        ;  msbs: dst=0 src0=0 src1=0 src2=0
	s_cbranch_execnz .LBB191_22
	s_branch .LBB191_23
.LBB191_144:                            ;   in Loop: Header=BB191_4 Depth=1
	flat_load_b128 v[16:19], v[10:11]
	s_wait_loadcnt_dscnt 0x0
	s_set_vgpr_msb 1                        ;  msbs: dst=0 src0=1 src1=0 src2=0
	ds_store_2addr_b64 v8 /*v264*/, v[16:17], v[18:19] offset1:1
	s_wait_xcnt 0x0
	s_or_b32 exec_lo, exec_lo, s64
	s_and_saveexec_b32 s64, s13
	s_delay_alu instid0(SALU_CYCLE_1)
	s_xor_b32 s64, exec_lo, s64
	s_set_vgpr_msb 0                        ;  msbs: dst=0 src0=0 src1=0 src2=0
	s_cbranch_execz .LBB191_38
.LBB191_145:                            ;   in Loop: Header=BB191_4 Depth=1
	v_dual_mov_b32 v3, v2 :: v_dual_mov_b32 v4, v2
	v_mov_b32_e32 v5, v2
	s_set_vgpr_msb 1                        ;  msbs: dst=0 src0=1 src1=0 src2=0
	ds_store_b128 v27 /*v283*/, v[2:5]
	s_and_not1_saveexec_b32 s64, s64
	s_set_vgpr_msb 0                        ;  msbs: dst=0 src0=0 src1=0 src2=0
	s_cbranch_execz .LBB191_39
.LBB191_146:                            ;   in Loop: Header=BB191_4 Depth=1
	v_lshl_add_u64 v[4:5], s[42:43], 4, v[10:11]
	flat_load_b128 v[16:19], v[4:5]
	s_wait_loadcnt_dscnt 0x0
	s_set_vgpr_msb 1                        ;  msbs: dst=0 src0=1 src1=0 src2=0
	ds_store_2addr_b64 v27 /*v283*/, v[16:17], v[18:19] offset1:1
	s_wait_xcnt 0x0
	s_or_b32 exec_lo, exec_lo, s64
	s_and_saveexec_b32 s64, s14
	s_delay_alu instid0(SALU_CYCLE_1)
	s_xor_b32 s64, exec_lo, s64
	s_set_vgpr_msb 0                        ;  msbs: dst=0 src0=0 src1=0 src2=0
	s_cbranch_execz .LBB191_40
.LBB191_147:                            ;   in Loop: Header=BB191_4 Depth=1
	v_dual_mov_b32 v3, v2 :: v_dual_mov_b32 v4, v2
	v_mov_b32_e32 v5, v2
	s_set_vgpr_msb 1                        ;  msbs: dst=0 src0=1 src1=0 src2=0
	ds_store_b128 v28 /*v284*/, v[2:5]
	s_and_not1_saveexec_b32 s64, s64
	s_set_vgpr_msb 0                        ;  msbs: dst=0 src0=0 src1=0 src2=0
	s_cbranch_execz .LBB191_41
.LBB191_148:                            ;   in Loop: Header=BB191_4 Depth=1
	v_lshl_add_u64 v[4:5], s[44:45], 4, v[10:11]
	flat_load_b128 v[16:19], v[4:5]
	s_wait_loadcnt_dscnt 0x0
	s_set_vgpr_msb 1                        ;  msbs: dst=0 src0=1 src1=0 src2=0
	ds_store_2addr_b64 v28 /*v284*/, v[16:17], v[18:19] offset1:1
	s_wait_xcnt 0x0
	s_or_b32 exec_lo, exec_lo, s64
	s_and_saveexec_b32 s64, s15
	s_delay_alu instid0(SALU_CYCLE_1)
	s_xor_b32 s64, exec_lo, s64
	s_set_vgpr_msb 0                        ;  msbs: dst=0 src0=0 src1=0 src2=0
	s_cbranch_execz .LBB191_42
.LBB191_149:                            ;   in Loop: Header=BB191_4 Depth=1
	v_dual_mov_b32 v3, v2 :: v_dual_mov_b32 v4, v2
	v_mov_b32_e32 v5, v2
	s_set_vgpr_msb 1                        ;  msbs: dst=0 src0=1 src1=0 src2=0
	ds_store_b128 v29 /*v285*/, v[2:5]
	s_and_not1_saveexec_b32 s64, s64
	s_set_vgpr_msb 0                        ;  msbs: dst=0 src0=0 src1=0 src2=0
	s_cbranch_execnz .LBB191_43
	s_branch .LBB191_44
.LBB191_150:                            ;   in Loop: Header=BB191_4 Depth=1
	flat_load_b128 v[16:19], v[14:15]
	s_wait_loadcnt_dscnt 0x0
	s_set_vgpr_msb 1                        ;  msbs: dst=0 src0=1 src1=0 src2=0
	ds_store_2addr_b64 v8 /*v264*/, v[16:17], v[18:19] offset1:1
	s_wait_xcnt 0x0
	s_or_b32 exec_lo, exec_lo, s64
	s_and_saveexec_b32 s64, s13
	s_delay_alu instid0(SALU_CYCLE_1)
	s_xor_b32 s64, exec_lo, s64
	s_set_vgpr_msb 0                        ;  msbs: dst=0 src0=0 src1=0 src2=0
	s_cbranch_execz .LBB191_59
.LBB191_151:                            ;   in Loop: Header=BB191_4 Depth=1
	v_dual_mov_b32 v3, v2 :: v_dual_mov_b32 v4, v2
	v_mov_b32_e32 v5, v2
	s_set_vgpr_msb 1                        ;  msbs: dst=0 src0=1 src1=0 src2=0
	ds_store_b128 v27 /*v283*/, v[2:5]
	s_and_not1_saveexec_b32 s64, s64
	s_set_vgpr_msb 0                        ;  msbs: dst=0 src0=0 src1=0 src2=0
	s_cbranch_execz .LBB191_60
.LBB191_152:                            ;   in Loop: Header=BB191_4 Depth=1
	v_lshl_add_u64 v[4:5], s[42:43], 4, v[14:15]
	flat_load_b128 v[16:19], v[4:5]
	s_wait_loadcnt_dscnt 0x0
	s_set_vgpr_msb 1                        ;  msbs: dst=0 src0=1 src1=0 src2=0
	ds_store_2addr_b64 v27 /*v283*/, v[16:17], v[18:19] offset1:1
	s_wait_xcnt 0x0
	s_or_b32 exec_lo, exec_lo, s64
	s_and_saveexec_b32 s64, s14
	s_delay_alu instid0(SALU_CYCLE_1)
	s_xor_b32 s64, exec_lo, s64
	s_set_vgpr_msb 0                        ;  msbs: dst=0 src0=0 src1=0 src2=0
	s_cbranch_execz .LBB191_61
.LBB191_153:                            ;   in Loop: Header=BB191_4 Depth=1
	v_dual_mov_b32 v3, v2 :: v_dual_mov_b32 v4, v2
	v_mov_b32_e32 v5, v2
	s_set_vgpr_msb 1                        ;  msbs: dst=0 src0=1 src1=0 src2=0
	ds_store_b128 v28 /*v284*/, v[2:5]
	s_and_not1_saveexec_b32 s64, s64
	s_set_vgpr_msb 0                        ;  msbs: dst=0 src0=0 src1=0 src2=0
	s_cbranch_execz .LBB191_62
.LBB191_154:                            ;   in Loop: Header=BB191_4 Depth=1
	v_lshl_add_u64 v[4:5], s[44:45], 4, v[14:15]
	flat_load_b128 v[16:19], v[4:5]
	s_wait_loadcnt_dscnt 0x0
	s_set_vgpr_msb 1                        ;  msbs: dst=0 src0=1 src1=0 src2=0
	ds_store_2addr_b64 v28 /*v284*/, v[16:17], v[18:19] offset1:1
	s_wait_xcnt 0x0
	s_or_b32 exec_lo, exec_lo, s64
	s_and_saveexec_b32 s64, s15
	s_delay_alu instid0(SALU_CYCLE_1)
	s_xor_b32 s64, exec_lo, s64
	s_set_vgpr_msb 0                        ;  msbs: dst=0 src0=0 src1=0 src2=0
	s_cbranch_execz .LBB191_63
.LBB191_155:                            ;   in Loop: Header=BB191_4 Depth=1
	v_dual_mov_b32 v3, v2 :: v_dual_mov_b32 v4, v2
	v_mov_b32_e32 v5, v2
	s_set_vgpr_msb 1                        ;  msbs: dst=0 src0=1 src1=0 src2=0
	ds_store_b128 v29 /*v285*/, v[2:5]
	s_and_not1_saveexec_b32 s64, s64
	s_set_vgpr_msb 0                        ;  msbs: dst=0 src0=0 src1=0 src2=0
	s_cbranch_execnz .LBB191_64
	s_branch .LBB191_65
.LBB191_156:
	s_sendmsg sendmsg(MSG_DEALLOC_VGPRS)
	s_endpgm
	.section	.rodata,"a",@progbits
	.p2align	6, 0x0
	.amdhsa_kernel _ZL26rocblas_hemvn_kernel_upperILb0ELi64ELi4ELi33ELi32ELi16Ei19rocblas_complex_numIdEPKPKS1_PS1_EviT6_lT7_lT5_lS8_lS9_lS7_lT8_i
		.amdhsa_group_segment_fixed_size 19200
		.amdhsa_private_segment_fixed_size 0
		.amdhsa_kernarg_size 392
		.amdhsa_user_sgpr_count 2
		.amdhsa_user_sgpr_dispatch_ptr 0
		.amdhsa_user_sgpr_queue_ptr 0
		.amdhsa_user_sgpr_kernarg_segment_ptr 1
		.amdhsa_user_sgpr_dispatch_id 0
		.amdhsa_user_sgpr_kernarg_preload_length 0
		.amdhsa_user_sgpr_kernarg_preload_offset 0
		.amdhsa_user_sgpr_private_segment_size 0
		.amdhsa_wavefront_size32 1
		.amdhsa_uses_dynamic_stack 0
		.amdhsa_enable_private_segment 0
		.amdhsa_system_sgpr_workgroup_id_x 1
		.amdhsa_system_sgpr_workgroup_id_y 0
		.amdhsa_system_sgpr_workgroup_id_z 1
		.amdhsa_system_sgpr_workgroup_info 0
		.amdhsa_system_vgpr_workitem_id 1
		.amdhsa_next_free_vgpr 311
		.amdhsa_next_free_sgpr 96
		.amdhsa_named_barrier_count 0
		.amdhsa_reserve_vcc 1
		.amdhsa_float_round_mode_32 0
		.amdhsa_float_round_mode_16_64 0
		.amdhsa_float_denorm_mode_32 3
		.amdhsa_float_denorm_mode_16_64 3
		.amdhsa_fp16_overflow 0
		.amdhsa_memory_ordered 1
		.amdhsa_forward_progress 1
		.amdhsa_inst_pref_size 82
		.amdhsa_round_robin_scheduling 0
		.amdhsa_exception_fp_ieee_invalid_op 0
		.amdhsa_exception_fp_denorm_src 0
		.amdhsa_exception_fp_ieee_div_zero 0
		.amdhsa_exception_fp_ieee_overflow 0
		.amdhsa_exception_fp_ieee_underflow 0
		.amdhsa_exception_fp_ieee_inexact 0
		.amdhsa_exception_int_div_zero 0
	.end_amdhsa_kernel
	.section	.text._ZL26rocblas_hemvn_kernel_upperILb0ELi64ELi4ELi33ELi32ELi16Ei19rocblas_complex_numIdEPKPKS1_PS1_EviT6_lT7_lT5_lS8_lS9_lS7_lT8_i,"axG",@progbits,_ZL26rocblas_hemvn_kernel_upperILb0ELi64ELi4ELi33ELi32ELi16Ei19rocblas_complex_numIdEPKPKS1_PS1_EviT6_lT7_lT5_lS8_lS9_lS7_lT8_i,comdat
.Lfunc_end191:
	.size	_ZL26rocblas_hemvn_kernel_upperILb0ELi64ELi4ELi33ELi32ELi16Ei19rocblas_complex_numIdEPKPKS1_PS1_EviT6_lT7_lT5_lS8_lS9_lS7_lT8_i, .Lfunc_end191-_ZL26rocblas_hemvn_kernel_upperILb0ELi64ELi4ELi33ELi32ELi16Ei19rocblas_complex_numIdEPKPKS1_PS1_EviT6_lT7_lT5_lS8_lS9_lS7_lT8_i
                                        ; -- End function
	.set _ZL26rocblas_hemvn_kernel_upperILb0ELi64ELi4ELi33ELi32ELi16Ei19rocblas_complex_numIdEPKPKS1_PS1_EviT6_lT7_lT5_lS8_lS9_lS7_lT8_i.num_vgpr, 311
	.set _ZL26rocblas_hemvn_kernel_upperILb0ELi64ELi4ELi33ELi32ELi16Ei19rocblas_complex_numIdEPKPKS1_PS1_EviT6_lT7_lT5_lS8_lS9_lS7_lT8_i.num_agpr, 0
	.set _ZL26rocblas_hemvn_kernel_upperILb0ELi64ELi4ELi33ELi32ELi16Ei19rocblas_complex_numIdEPKPKS1_PS1_EviT6_lT7_lT5_lS8_lS9_lS7_lT8_i.numbered_sgpr, 96
	.set _ZL26rocblas_hemvn_kernel_upperILb0ELi64ELi4ELi33ELi32ELi16Ei19rocblas_complex_numIdEPKPKS1_PS1_EviT6_lT7_lT5_lS8_lS9_lS7_lT8_i.num_named_barrier, 0
	.set _ZL26rocblas_hemvn_kernel_upperILb0ELi64ELi4ELi33ELi32ELi16Ei19rocblas_complex_numIdEPKPKS1_PS1_EviT6_lT7_lT5_lS8_lS9_lS7_lT8_i.private_seg_size, 0
	.set _ZL26rocblas_hemvn_kernel_upperILb0ELi64ELi4ELi33ELi32ELi16Ei19rocblas_complex_numIdEPKPKS1_PS1_EviT6_lT7_lT5_lS8_lS9_lS7_lT8_i.uses_vcc, 1
	.set _ZL26rocblas_hemvn_kernel_upperILb0ELi64ELi4ELi33ELi32ELi16Ei19rocblas_complex_numIdEPKPKS1_PS1_EviT6_lT7_lT5_lS8_lS9_lS7_lT8_i.uses_flat_scratch, 0
	.set _ZL26rocblas_hemvn_kernel_upperILb0ELi64ELi4ELi33ELi32ELi16Ei19rocblas_complex_numIdEPKPKS1_PS1_EviT6_lT7_lT5_lS8_lS9_lS7_lT8_i.has_dyn_sized_stack, 0
	.set _ZL26rocblas_hemvn_kernel_upperILb0ELi64ELi4ELi33ELi32ELi16Ei19rocblas_complex_numIdEPKPKS1_PS1_EviT6_lT7_lT5_lS8_lS9_lS7_lT8_i.has_recursion, 0
	.set _ZL26rocblas_hemvn_kernel_upperILb0ELi64ELi4ELi33ELi32ELi16Ei19rocblas_complex_numIdEPKPKS1_PS1_EviT6_lT7_lT5_lS8_lS9_lS7_lT8_i.has_indirect_call, 0
	.section	.AMDGPU.csdata,"",@progbits
; Kernel info:
; codeLenInByte = 10388
; TotalNumSgprs: 98
; NumVgprs: 311
; ScratchSize: 0
; MemoryBound: 1
; FloatMode: 240
; IeeeMode: 1
; LDSByteSize: 19200 bytes/workgroup (compile time only)
; SGPRBlocks: 0
; VGPRBlocks: 19
; NumSGPRsForWavesPerEU: 98
; NumVGPRsForWavesPerEU: 311
; NamedBarCnt: 0
; Occupancy: 3
; WaveLimiterHint : 1
; COMPUTE_PGM_RSRC2:SCRATCH_EN: 0
; COMPUTE_PGM_RSRC2:USER_SGPR: 2
; COMPUTE_PGM_RSRC2:TRAP_HANDLER: 0
; COMPUTE_PGM_RSRC2:TGID_X_EN: 1
; COMPUTE_PGM_RSRC2:TGID_Y_EN: 0
; COMPUTE_PGM_RSRC2:TGID_Z_EN: 1
; COMPUTE_PGM_RSRC2:TIDIG_COMP_CNT: 1
	.section	.text._ZL26rocblas_hemvn_kernel_lowerILb0ELi64ELi4ELi33ELi32ELi16ElPK19rocblas_complex_numIdEPKS3_PS1_EviT6_lT7_lT5_lS8_lS9_lS7_lT8_i,"axG",@progbits,_ZL26rocblas_hemvn_kernel_lowerILb0ELi64ELi4ELi33ELi32ELi16ElPK19rocblas_complex_numIdEPKS3_PS1_EviT6_lT7_lT5_lS8_lS9_lS7_lT8_i,comdat
	.globl	_ZL26rocblas_hemvn_kernel_lowerILb0ELi64ELi4ELi33ELi32ELi16ElPK19rocblas_complex_numIdEPKS3_PS1_EviT6_lT7_lT5_lS8_lS9_lS7_lT8_i ; -- Begin function _ZL26rocblas_hemvn_kernel_lowerILb0ELi64ELi4ELi33ELi32ELi16ElPK19rocblas_complex_numIdEPKS3_PS1_EviT6_lT7_lT5_lS8_lS9_lS7_lT8_i
	.p2align	8
	.type	_ZL26rocblas_hemvn_kernel_lowerILb0ELi64ELi4ELi33ELi32ELi16ElPK19rocblas_complex_numIdEPKS3_PS1_EviT6_lT7_lT5_lS8_lS9_lS7_lT8_i,@function
_ZL26rocblas_hemvn_kernel_lowerILb0ELi64ELi4ELi33ELi32ELi16ElPK19rocblas_complex_numIdEPKS3_PS1_EviT6_lT7_lT5_lS8_lS9_lS7_lT8_i: ; @_ZL26rocblas_hemvn_kernel_lowerILb0ELi64ELi4ELi33ELi32ELi16ElPK19rocblas_complex_numIdEPKS3_PS1_EviT6_lT7_lT5_lS8_lS9_lS7_lT8_i
; %bb.0:
	s_clause 0x1
	s_load_b64 s[2:3], s[0:1], 0x84
	s_load_b32 s33, s[0:1], 0x70
	s_bfe_u32 s4, ttmp6, 0x40014
	s_lshr_b32 s5, ttmp7, 16
	s_add_co_i32 s4, s4, 1
	s_bfe_u32 s6, ttmp6, 0x40008
	s_mul_i32 s7, s5, s4
	s_getreg_b32 s4, hwreg(HW_REG_IB_STS2, 6, 4)
	s_add_co_i32 s6, s6, s7
	s_mov_b32 s41, 0
	s_wait_kmcnt 0x0
	s_lshr_b32 s7, s2, 16
	s_and_b32 s2, s2, 0xffff
	s_and_b32 s3, s3, 0xffff
	s_mul_i32 s2, s7, s2
	s_cmp_eq_u32 s4, 0
	s_mul_i32 s2, s2, s3
	s_cselect_b32 s34, s5, s6
	s_cmp_lg_u32 s2, 0x100
	s_cselect_b32 s2, -1, 0
	s_cmp_ge_u32 s34, s33
	s_cselect_b32 s3, -1, 0
	s_delay_alu instid0(SALU_CYCLE_1) | instskip(NEXT) | instid1(SALU_CYCLE_1)
	s_or_b32 s2, s2, s3
	s_and_b32 vcc_lo, exec_lo, s2
	s_cbranch_vccnz .LBB192_105
; %bb.1:
	s_load_b32 s2, s[0:1], 0x0
	s_add_nc_u64 s[6:7], s[0:1], 0x78
	s_load_b256 s[20:27], s[0:1], 0x8
	s_load_b32 s40, s[6:7], 0x0
	s_clause 0x4
	s_load_b64 s[70:71], s[0:1], 0x28
	s_load_b128 s[28:31], s[0:1], 0x38
	s_load_b64 s[8:9], s[0:1], 0x68
	s_load_b64 s[42:43], s[0:1], 0x48
	s_load_b128 s[36:39], s[0:1], 0x58
	s_wait_xcnt 0x0
	s_bfe_u32 s1, ttmp6, 0x4000c
	s_and_b32 s0, ttmp6, 15
	s_add_co_i32 s1, s1, 1
	v_bfe_u32 v1, v0, 10, 10
	s_mul_i32 s1, ttmp9, s1
	v_and_b32_e32 v144, 0x3ff, v0
	s_add_co_i32 s0, s0, s1
	v_dual_mov_b32 v147, 0 :: v_dual_bitop2_b32 v146, 31, v0 bitop3:0x40
	s_mov_b64 s[72:73], 0xfffffffffffffdf0
	s_mov_b64 s[74:75], 0xfffffffffffffe00
	v_lshlrev_b32_e32 v145, 4, v144
	s_delay_alu instid0(VALU_DEP_2) | instskip(SKIP_2) | instid1(VALU_DEP_2)
	v_sub_nc_u64_e32 v[154:155], 0, v[146:147]
	s_wait_kmcnt 0x0
	s_mul_u64 s[56:57], s[70:71], 0x180
	v_add_nc_u32_e32 v164, 0x4700, v145
	s_ashr_i32 s3, s2, 31
	s_cmp_eq_u32 s4, 0
	s_mul_u64 s[46:47], s[40:41], s[2:3]
	s_cselect_b32 s80, ttmp9, s0
	s_lshr_b32 s0, s3, 26
	s_lshl_b32 s76, s80, 6
	s_delay_alu instid0(SALU_CYCLE_1) | instskip(SKIP_3) | instid1(VALU_DEP_1)
	v_dual_lshlrev_b32 v4, 6, v1 :: v_dual_add_nc_u32 v148, s76, v144
	s_add_co_i32 s0, s2, s0
	s_add_co_i32 s1, s40, -1
	s_and_not1_b32 s0, s0, 63
	v_add_nc_u32_e32 v5, v4, v144
	v_ashrrev_i32_e32 v149, 31, v148
	s_sub_co_i32 s0, s2, s0
	s_cmp_eq_u32 s80, s1
	s_mul_i32 s4, s2, s80
	v_lshrrev_b32_e32 v2, 5, v5
	s_cselect_b32 s44, s0, 0
	v_mul_u64_e32 v[150:151], s[42:43], v[148:149]
	s_cmp_eq_u32 s44, 0
	v_cmp_le_i32_e32 vcc_lo, s44, v144
	v_dual_add_nc_u32 v8, 24, v2 :: v_dual_lshlrev_b32 v9, 2, v2
	v_lshlrev_b32_e32 v3, 4, v146
	v_lshlrev_b32_e32 v11, 6, v2
	s_cselect_b32 s81, -1, 0
	s_cmp_lg_u32 s44, 0
	v_or_b32_e32 v12, 1, v9
	v_lshl_or_b32 v10, v146, 9, v3
	v_mad_u32_u24 v165, 0x210, v2, v3
	v_cmp_lt_u32_e64 s7, v9, v146
	v_mad_u32_u24 v170, 0x840, v2, v3
	v_mad_u32_u24 v172, 0x210, v12, v3
	v_dual_add_nc_u32 v169, v10, v11 :: v_dual_bitop2_b32 v3, 3, v9 bitop3:0x54
	v_or_b32_e32 v10, 2, v9
	v_mul_u32_u24_e32 v9, 33, v146
	s_cselect_b32 s1, -1, 0
	s_ashr_i32 s5, s4, 31
	v_mad_nc_u64_u32 v[152:153], s70, v2, v[146:147]
	s_lshl_b64 s[4:5], s[4:5], 4
	v_lshlrev_b32_e32 v175, 4, v9
	s_add_nc_u64 s[48:49], s[8:9], s[4:5]
	v_cmp_lt_u32_e64 s9, v10, v146
	v_dual_lshlrev_b32 v10, 4, v2 :: v_dual_add_nc_u32 v6, 8, v2
	v_add_nc_u32_e32 v7, 16, v2
	v_cmp_lt_u32_e64 s10, v3, v146
	v_dual_add_nc_u32 v176, 48, v169 :: v_dual_bitop2_b32 v3, 32, v146 bitop3:0x54
	s_delay_alu instid0(VALU_DEP_4)
	v_dual_add_nc_u32 v179, v175, v10 :: v_dual_add_nc_u32 v180, v175, v11
	s_sub_co_i32 s16, s44, 32
	v_mad_u32 v153, s71, v2, v153
	v_cmp_le_i32_e64 s3, s44, v2
	v_cmp_le_i32_e64 s4, s44, v6
	v_cmp_gt_i32_e64 s12, s44, v3
	v_cmp_le_i32_e64 s13, s16, v2
	v_cmp_le_i32_e64 s14, s16, v6
	v_add_nc_u32_e32 v183, 48, v180
	v_cmp_eq_u32_e64 s17, 1, v2
	v_mul_i32_i24_e32 v6, 0xffffffd0, v2
	v_mad_u32_u24 v184, v2, 48, v179
	v_dual_mov_b32 v3, v147 :: v_dual_lshlrev_b32 v2, 2, v1
	v_cmp_le_i32_e64 s5, s44, v7
	v_cmp_le_i32_e64 s15, s16, v7
	v_lshrrev_b32_e32 v7, 4, v5
	v_cmp_le_i32_e64 s6, s44, v8
	v_mul_u64_e32 v[156:157], s[70:71], v[2:3]
	v_cmp_le_i32_e64 s16, s16, v8
	v_and_b32_e32 v8, 15, v0
	v_dual_lshlrev_b32 v2, 6, v7 :: v_dual_bitop2_b32 v0, 48, v0 bitop3:0x40
	v_add_nc_u32_e32 v178, 0x4700, v11
	v_or_b32_e32 v3, 0xf0, v145
	s_ashr_i32 s77, s76, 31
	s_delay_alu instid0(VALU_DEP_3)
	v_lshlrev_b32_e32 v0, 4, v0
	v_mad_u32_u24 v188, 0x430, v8, v2
	v_mul_i32_i24_e32 v2, 0xffffffd0, v7
	v_cmp_eq_u32_e64 s0, 0, v1
	s_and_b32 s1, s1, vcc_lo
	s_mul_u64 s[18:19], s[42:43], s[76:77]
	v_sub_nc_u64_e32 v[158:159], 0, v[152:153]
	s_lshl_b64 s[52:53], s[70:71], 7
	v_add_nc_u32_e32 v166, 0x1080, v165
	s_lshl_b64 s[54:55], s[70:71], 8
	v_add_nc_u32_e32 v167, 0x2100, v165
	v_add_nc_u32_e32 v168, 0x3180, v165
	v_cmp_gt_i32_e64 s2, s44, v146
	s_ashr_i32 s45, s44, 31
	v_cmp_lt_u32_e64 s8, v12, v146
	v_dual_add_nc_u32 v171, 16, v169 :: v_dual_add_nc_u32 v173, 32, v169
	v_add_nc_u32_e32 v174, 0x210, v172
	v_add_nc_u32_e32 v177, 0x420, v172
	v_cmp_gt_u32_e64 s11, 32, v5
	s_lshl_b64 s[58:59], s[70:71], 5
	v_dual_add_nc_u32 v181, 16, v180 :: v_dual_add_nc_u32 v182, 32, v180
	s_xor_b32 s35, s1, -1
	s_sub_nc_u64 s[62:63], 0, s[18:19]
	v_add_nc_u32_e32 v185, 0x4300, v145
	v_add_nc_u32_e32 v186, 0x4300, v4
	v_mad_u32_u24 v187, 0x10c0, v1, v145
	v_cmp_gt_u32_e64 s18, 64, v5
	v_mad_u32_u24 v190, 0x430, v8, v3
	v_mad_u32_u24 v191, 0x430, v1, v145
	v_add_nc_u32_e32 v192, 0x4700, v10
	v_add_nc_u32_e32 v193, v178, v6
	v_mad_u32_u24 v189, 0x430, v8, v0
	v_add_nc_u32_e32 v194, v188, v2
	v_lshlrev_b32_e32 v146, 4, v146
	s_mul_u64 s[50:51], s[70:71], s[76:77]
	s_cmp_gt_i32 s80, 0
	s_sub_nc_u64 s[60:61], 0, s[58:59]
	s_cselect_b32 s82, -1, 0
	s_sub_nc_u64 s[64:65], 0, s[50:51]
	s_and_b32 s83, s0, s35
	s_sub_nc_u64 s[66:67], 0, s[44:45]
	s_lshl_b64 s[68:69], s[70:71], 4
	s_mul_u64 s[70:71], s[70:71], 0xd0
	s_lshl_b64 s[30:31], s[30:31], 4
	s_lshl_b64 s[26:27], s[26:27], 4
	;; [unrolled: 1-line block ×3, first 2 shown]
	s_branch .LBB192_4
.LBB192_2:                              ;   in Loop: Header=BB192_4 Depth=1
	s_wait_xcnt 0x0
	s_or_b32 exec_lo, exec_lo, s19
.LBB192_3:                              ;   in Loop: Header=BB192_4 Depth=1
	s_add_co_i32 s34, s34, 0x10000
	s_delay_alu instid0(SALU_CYCLE_1)
	s_cmp_lt_u32 s34, s33
	s_cbranch_scc0 .LBB192_105
.LBB192_4:                              ; =>This Loop Header: Depth=1
                                        ;     Child Loop BB192_75 Depth 2
	s_mov_b32 s35, s41
	s_wait_xcnt 0x0
	s_mul_u64 s[78:79], s[22:23], s[34:35]
	s_delay_alu instid0(SALU_CYCLE_1) | instskip(NEXT) | instid1(SALU_CYCLE_1)
	s_lshl_b64 s[78:79], s[78:79], 4
	s_add_nc_u64 s[78:79], s[20:21], s[78:79]
	global_load_b128 v[0:3], v147, s[78:79]
	s_wait_loadcnt 0x0
	v_cmp_neq_f64_e32 vcc_lo, 0, v[0:1]
	v_cmp_neq_f64_e64 s19, 0, v[2:3]
	s_or_b32 s19, vcc_lo, s19
	s_delay_alu instid0(SALU_CYCLE_1)
	s_and_b32 vcc_lo, exec_lo, s19
	s_mov_b32 s19, -1
	s_cbranch_vccz .LBB192_6
; %bb.5:                                ;   in Loop: Header=BB192_4 Depth=1
	s_and_not1_b32 vcc_lo, exec_lo, s19
	s_cbranch_vccnz .LBB192_3
	s_branch .LBB192_7
.LBB192_6:                              ;   in Loop: Header=BB192_4 Depth=1
	s_wait_xcnt 0x0
	s_mul_u64 s[78:79], s[38:39], s[34:35]
	s_delay_alu instid0(SALU_CYCLE_1) | instskip(NEXT) | instid1(SALU_CYCLE_1)
	s_lshl_b64 s[78:79], s[78:79], 4
	s_add_nc_u64 s[78:79], s[36:37], s[78:79]
	global_load_b128 v[0:3], v147, s[78:79]
	s_wait_loadcnt 0x0
	v_cmp_eq_f64_e32 vcc_lo, 1.0, v[0:1]
	v_cmp_eq_f64_e64 s19, 0, v[2:3]
	s_and_b32 s19, vcc_lo, s19
	s_delay_alu instid0(SALU_CYCLE_1)
	s_and_not1_b32 vcc_lo, exec_lo, s19
	s_cbranch_execnz .LBB192_3
.LBB192_7:                              ;   in Loop: Header=BB192_4 Depth=1
	s_wait_xcnt 0x0
	s_lshl_b64 s[78:79], s[34:35], 3
	s_delay_alu instid0(SALU_CYCLE_1)
	s_add_nc_u64 s[84:85], s[28:29], s[78:79]
	s_add_nc_u64 s[78:79], s[24:25], s[78:79]
	s_clause 0x1
	global_load_b64 v[2:3], v147, s[84:85]
	global_load_b64 v[0:1], v147, s[78:79]
	s_wait_loadcnt 0x1
	v_add_nc_u64_e32 v[2:3], s[30:31], v[2:3]
	s_delay_alu instid0(VALU_DEP_1)
	v_lshl_add_u64 v[36:37], v[150:151], 4, v[2:3]
	s_wait_xcnt 0x0
	s_and_saveexec_b32 s19, s0
	s_cbranch_execz .LBB192_12
; %bb.8:                                ;   in Loop: Header=BB192_4 Depth=1
	s_and_saveexec_b32 s40, s1
	s_delay_alu instid0(SALU_CYCLE_1)
	s_xor_b32 s40, exec_lo, s40
; %bb.9:                                ;   in Loop: Header=BB192_4 Depth=1
	v_dual_mov_b32 v2, v147 :: v_dual_mov_b32 v3, v147
	v_dual_mov_b32 v4, v147 :: v_dual_mov_b32 v5, v147
	ds_store_b128 v164, v[2:5]
; %bb.10:                               ;   in Loop: Header=BB192_4 Depth=1
	s_and_not1_saveexec_b32 s40, s40
	s_cbranch_execz .LBB192_12
; %bb.11:                               ;   in Loop: Header=BB192_4 Depth=1
	flat_load_b128 v[2:5], v[36:37]
	s_wait_loadcnt_dscnt 0x0
	ds_store_2addr_b64 v164, v[2:3], v[4:5] offset1:1
.LBB192_12:                             ;   in Loop: Header=BB192_4 Depth=1
	s_wait_xcnt 0x0
	s_or_b32 exec_lo, exec_lo, s19
	s_wait_loadcnt 0x0
	v_add_nc_u64_e32 v[0:1], s[26:27], v[0:1]
	s_and_not1_b32 vcc_lo, exec_lo, s81
	s_mov_b32 s19, -1
	s_delay_alu instid0(VALU_DEP_1) | instskip(NEXT) | instid1(VALU_DEP_1)
	v_add_nc_u64_e32 v[0:1], s[76:77], v[0:1]
	v_lshl_add_u64 v[0:1], v[152:153], 4, v[0:1]
	s_delay_alu instid0(VALU_DEP_1)
	v_lshl_add_u64 v[4:5], s[50:51], 4, v[0:1]
	s_cbranch_vccnz .LBB192_14
; %bb.13:                               ;   in Loop: Header=BB192_4 Depth=1
	flat_load_b128 v[0:3], v[4:5]
	v_add_nc_u64_e32 v[6:7], s[52:53], v[4:5]
	s_mov_b32 s19, 0
	s_wait_loadcnt_dscnt 0x0
	ds_store_2addr_b64 v165, v[0:1], v[2:3] offset1:1
	flat_load_b128 v[0:3], v[6:7]
	s_wait_xcnt 0x0
	v_add_nc_u64_e32 v[6:7], s[52:53], v[6:7]
	s_wait_loadcnt_dscnt 0x0
	ds_store_2addr_b64 v166, v[0:1], v[2:3] offset1:1
	flat_load_b128 v[0:3], v[6:7]
	s_wait_xcnt 0x0
	v_add_nc_u64_e32 v[6:7], s[52:53], v[6:7]
	s_wait_loadcnt_dscnt 0x0
	ds_store_2addr_b64 v167, v[0:1], v[2:3] offset1:1
	flat_load_b128 v[0:3], v[6:7]
	s_wait_loadcnt_dscnt 0x0
	ds_store_2addr_b64 v168, v[0:1], v[2:3] offset1:1
.LBB192_14:                             ;   in Loop: Header=BB192_4 Depth=1
	s_and_not1_b32 vcc_lo, exec_lo, s19
	s_cbranch_vccnz .LBB192_26
; %bb.15:                               ;   in Loop: Header=BB192_4 Depth=1
	s_wait_xcnt 0x0
	s_and_saveexec_b32 s19, s3
	s_delay_alu instid0(SALU_CYCLE_1)
	s_xor_b32 s19, exec_lo, s19
; %bb.16:                               ;   in Loop: Header=BB192_4 Depth=1
	v_dual_mov_b32 v0, v147 :: v_dual_mov_b32 v1, v147
	v_dual_mov_b32 v2, v147 :: v_dual_mov_b32 v3, v147
	ds_store_b128 v165, v[0:3]
; %bb.17:                               ;   in Loop: Header=BB192_4 Depth=1
	s_or_saveexec_b32 s19, s19
	v_lshl_add_u64 v[0:1], v[154:155], 4, v[4:5]
	s_delay_alu instid0(VALU_DEP_1) | instskip(NEXT) | instid1(VALU_DEP_1)
	v_lshl_add_u64 v[0:1], s[44:45], 4, v[0:1]
	v_add_nc_u64_e32 v[0:1], -16, v[0:1]
	s_delay_alu instid0(VALU_DEP_1)
	v_dual_cndmask_b32 v1, v1, v5, s2 :: v_dual_cndmask_b32 v0, v0, v4, s2
	s_xor_b32 exec_lo, exec_lo, s19
	s_cbranch_execnz .LBB192_87
; %bb.18:                               ;   in Loop: Header=BB192_4 Depth=1
	s_or_b32 exec_lo, exec_lo, s19
	s_and_saveexec_b32 s19, s4
	s_delay_alu instid0(SALU_CYCLE_1)
	s_xor_b32 s19, exec_lo, s19
	s_cbranch_execnz .LBB192_88
.LBB192_19:                             ;   in Loop: Header=BB192_4 Depth=1
	s_and_not1_saveexec_b32 s19, s19
	s_cbranch_execnz .LBB192_89
.LBB192_20:                             ;   in Loop: Header=BB192_4 Depth=1
	s_or_b32 exec_lo, exec_lo, s19
	s_and_saveexec_b32 s19, s5
	s_delay_alu instid0(SALU_CYCLE_1)
	s_xor_b32 s19, exec_lo, s19
	s_cbranch_execnz .LBB192_90
.LBB192_21:                             ;   in Loop: Header=BB192_4 Depth=1
	s_and_not1_saveexec_b32 s19, s19
	s_cbranch_execnz .LBB192_91
.LBB192_22:                             ;   in Loop: Header=BB192_4 Depth=1
	s_or_b32 exec_lo, exec_lo, s19
	s_and_saveexec_b32 s19, s6
	s_delay_alu instid0(SALU_CYCLE_1)
	s_xor_b32 s19, exec_lo, s19
	s_cbranch_execnz .LBB192_92
.LBB192_23:                             ;   in Loop: Header=BB192_4 Depth=1
	s_and_not1_saveexec_b32 s19, s19
	s_cbranch_execz .LBB192_25
.LBB192_24:                             ;   in Loop: Header=BB192_4 Depth=1
	v_add_nc_u64_e32 v[2:3], s[56:57], v[0:1]
	flat_load_b128 v[6:9], v[2:3]
	s_wait_loadcnt_dscnt 0x0
	ds_store_2addr_b64 v168, v[6:7], v[8:9] offset1:1
.LBB192_25:                             ;   in Loop: Header=BB192_4 Depth=1
	s_wait_xcnt 0x0
	s_or_b32 exec_lo, exec_lo, s19
	v_add_nc_u64_e32 v[0:1], v[0:1], v[146:147]
	s_delay_alu instid0(VALU_DEP_1) | instskip(NEXT) | instid1(VALU_DEP_1)
	v_lshl_add_u64 v[0:1], s[66:67], 4, v[0:1]
	v_add_nc_u64_e32 v[0:1], 16, v[0:1]
	s_delay_alu instid0(VALU_DEP_1)
	v_dual_cndmask_b32 v5, v1, v5, s2 :: v_dual_cndmask_b32 v4, v0, v4, s2
.LBB192_26:                             ;   in Loop: Header=BB192_4 Depth=1
	s_wait_dscnt 0x0
	s_barrier_signal -1
	s_barrier_wait -1
	s_wait_xcnt 0x0
	s_and_saveexec_b32 s19, s7
	s_cbranch_execnz .LBB192_81
; %bb.27:                               ;   in Loop: Header=BB192_4 Depth=1
	s_or_b32 exec_lo, exec_lo, s19
	s_and_saveexec_b32 s19, s8
	s_cbranch_execnz .LBB192_82
.LBB192_28:                             ;   in Loop: Header=BB192_4 Depth=1
	s_or_b32 exec_lo, exec_lo, s19
	s_and_saveexec_b32 s19, s9
	s_cbranch_execnz .LBB192_83
.LBB192_29:                             ;   in Loop: Header=BB192_4 Depth=1
	s_or_b32 exec_lo, exec_lo, s19
	s_and_saveexec_b32 s19, s10
	s_cbranch_execz .LBB192_31
.LBB192_30:                             ;   in Loop: Header=BB192_4 Depth=1
	ds_load_b128 v[0:3], v177
	s_wait_dscnt 0x0
	ds_store_b128 v176, v[0:3]
.LBB192_31:                             ;   in Loop: Header=BB192_4 Depth=1
	s_or_b32 exec_lo, exec_lo, s19
	s_wait_dscnt 0x0
	s_barrier_signal -1
	s_barrier_wait -1
	ds_load_b128 v[0:3], v178
	ds_load_b128 v[6:9], v178 offset:16
	ds_load_b128 v[10:13], v178 offset:32
	;; [unrolled: 1-line block ×3, first 2 shown]
	ds_load_b128 v[18:21], v170
	s_wait_dscnt 0x0
	v_mul_f64_e32 v[22:23], v[2:3], v[20:21]
	v_mul_f64_e32 v[20:21], v[0:1], v[20:21]
	s_delay_alu instid0(VALU_DEP_2) | instskip(NEXT) | instid1(VALU_DEP_2)
	v_fma_f64 v[22:23], v[0:1], v[18:19], -v[22:23]
	v_fmac_f64_e32 v[20:21], v[2:3], v[18:19]
	v_mov_b64_e32 v[0:1], 0
	s_delay_alu instid0(VALU_DEP_3) | instskip(NEXT) | instid1(VALU_DEP_3)
	v_add_f64_e32 v[2:3], 0, v[22:23]
	v_add_f64_e32 v[22:23], 0, v[20:21]
	ds_load_b128 v[18:21], v172
	s_wait_dscnt 0x0
	v_mul_f64_e32 v[24:25], v[8:9], v[20:21]
	s_delay_alu instid0(VALU_DEP_1) | instskip(SKIP_1) | instid1(VALU_DEP_2)
	v_fma_f64 v[24:25], v[6:7], v[18:19], -v[24:25]
	v_mul_f64_e32 v[6:7], v[6:7], v[20:21]
	v_add_f64_e32 v[2:3], v[2:3], v[24:25]
	s_delay_alu instid0(VALU_DEP_2) | instskip(NEXT) | instid1(VALU_DEP_1)
	v_fmac_f64_e32 v[6:7], v[8:9], v[18:19]
	v_add_f64_e32 v[18:19], v[22:23], v[6:7]
	ds_load_b128 v[6:9], v174
	s_wait_dscnt 0x0
	v_mul_f64_e32 v[20:21], v[12:13], v[8:9]
	v_mul_f64_e32 v[8:9], v[10:11], v[8:9]
	s_delay_alu instid0(VALU_DEP_2) | instskip(NEXT) | instid1(VALU_DEP_2)
	v_fma_f64 v[20:21], v[10:11], v[6:7], -v[20:21]
	v_fmac_f64_e32 v[8:9], v[12:13], v[6:7]
	s_delay_alu instid0(VALU_DEP_2) | instskip(NEXT) | instid1(VALU_DEP_2)
	v_add_f64_e32 v[2:3], v[2:3], v[20:21]
	v_add_f64_e32 v[10:11], v[18:19], v[8:9]
	ds_load_b128 v[6:9], v177
	s_wait_dscnt 0x0
	s_barrier_signal -1
	s_barrier_wait -1
	v_mul_f64_e32 v[12:13], v[16:17], v[8:9]
	v_mul_f64_e32 v[8:9], v[14:15], v[8:9]
	s_delay_alu instid0(VALU_DEP_2) | instskip(NEXT) | instid1(VALU_DEP_2)
	v_fma_f64 v[12:13], v[14:15], v[6:7], -v[12:13]
	v_fmac_f64_e32 v[8:9], v[16:17], v[6:7]
	s_delay_alu instid0(VALU_DEP_2) | instskip(NEXT) | instid1(VALU_DEP_2)
	v_add_f64_e32 v[6:7], v[2:3], v[12:13]
	v_add_f64_e32 v[8:9], v[10:11], v[8:9]
	v_mov_b64_e32 v[2:3], 0
	ds_store_b128 v179, v[6:9]
	s_wait_dscnt 0x0
	s_barrier_signal -1
	s_barrier_wait -1
	s_and_saveexec_b32 s19, s11
	s_cbranch_execz .LBB192_33
; %bb.32:                               ;   in Loop: Header=BB192_4 Depth=1
	ds_load_b128 v[0:3], v175
	ds_load_b128 v[6:9], v175 offset:16
	s_wait_dscnt 0x0
	v_add_f64_e32 v[10:11], v[6:7], v[0:1]
	v_add_f64_e32 v[12:13], v[8:9], v[2:3]
	ds_load_b128 v[0:3], v175 offset:32
	ds_load_b128 v[6:9], v175 offset:48
	s_wait_dscnt 0x1
	v_add_f64_e32 v[0:1], v[10:11], v[0:1]
	v_add_f64_e32 v[2:3], v[12:13], v[2:3]
	s_wait_dscnt 0x0
	s_delay_alu instid0(VALU_DEP_2) | instskip(NEXT) | instid1(VALU_DEP_2)
	v_add_f64_e32 v[10:11], v[0:1], v[6:7]
	v_add_f64_e32 v[12:13], v[2:3], v[8:9]
	ds_load_b128 v[0:3], v175 offset:64
	ds_load_b128 v[6:9], v175 offset:80
	s_wait_dscnt 0x1
	v_add_f64_e32 v[0:1], v[10:11], v[0:1]
	v_add_f64_e32 v[2:3], v[12:13], v[2:3]
	s_wait_dscnt 0x0
	s_delay_alu instid0(VALU_DEP_2) | instskip(NEXT) | instid1(VALU_DEP_2)
	;; [unrolled: 9-line block ×3, first 2 shown]
	v_add_f64_e32 v[0:1], v[0:1], v[6:7]
	v_add_f64_e32 v[2:3], v[2:3], v[8:9]
.LBB192_33:                             ;   in Loop: Header=BB192_4 Depth=1
	s_or_b32 exec_lo, exec_lo, s19
	v_lshl_add_u64 v[6:7], s[58:59], 4, v[4:5]
	s_and_not1_b32 vcc_lo, exec_lo, s81
	s_mov_b32 s19, -1
	s_barrier_signal -1
	s_delay_alu instid0(VALU_DEP_1)
	v_add_nc_u64_e32 v[4:5], 0x200, v[6:7]
	s_barrier_wait -1
	s_cbranch_vccnz .LBB192_35
; %bb.34:                               ;   in Loop: Header=BB192_4 Depth=1
	flat_load_b128 v[8:11], v[4:5]
	v_add_nc_u64_e32 v[12:13], s[52:53], v[6:7]
	s_mov_b32 s19, 0
	s_wait_loadcnt_dscnt 0x0
	ds_store_2addr_b64 v165, v[8:9], v[10:11] offset1:1
	flat_load_b128 v[8:11], v[12:13] offset:512
	s_wait_xcnt 0x0
	v_add_nc_u64_e32 v[12:13], s[52:53], v[12:13]
	s_wait_loadcnt_dscnt 0x0
	ds_store_2addr_b64 v166, v[8:9], v[10:11] offset1:1
	flat_load_b128 v[8:11], v[12:13] offset:512
	s_wait_xcnt 0x0
	v_add_nc_u64_e32 v[12:13], s[52:53], v[12:13]
	s_wait_loadcnt_dscnt 0x0
	ds_store_2addr_b64 v167, v[8:9], v[10:11] offset1:1
	flat_load_b128 v[8:11], v[12:13] offset:512
	s_wait_loadcnt_dscnt 0x0
	ds_store_2addr_b64 v168, v[8:9], v[10:11] offset1:1
.LBB192_35:                             ;   in Loop: Header=BB192_4 Depth=1
	s_and_not1_b32 vcc_lo, exec_lo, s19
	s_cbranch_vccnz .LBB192_47
; %bb.36:                               ;   in Loop: Header=BB192_4 Depth=1
	s_wait_xcnt 0x0
	s_and_saveexec_b32 s19, s13
	s_delay_alu instid0(SALU_CYCLE_1)
	s_xor_b32 s19, exec_lo, s19
; %bb.37:                               ;   in Loop: Header=BB192_4 Depth=1
	v_dual_mov_b32 v8, v147 :: v_dual_mov_b32 v9, v147
	v_dual_mov_b32 v10, v147 :: v_dual_mov_b32 v11, v147
	ds_store_b128 v165, v[8:11]
; %bb.38:                               ;   in Loop: Header=BB192_4 Depth=1
	s_or_saveexec_b32 s19, s19
	v_lshl_add_u64 v[6:7], v[154:155], 4, v[6:7]
	s_delay_alu instid0(VALU_DEP_1) | instskip(NEXT) | instid1(VALU_DEP_1)
	v_lshl_add_u64 v[6:7], s[44:45], 4, v[6:7]
	v_add_nc_u64_e32 v[6:7], -16, v[6:7]
	s_delay_alu instid0(VALU_DEP_1)
	v_dual_cndmask_b32 v7, v7, v5, s12 :: v_dual_cndmask_b32 v6, v6, v4, s12
	s_xor_b32 exec_lo, exec_lo, s19
	s_cbranch_execnz .LBB192_93
; %bb.39:                               ;   in Loop: Header=BB192_4 Depth=1
	s_or_b32 exec_lo, exec_lo, s19
	s_and_saveexec_b32 s19, s14
	s_delay_alu instid0(SALU_CYCLE_1)
	s_xor_b32 s19, exec_lo, s19
	s_cbranch_execnz .LBB192_94
.LBB192_40:                             ;   in Loop: Header=BB192_4 Depth=1
	s_and_not1_saveexec_b32 s19, s19
	s_cbranch_execnz .LBB192_95
.LBB192_41:                             ;   in Loop: Header=BB192_4 Depth=1
	s_or_b32 exec_lo, exec_lo, s19
	s_and_saveexec_b32 s19, s15
	s_delay_alu instid0(SALU_CYCLE_1)
	s_xor_b32 s19, exec_lo, s19
	s_cbranch_execnz .LBB192_96
.LBB192_42:                             ;   in Loop: Header=BB192_4 Depth=1
	s_and_not1_saveexec_b32 s19, s19
	s_cbranch_execnz .LBB192_97
.LBB192_43:                             ;   in Loop: Header=BB192_4 Depth=1
	s_or_b32 exec_lo, exec_lo, s19
	s_and_saveexec_b32 s19, s16
	s_delay_alu instid0(SALU_CYCLE_1)
	s_xor_b32 s19, exec_lo, s19
	s_cbranch_execnz .LBB192_98
.LBB192_44:                             ;   in Loop: Header=BB192_4 Depth=1
	s_and_not1_saveexec_b32 s19, s19
	s_cbranch_execz .LBB192_46
.LBB192_45:                             ;   in Loop: Header=BB192_4 Depth=1
	v_add_nc_u64_e32 v[8:9], s[56:57], v[6:7]
	flat_load_b128 v[8:11], v[8:9]
	s_wait_loadcnt_dscnt 0x0
	ds_store_2addr_b64 v168, v[8:9], v[10:11] offset1:1
.LBB192_46:                             ;   in Loop: Header=BB192_4 Depth=1
	s_wait_xcnt 0x0
	s_or_b32 exec_lo, exec_lo, s19
	v_add_nc_u64_e32 v[6:7], v[6:7], v[146:147]
	s_delay_alu instid0(VALU_DEP_1) | instskip(NEXT) | instid1(VALU_DEP_1)
	v_lshl_add_u64 v[6:7], s[66:67], 4, v[6:7]
	v_add_nc_u64_e32 v[6:7], 0x210, v[6:7]
	s_delay_alu instid0(VALU_DEP_1)
	v_dual_cndmask_b32 v5, v7, v5, s12 :: v_dual_cndmask_b32 v4, v6, v4, s12
.LBB192_47:                             ;   in Loop: Header=BB192_4 Depth=1
	s_wait_dscnt 0x0
	s_barrier_signal -1
	s_barrier_wait -1
	s_wait_xcnt 0x0
	s_and_saveexec_b32 s19, s7
	s_cbranch_execnz .LBB192_84
; %bb.48:                               ;   in Loop: Header=BB192_4 Depth=1
	s_or_b32 exec_lo, exec_lo, s19
	s_and_saveexec_b32 s19, s8
	s_cbranch_execnz .LBB192_85
.LBB192_49:                             ;   in Loop: Header=BB192_4 Depth=1
	s_or_b32 exec_lo, exec_lo, s19
	s_and_saveexec_b32 s19, s9
	s_cbranch_execnz .LBB192_86
.LBB192_50:                             ;   in Loop: Header=BB192_4 Depth=1
	s_or_b32 exec_lo, exec_lo, s19
	s_and_saveexec_b32 s19, s10
	s_cbranch_execz .LBB192_52
.LBB192_51:                             ;   in Loop: Header=BB192_4 Depth=1
	ds_load_b128 v[6:9], v177
	s_wait_dscnt 0x0
	ds_store_b128 v183, v[6:9]
.LBB192_52:                             ;   in Loop: Header=BB192_4 Depth=1
	s_or_b32 exec_lo, exec_lo, s19
	s_wait_dscnt 0x0
	s_barrier_signal -1
	s_barrier_wait -1
	ds_load_b128 v[6:9], v178 offset:512
	ds_load_b128 v[10:13], v178 offset:528
	;; [unrolled: 1-line block ×4, first 2 shown]
	ds_load_b128 v[22:25], v170
	s_wait_dscnt 0x0
	v_mul_f64_e32 v[26:27], v[8:9], v[24:25]
	s_delay_alu instid0(VALU_DEP_1) | instskip(SKIP_1) | instid1(VALU_DEP_1)
	v_fma_f64 v[26:27], v[6:7], v[22:23], -v[26:27]
	v_mul_f64_e32 v[6:7], v[6:7], v[24:25]
	v_fmac_f64_e32 v[6:7], v[8:9], v[22:23]
	s_delay_alu instid0(VALU_DEP_3) | instskip(NEXT) | instid1(VALU_DEP_2)
	v_add_f64_e32 v[22:23], 0, v[26:27]
	v_add_f64_e32 v[24:25], 0, v[6:7]
	ds_load_b128 v[6:9], v172
	s_wait_dscnt 0x0
	v_mul_f64_e32 v[26:27], v[12:13], v[8:9]
	v_mul_f64_e32 v[8:9], v[10:11], v[8:9]
	s_delay_alu instid0(VALU_DEP_2) | instskip(NEXT) | instid1(VALU_DEP_2)
	v_fma_f64 v[26:27], v[10:11], v[6:7], -v[26:27]
	v_fmac_f64_e32 v[8:9], v[12:13], v[6:7]
	s_delay_alu instid0(VALU_DEP_2) | instskip(NEXT) | instid1(VALU_DEP_2)
	v_add_f64_e32 v[10:11], v[22:23], v[26:27]
	v_add_f64_e32 v[12:13], v[24:25], v[8:9]
	ds_load_b128 v[6:9], v174
	s_wait_dscnt 0x0
	v_mul_f64_e32 v[22:23], v[16:17], v[8:9]
	v_mul_f64_e32 v[8:9], v[14:15], v[8:9]
	s_delay_alu instid0(VALU_DEP_2) | instskip(NEXT) | instid1(VALU_DEP_2)
	v_fma_f64 v[22:23], v[14:15], v[6:7], -v[22:23]
	v_fmac_f64_e32 v[8:9], v[16:17], v[6:7]
	s_delay_alu instid0(VALU_DEP_2) | instskip(NEXT) | instid1(VALU_DEP_2)
	v_add_f64_e32 v[10:11], v[10:11], v[22:23]
	v_add_f64_e32 v[12:13], v[12:13], v[8:9]
	ds_load_b128 v[6:9], v177
	s_wait_dscnt 0x0
	s_barrier_signal -1
	s_barrier_wait -1
	v_mul_f64_e32 v[14:15], v[20:21], v[8:9]
	v_mul_f64_e32 v[8:9], v[18:19], v[8:9]
	s_delay_alu instid0(VALU_DEP_2) | instskip(NEXT) | instid1(VALU_DEP_2)
	v_fma_f64 v[14:15], v[18:19], v[6:7], -v[14:15]
	v_fmac_f64_e32 v[8:9], v[20:21], v[6:7]
	s_delay_alu instid0(VALU_DEP_2) | instskip(NEXT) | instid1(VALU_DEP_2)
	v_add_f64_e32 v[6:7], v[10:11], v[14:15]
	v_add_f64_e32 v[8:9], v[12:13], v[8:9]
	ds_store_b128 v179, v[6:9]
	s_wait_dscnt 0x0
	s_barrier_signal -1
	s_barrier_wait -1
	s_and_saveexec_b32 s19, s17
	s_cbranch_execz .LBB192_54
; %bb.53:                               ;   in Loop: Header=BB192_4 Depth=1
	ds_load_b128 v[0:3], v175
	ds_load_b128 v[6:9], v175 offset:16
	s_wait_dscnt 0x0
	v_add_f64_e32 v[10:11], v[6:7], v[0:1]
	v_add_f64_e32 v[12:13], v[8:9], v[2:3]
	ds_load_b128 v[0:3], v175 offset:32
	ds_load_b128 v[6:9], v175 offset:48
	s_wait_dscnt 0x1
	v_add_f64_e32 v[0:1], v[10:11], v[0:1]
	v_add_f64_e32 v[2:3], v[12:13], v[2:3]
	s_wait_dscnt 0x0
	s_delay_alu instid0(VALU_DEP_2) | instskip(NEXT) | instid1(VALU_DEP_2)
	v_add_f64_e32 v[10:11], v[0:1], v[6:7]
	v_add_f64_e32 v[12:13], v[2:3], v[8:9]
	ds_load_b128 v[0:3], v175 offset:64
	ds_load_b128 v[6:9], v175 offset:80
	s_wait_dscnt 0x1
	v_add_f64_e32 v[0:1], v[10:11], v[0:1]
	v_add_f64_e32 v[2:3], v[12:13], v[2:3]
	s_wait_dscnt 0x0
	s_delay_alu instid0(VALU_DEP_2) | instskip(NEXT) | instid1(VALU_DEP_2)
	;; [unrolled: 9-line block ×3, first 2 shown]
	v_add_f64_e32 v[0:1], v[0:1], v[6:7]
	v_add_f64_e32 v[2:3], v[2:3], v[8:9]
.LBB192_54:                             ;   in Loop: Header=BB192_4 Depth=1
	s_or_b32 exec_lo, exec_lo, s19
	v_lshl_add_u64 v[38:39], s[60:61], 4, v[4:5]
	s_and_not1_b32 vcc_lo, exec_lo, s81
	s_mov_b32 s19, -1
	s_barrier_signal -1
	s_barrier_wait -1
	s_cbranch_vccnz .LBB192_56
; %bb.55:                               ;   in Loop: Header=BB192_4 Depth=1
	flat_load_b128 v[4:7], v[38:39]
	v_add_nc_u64_e32 v[8:9], s[52:53], v[38:39]
	s_mov_b32 s19, 0
	s_wait_loadcnt_dscnt 0x0
	ds_store_2addr_b64 v165, v[4:5], v[6:7] offset1:1
	flat_load_b128 v[4:7], v[8:9]
	s_wait_xcnt 0x0
	v_add_nc_u64_e32 v[8:9], s[52:53], v[8:9]
	s_wait_loadcnt_dscnt 0x0
	ds_store_2addr_b64 v166, v[4:5], v[6:7] offset1:1
	flat_load_b128 v[4:7], v[8:9]
	s_wait_xcnt 0x0
	v_add_nc_u64_e32 v[8:9], s[52:53], v[8:9]
	s_wait_loadcnt_dscnt 0x0
	ds_store_2addr_b64 v167, v[4:5], v[6:7] offset1:1
	flat_load_b128 v[4:7], v[8:9]
	s_wait_loadcnt_dscnt 0x0
	ds_store_2addr_b64 v168, v[4:5], v[6:7] offset1:1
.LBB192_56:                             ;   in Loop: Header=BB192_4 Depth=1
	s_and_not1_b32 vcc_lo, exec_lo, s19
	s_cbranch_vccnz .LBB192_68
; %bb.57:                               ;   in Loop: Header=BB192_4 Depth=1
	s_wait_xcnt 0x0
	s_and_saveexec_b32 s19, s3
	s_delay_alu instid0(SALU_CYCLE_1)
	s_xor_b32 s19, exec_lo, s19
; %bb.58:                               ;   in Loop: Header=BB192_4 Depth=1
	v_dual_mov_b32 v4, v147 :: v_dual_mov_b32 v5, v147
	v_dual_mov_b32 v6, v147 :: v_dual_mov_b32 v7, v147
	ds_store_b128 v165, v[4:7]
; %bb.59:                               ;   in Loop: Header=BB192_4 Depth=1
	s_or_saveexec_b32 s19, s19
	v_lshl_add_u64 v[4:5], v[154:155], 4, v[38:39]
	s_delay_alu instid0(VALU_DEP_1) | instskip(NEXT) | instid1(VALU_DEP_1)
	v_lshl_add_u64 v[4:5], s[44:45], 4, v[4:5]
	v_add_nc_u64_e32 v[4:5], s[72:73], v[4:5]
	s_delay_alu instid0(VALU_DEP_1)
	v_dual_cndmask_b32 v5, v5, v39, s12 :: v_dual_cndmask_b32 v4, v4, v38, s12
	s_xor_b32 exec_lo, exec_lo, s19
	s_cbranch_execnz .LBB192_99
; %bb.60:                               ;   in Loop: Header=BB192_4 Depth=1
	s_or_b32 exec_lo, exec_lo, s19
	s_and_saveexec_b32 s19, s4
	s_delay_alu instid0(SALU_CYCLE_1)
	s_xor_b32 s19, exec_lo, s19
	s_cbranch_execnz .LBB192_100
.LBB192_61:                             ;   in Loop: Header=BB192_4 Depth=1
	s_and_not1_saveexec_b32 s19, s19
	s_cbranch_execnz .LBB192_101
.LBB192_62:                             ;   in Loop: Header=BB192_4 Depth=1
	s_or_b32 exec_lo, exec_lo, s19
	s_and_saveexec_b32 s19, s5
	s_delay_alu instid0(SALU_CYCLE_1)
	s_xor_b32 s19, exec_lo, s19
	s_cbranch_execnz .LBB192_102
.LBB192_63:                             ;   in Loop: Header=BB192_4 Depth=1
	s_and_not1_saveexec_b32 s19, s19
	s_cbranch_execnz .LBB192_103
.LBB192_64:                             ;   in Loop: Header=BB192_4 Depth=1
	s_or_b32 exec_lo, exec_lo, s19
	s_and_saveexec_b32 s19, s6
	s_delay_alu instid0(SALU_CYCLE_1)
	s_xor_b32 s19, exec_lo, s19
	s_cbranch_execnz .LBB192_104
.LBB192_65:                             ;   in Loop: Header=BB192_4 Depth=1
	s_and_not1_saveexec_b32 s19, s19
	s_cbranch_execz .LBB192_67
.LBB192_66:                             ;   in Loop: Header=BB192_4 Depth=1
	v_add_nc_u64_e32 v[6:7], s[56:57], v[4:5]
	flat_load_b128 v[6:9], v[6:7]
	s_wait_loadcnt_dscnt 0x0
	ds_store_2addr_b64 v168, v[6:7], v[8:9] offset1:1
.LBB192_67:                             ;   in Loop: Header=BB192_4 Depth=1
	s_wait_xcnt 0x0
	s_or_b32 exec_lo, exec_lo, s19
	v_add_nc_u64_e32 v[4:5], v[4:5], v[146:147]
	s_delay_alu instid0(VALU_DEP_1) | instskip(NEXT) | instid1(VALU_DEP_1)
	v_lshl_add_u64 v[4:5], s[66:67], 4, v[4:5]
	v_add_nc_u64_e32 v[4:5], 0x210, v[4:5]
	s_delay_alu instid0(VALU_DEP_1)
	v_dual_cndmask_b32 v39, v5, v39, s12 :: v_dual_cndmask_b32 v38, v4, v38, s12
.LBB192_68:                             ;   in Loop: Header=BB192_4 Depth=1
	s_wait_dscnt 0x0
	s_barrier_signal -1
	s_barrier_wait -1
	ds_load_b128 v[4:7], v193
	s_wait_xcnt 0x0
	ds_load_b128 v[8:11], v165
	ds_load_b128 v[12:15], v166
	ds_load_b128 v[16:19], v192 offset:384
	ds_load_b128 v[20:23], v192 offset:128
	;; [unrolled: 1-line block ×3, first 2 shown]
	s_wait_dscnt 0x4
	v_mul_f64_e32 v[28:29], v[6:7], v[10:11]
	v_mul_f64_e32 v[30:31], v[4:5], v[10:11]
	s_wait_dscnt 0x1
	v_mul_f64_e32 v[32:33], v[22:23], v[14:15]
	v_mul_f64_e32 v[14:15], v[20:21], v[14:15]
	s_delay_alu instid0(VALU_DEP_4) | instskip(NEXT) | instid1(VALU_DEP_4)
	v_fma_f64 v[28:29], v[4:5], v[8:9], -v[28:29]
	v_fmac_f64_e32 v[30:31], v[6:7], v[8:9]
	ds_load_b128 v[4:7], v167
	ds_load_b128 v[8:11], v168
	v_fma_f64 v[20:21], v[20:21], v[12:13], -v[32:33]
	v_fmac_f64_e32 v[14:15], v[22:23], v[12:13]
	s_wait_dscnt 0x1
	v_mul_f64_e32 v[34:35], v[26:27], v[6:7]
	v_mul_f64_e32 v[6:7], v[24:25], v[6:7]
	v_add_f64_e32 v[12:13], 0, v[28:29]
	v_add_f64_e32 v[22:23], 0, v[30:31]
	s_wait_dscnt 0x0
	v_mul_f64_e32 v[28:29], v[18:19], v[10:11]
	v_mul_f64_e32 v[10:11], v[16:17], v[10:11]
	v_fma_f64 v[24:25], v[24:25], v[4:5], -v[34:35]
	v_fmac_f64_e32 v[6:7], v[26:27], v[4:5]
	v_add_f64_e32 v[4:5], v[12:13], v[20:21]
	v_add_f64_e32 v[12:13], v[22:23], v[14:15]
	v_fma_f64 v[14:15], v[16:17], v[8:9], -v[28:29]
	v_fmac_f64_e32 v[10:11], v[18:19], v[8:9]
	s_delay_alu instid0(VALU_DEP_4) | instskip(NEXT) | instid1(VALU_DEP_4)
	v_add_f64_e32 v[4:5], v[4:5], v[24:25]
	v_add_f64_e32 v[6:7], v[12:13], v[6:7]
	s_delay_alu instid0(VALU_DEP_2) | instskip(NEXT) | instid1(VALU_DEP_2)
	v_add_f64_e32 v[40:41], v[4:5], v[14:15]
	v_add_f64_e32 v[42:43], v[6:7], v[10:11]
	ds_load_b128 v[28:31], v184
	ds_load_b128 v[20:23], v184 offset:16
	ds_load_b128 v[8:11], v184 offset:32
	;; [unrolled: 1-line block ×7, first 2 shown]
	s_wait_dscnt 0x0
	s_barrier_signal -1
	s_barrier_wait -1
	ds_store_b128 v179, v[40:43]
	s_wait_dscnt 0x0
	s_barrier_signal -1
	s_barrier_wait -1
	s_and_saveexec_b32 s19, s17
	s_cbranch_execz .LBB192_70
; %bb.69:                               ;   in Loop: Header=BB192_4 Depth=1
	ds_load_b128 v[40:43], v175
	ds_load_b128 v[44:47], v175 offset:16
	s_wait_dscnt 0x1
	v_add_f64_e32 v[0:1], v[0:1], v[40:41]
	v_add_f64_e32 v[2:3], v[2:3], v[42:43]
	s_wait_dscnt 0x0
	s_delay_alu instid0(VALU_DEP_2) | instskip(NEXT) | instid1(VALU_DEP_2)
	v_add_f64_e32 v[44:45], v[0:1], v[44:45]
	v_add_f64_e32 v[46:47], v[2:3], v[46:47]
	ds_load_b128 v[0:3], v175 offset:32
	ds_load_b128 v[40:43], v175 offset:48
	s_wait_dscnt 0x1
	v_add_f64_e32 v[0:1], v[44:45], v[0:1]
	v_add_f64_e32 v[2:3], v[46:47], v[2:3]
	s_wait_dscnt 0x0
	s_delay_alu instid0(VALU_DEP_2) | instskip(NEXT) | instid1(VALU_DEP_2)
	v_add_f64_e32 v[44:45], v[0:1], v[40:41]
	v_add_f64_e32 v[46:47], v[2:3], v[42:43]
	ds_load_b128 v[0:3], v175 offset:64
	;; [unrolled: 9-line block ×3, first 2 shown]
	ds_load_b128 v[40:43], v175 offset:112
	s_wait_dscnt 0x1
	v_add_f64_e32 v[0:1], v[44:45], v[0:1]
	v_add_f64_e32 v[2:3], v[46:47], v[2:3]
	s_wait_dscnt 0x0
	s_delay_alu instid0(VALU_DEP_2) | instskip(NEXT) | instid1(VALU_DEP_2)
	v_add_f64_e32 v[0:1], v[0:1], v[40:41]
	v_add_f64_e32 v[2:3], v[2:3], v[42:43]
.LBB192_70:                             ;   in Loop: Header=BB192_4 Depth=1
	s_or_b32 exec_lo, exec_lo, s19
	v_mul_f64_e32 v[40:41], v[30:31], v[34:35]
	v_mul_f64_e32 v[34:35], v[28:29], v[34:35]
	;; [unrolled: 1-line block ×4, first 2 shown]
	s_barrier_signal -1
	s_barrier_wait -1
	s_delay_alu instid0(VALU_DEP_4) | instskip(NEXT) | instid1(VALU_DEP_4)
	v_fma_f64 v[28:29], v[28:29], v[32:33], -v[40:41]
	v_fmac_f64_e32 v[34:35], v[30:31], v[32:33]
	v_mul_f64_e32 v[30:31], v[10:11], v[18:19]
	v_mul_f64_e32 v[18:19], v[8:9], v[18:19]
	v_fma_f64 v[20:21], v[20:21], v[24:25], -v[42:43]
	v_fmac_f64_e32 v[26:27], v[22:23], v[24:25]
	v_add_f64_e32 v[22:23], 0, v[28:29]
	v_add_f64_e32 v[24:25], 0, v[34:35]
	v_mul_f64_e32 v[28:29], v[6:7], v[14:15]
	v_mul_f64_e32 v[14:15], v[4:5], v[14:15]
	v_fma_f64 v[8:9], v[8:9], v[16:17], -v[30:31]
	v_fmac_f64_e32 v[18:19], v[10:11], v[16:17]
	v_add_f64_e32 v[10:11], v[22:23], v[20:21]
	v_add_f64_e32 v[16:17], v[24:25], v[26:27]
	v_fma_f64 v[4:5], v[4:5], v[12:13], -v[28:29]
	v_fmac_f64_e32 v[14:15], v[6:7], v[12:13]
	s_delay_alu instid0(VALU_DEP_4) | instskip(NEXT) | instid1(VALU_DEP_4)
	v_add_f64_e32 v[6:7], v[10:11], v[8:9]
	v_add_f64_e32 v[8:9], v[16:17], v[18:19]
	s_delay_alu instid0(VALU_DEP_2) | instskip(NEXT) | instid1(VALU_DEP_2)
	v_add_f64_e32 v[4:5], v[6:7], v[4:5]
	v_add_f64_e32 v[6:7], v[8:9], v[14:15]
	ds_store_b128 v179, v[4:7]
	s_wait_dscnt 0x0
	s_barrier_signal -1
	s_barrier_wait -1
	s_and_saveexec_b32 s19, s11
	s_cbranch_execz .LBB192_72
; %bb.71:                               ;   in Loop: Header=BB192_4 Depth=1
	ds_load_b128 v[4:7], v175
	ds_load_b128 v[8:11], v175 offset:16
	s_wait_dscnt 0x1
	v_add_f64_e32 v[0:1], v[0:1], v[4:5]
	v_add_f64_e32 v[2:3], v[2:3], v[6:7]
	s_wait_dscnt 0x0
	s_delay_alu instid0(VALU_DEP_2) | instskip(NEXT) | instid1(VALU_DEP_2)
	v_add_f64_e32 v[8:9], v[0:1], v[8:9]
	v_add_f64_e32 v[10:11], v[2:3], v[10:11]
	ds_load_b128 v[0:3], v175 offset:32
	ds_load_b128 v[4:7], v175 offset:48
	s_wait_dscnt 0x1
	v_add_f64_e32 v[0:1], v[8:9], v[0:1]
	v_add_f64_e32 v[2:3], v[10:11], v[2:3]
	s_wait_dscnt 0x0
	s_delay_alu instid0(VALU_DEP_2) | instskip(NEXT) | instid1(VALU_DEP_2)
	v_add_f64_e32 v[8:9], v[0:1], v[4:5]
	v_add_f64_e32 v[10:11], v[2:3], v[6:7]
	ds_load_b128 v[0:3], v175 offset:64
	;; [unrolled: 9-line block ×3, first 2 shown]
	ds_load_b128 v[4:7], v175 offset:112
	s_wait_dscnt 0x1
	v_add_f64_e32 v[0:1], v[8:9], v[0:1]
	v_add_f64_e32 v[2:3], v[10:11], v[2:3]
	s_wait_dscnt 0x0
	s_delay_alu instid0(VALU_DEP_2) | instskip(NEXT) | instid1(VALU_DEP_2)
	v_add_f64_e32 v[0:1], v[0:1], v[4:5]
	v_add_f64_e32 v[2:3], v[2:3], v[6:7]
.LBB192_72:                             ;   in Loop: Header=BB192_4 Depth=1
	s_or_b32 exec_lo, exec_lo, s19
	s_mul_u64 s[78:79], s[46:47], s[34:35]
	s_and_not1_b32 vcc_lo, exec_lo, s82
	s_lshl_b64 s[78:79], s[78:79], 4
	s_delay_alu instid0(SALU_CYCLE_1)
	s_add_nc_u64 s[78:79], s[48:49], s[78:79]
	s_barrier_signal -1
	s_barrier_wait -1
	s_cbranch_vccnz .LBB192_79
; %bb.73:                               ;   in Loop: Header=BB192_4 Depth=1
	v_lshl_add_u64 v[4:5], s[64:65], 4, v[38:39]
	v_dual_mov_b32 v7, v147 :: v_dual_lshlrev_b32 v6, 4, v144
	v_lshl_add_u64 v[160:161], s[62:63], 4, v[36:37]
	s_mov_b32 s40, 0
	s_delay_alu instid0(VALU_DEP_3) | instskip(SKIP_1) | instid1(VALU_DEP_1)
	v_lshl_add_u64 v[4:5], v[158:159], 4, v[4:5]
	s_mov_b32 s19, s80
	v_lshl_add_u64 v[4:5], v[156:157], 4, v[4:5]
	s_delay_alu instid0(VALU_DEP_1) | instskip(SKIP_1) | instid1(VALU_DEP_1)
	v_add_nc_u64_e32 v[6:7], v[4:5], v[6:7]
	v_lshl_add_u64 v[4:5], s[44:45], 4, v[4:5]
	v_add_nc_u64_e32 v[4:5], s[72:73], v[4:5]
	s_delay_alu instid0(VALU_DEP_3) | instskip(NEXT) | instid1(VALU_DEP_1)
	v_add_nc_u64_e32 v[6:7], s[74:75], v[6:7]
	v_dual_cndmask_b32 v5, v7, v5, s1 :: v_dual_cndmask_b32 v4, v6, v4, s1
	s_branch .LBB192_75
.LBB192_74:                             ;   in Loop: Header=BB192_75 Depth=2
	s_wait_xcnt 0x0
	s_or_b32 exec_lo, exec_lo, s35
	v_mul_f64_e32 v[84:85], v[18:19], v[42:43]
	v_mul_f64_e32 v[42:43], v[16:17], v[42:43]
	;; [unrolled: 1-line block ×4, first 2 shown]
	s_add_co_i32 s19, s19, -1
	s_add_co_i32 s40, s40, 64
	s_cmp_eq_u32 s19, 0
	s_wait_storecnt 0x0
	s_barrier_signal -1
	s_barrier_wait -1
	s_delay_alu instid0(VALU_DEP_4) | instskip(NEXT) | instid1(VALU_DEP_4)
	v_fma_f64 v[16:17], v[16:17], v[40:41], -v[84:85]
	v_fmac_f64_e32 v[42:43], v[18:19], v[40:41]
	v_mul_f64_e32 v[18:19], v[10:11], v[46:47]
	v_mul_f64_e32 v[40:41], v[8:9], v[46:47]
	v_fma_f64 v[12:13], v[12:13], v[48:49], -v[86:87]
	v_fmac_f64_e32 v[50:51], v[14:15], v[48:49]
	v_mul_f64_e32 v[14:15], v[6:7], v[38:39]
	v_add_f64_e32 v[0:1], v[0:1], v[16:17]
	v_add_f64_e32 v[2:3], v[2:3], v[42:43]
	v_mul_f64_e32 v[16:17], v[4:5], v[38:39]
	v_fma_f64 v[8:9], v[8:9], v[44:45], -v[18:19]
	v_fmac_f64_e32 v[40:41], v[10:11], v[44:45]
	v_mul_f64_e32 v[10:11], v[34:35], v[74:75]
	v_fma_f64 v[4:5], v[4:5], v[36:37], -v[14:15]
	v_mul_f64_e32 v[14:15], v[24:25], v[78:79]
	v_add_f64_e32 v[0:1], v[0:1], v[12:13]
	v_add_f64_e32 v[2:3], v[2:3], v[50:51]
	v_mul_f64_e32 v[12:13], v[32:33], v[74:75]
	v_fmac_f64_e32 v[16:17], v[6:7], v[36:37]
	v_mul_f64_e32 v[6:7], v[30:31], v[82:83]
	v_fma_f64 v[10:11], v[32:33], v[72:73], -v[10:11]
	v_fmac_f64_e32 v[14:15], v[26:27], v[76:77]
	v_add_f64_e32 v[0:1], v[0:1], v[8:9]
	v_add_f64_e32 v[2:3], v[2:3], v[40:41]
	v_mul_f64_e32 v[8:9], v[28:29], v[82:83]
	v_fmac_f64_e32 v[12:13], v[34:35], v[72:73]
	v_fma_f64 v[6:7], v[28:29], v[80:81], -v[6:7]
	v_add_f64_e32 v[0:1], v[0:1], v[4:5]
	v_add_f64_e32 v[2:3], v[2:3], v[16:17]
	v_mul_f64_e32 v[4:5], v[26:27], v[78:79]
	v_fmac_f64_e32 v[8:9], v[30:31], v[80:81]
	s_delay_alu instid0(VALU_DEP_4) | instskip(NEXT) | instid1(VALU_DEP_4)
	v_add_f64_e32 v[0:1], v[0:1], v[10:11]
	v_add_f64_e32 v[2:3], v[2:3], v[12:13]
	v_mul_f64_e32 v[10:11], v[22:23], v[70:71]
	v_mul_f64_e32 v[12:13], v[20:21], v[70:71]
	v_fma_f64 v[4:5], v[24:25], v[76:77], -v[4:5]
	v_add_f64_e32 v[0:1], v[0:1], v[6:7]
	v_add_f64_e32 v[2:3], v[2:3], v[8:9]
	v_mul_f64_e32 v[6:7], v[66:67], v[118:119]
	v_mul_f64_e32 v[8:9], v[64:65], v[118:119]
	v_fma_f64 v[10:11], v[20:21], v[68:69], -v[10:11]
	v_fmac_f64_e32 v[12:13], v[22:23], v[68:69]
	v_add_f64_e32 v[0:1], v[0:1], v[4:5]
	v_add_f64_e32 v[2:3], v[2:3], v[14:15]
	v_mul_f64_e32 v[4:5], v[62:63], v[126:127]
	v_mul_f64_e32 v[14:15], v[60:61], v[126:127]
	v_fma_f64 v[6:7], v[64:65], v[116:117], -v[6:7]
	v_fmac_f64_e32 v[8:9], v[66:67], v[116:117]
	;; [unrolled: 6-line block ×8, first 2 shown]
	v_add_f64_e32 v[0:1], v[0:1], v[10:11]
	v_add_f64_e32 v[2:3], v[2:3], v[12:13]
	v_fma_f64 v[4:5], v[92:93], v[132:133], -v[4:5]
	v_fmac_f64_e32 v[14:15], v[94:95], v[132:133]
	s_delay_alu instid0(VALU_DEP_4) | instskip(NEXT) | instid1(VALU_DEP_4)
	v_add_f64_e32 v[0:1], v[0:1], v[6:7]
	v_add_f64_e32 v[2:3], v[2:3], v[8:9]
	s_delay_alu instid0(VALU_DEP_2) | instskip(NEXT) | instid1(VALU_DEP_2)
	v_add_f64_e32 v[0:1], v[0:1], v[4:5]
	v_add_f64_e32 v[2:3], v[2:3], v[14:15]
	v_add_nc_u64_e32 v[4:5], s[70:71], v[162:163]
	s_cbranch_scc1 .LBB192_79
.LBB192_75:                             ;   Parent Loop BB192_4 Depth=1
                                        ; =>  This Inner Loop Header: Depth=2
	s_and_saveexec_b32 s35, s0
	s_cbranch_execz .LBB192_77
; %bb.76:                               ;   in Loop: Header=BB192_75 Depth=2
	s_mul_u64 s[84:85], s[42:43], s[40:41]
	s_delay_alu instid0(SALU_CYCLE_1)
	v_lshl_add_u64 v[6:7], s[84:85], 4, v[160:161]
	flat_load_b128 v[6:9], v[6:7]
	s_wait_loadcnt_dscnt 0x0
	ds_store_2addr_b64 v185, v[6:7], v[8:9] offset1:1
.LBB192_77:                             ;   in Loop: Header=BB192_75 Depth=2
	s_wait_xcnt 0x0
	s_or_b32 exec_lo, exec_lo, s35
	s_delay_alu instid0(VALU_DEP_1) | instskip(SKIP_3) | instid1(VALU_DEP_1)
	v_add_nc_u64_e32 v[6:7], s[68:69], v[4:5]
	s_wait_dscnt 0x0
	s_barrier_signal -1
	s_barrier_wait -1
	v_add_nc_u64_e32 v[8:9], s[68:69], v[6:7]
	s_delay_alu instid0(VALU_DEP_1)
	v_add_nc_u64_e32 v[34:35], s[68:69], v[8:9]
	s_clause 0x3
	flat_load_b128 v[16:19], v[4:5]
	flat_load_b128 v[12:15], v[6:7]
	;; [unrolled: 1-line block ×4, first 2 shown]
	ds_load_b128 v[20:23], v164
	ds_load_b128 v[40:43], v186
	s_wait_loadcnt_dscnt 0x301
	v_mul_f64_e32 v[26:27], v[18:19], v[22:23]
	v_mul_f64_e32 v[24:25], v[16:17], v[22:23]
	s_wait_loadcnt 0x2
	v_mul_f64_e32 v[30:31], v[14:15], v[22:23]
	v_mul_f64_e32 v[28:29], v[12:13], v[22:23]
	s_wait_loadcnt 0x1
	;; [unrolled: 3-line block ×3, first 2 shown]
	v_mul_f64_e32 v[38:39], v[6:7], v[22:23]
	v_mul_f64_e32 v[54:55], v[4:5], v[22:23]
	v_fma_f64 v[22:23], v[16:17], v[20:21], -v[26:27]
	v_fmac_f64_e32 v[24:25], v[18:19], v[20:21]
	v_fma_f64 v[26:27], v[12:13], v[20:21], -v[30:31]
	v_fmac_f64_e32 v[28:29], v[14:15], v[20:21]
	;; [unrolled: 2-line block ×4, first 2 shown]
	v_add_nc_u64_e32 v[20:21], s[70:71], v[34:35]
	ds_load_b128 v[48:51], v186 offset:16
	ds_load_b128 v[44:47], v186 offset:32
	;; [unrolled: 1-line block ×3, first 2 shown]
	ds_store_b128 v187, v[22:25]
	ds_store_b128 v187, v[26:29] offset:1072
	ds_store_b128 v187, v[30:33] offset:2144
	;; [unrolled: 1-line block ×3, first 2 shown]
	v_add_nc_u64_e32 v[56:57], s[68:69], v[20:21]
	s_wait_dscnt 0x0
	s_barrier_signal -1
	s_barrier_wait -1
	ds_load_b128 v[196:199], v188
	ds_load_b128 v[108:111], v188 offset:16
	ds_load_b128 v[100:103], v188 offset:32
	;; [unrolled: 1-line block ×3, first 2 shown]
	s_wait_dscnt 0x0
	v_add_nc_u64_e32 v[58:59], s[68:69], v[56:57]
	s_barrier_signal -1
	s_barrier_wait -1
	s_delay_alu instid0(VALU_DEP_1)
	v_add_nc_u64_e32 v[66:67], s[68:69], v[58:59]
	s_clause 0x3
	flat_load_b128 v[32:35], v[20:21]
	flat_load_b128 v[28:31], v[56:57]
	;; [unrolled: 1-line block ×4, first 2 shown]
	ds_load_b128 v[52:55], v164
	ds_load_b128 v[72:75], v186 offset:256
	s_wait_loadcnt_dscnt 0x301
	s_wait_xcnt 0x1
	v_mul_f64_e32 v[58:59], v[34:35], v[54:55]
	v_mul_f64_e32 v[56:57], v[32:33], v[54:55]
	s_wait_loadcnt 0x2
	v_mul_f64_e32 v[62:63], v[30:31], v[54:55]
	v_mul_f64_e32 v[60:61], v[28:29], v[54:55]
	s_wait_loadcnt 0x1
	;; [unrolled: 3-line block ×3, first 2 shown]
	v_mul_f64_e32 v[70:71], v[22:23], v[54:55]
	v_mul_f64_e32 v[90:91], v[20:21], v[54:55]
	v_fma_f64 v[54:55], v[32:33], v[52:53], -v[58:59]
	v_fmac_f64_e32 v[56:57], v[34:35], v[52:53]
	v_fma_f64 v[58:59], v[28:29], v[52:53], -v[62:63]
	v_fmac_f64_e32 v[60:61], v[30:31], v[52:53]
	;; [unrolled: 2-line block ×4, first 2 shown]
	v_add_nc_u64_e32 v[52:53], s[70:71], v[66:67]
	ds_load_b128 v[80:83], v186 offset:272
	ds_load_b128 v[76:79], v186 offset:288
	;; [unrolled: 1-line block ×3, first 2 shown]
	ds_store_b128 v187, v[54:57]
	ds_store_b128 v187, v[58:61] offset:1072
	ds_store_b128 v187, v[62:65] offset:2144
	;; [unrolled: 1-line block ×3, first 2 shown]
	v_add_nc_u64_e32 v[92:93], s[68:69], v[52:53]
	s_wait_dscnt 0x0
	s_barrier_signal -1
	s_barrier_wait -1
	ds_load_b128 v[200:203], v188
	ds_load_b128 v[204:207], v188 offset:16
	ds_load_b128 v[208:211], v188 offset:32
	;; [unrolled: 1-line block ×3, first 2 shown]
	s_wait_dscnt 0x0
	v_add_nc_u64_e32 v[94:95], s[68:69], v[92:93]
	s_barrier_signal -1
	s_barrier_wait -1
	s_delay_alu instid0(VALU_DEP_1)
	v_add_nc_u64_e32 v[98:99], s[68:69], v[94:95]
	s_clause 0x2
	flat_load_b128 v[64:67], v[52:53]
	flat_load_b128 v[60:63], v[92:93]
	flat_load_b128 v[52:55], v[94:95]
	flat_load_b128 v[56:59], v[98:99]
	ds_load_b128 v[88:91], v164
	ds_load_b128 v[116:119], v186 offset:512
	v_add_f64_e32 v[200:201], 0, v[200:201]
	v_add_f64_e32 v[202:203], 0, v[202:203]
	s_delay_alu instid0(VALU_DEP_2) | instskip(NEXT) | instid1(VALU_DEP_2)
	v_add_f64_e32 v[200:201], v[200:201], v[204:205]
	v_add_f64_e32 v[202:203], v[202:203], v[206:207]
	s_delay_alu instid0(VALU_DEP_2) | instskip(NEXT) | instid1(VALU_DEP_2)
	v_add_f64_e32 v[200:201], v[200:201], v[208:209]
	v_add_f64_e32 v[202:203], v[202:203], v[210:211]
	s_wait_loadcnt_dscnt 0x301
	s_wait_xcnt 0x1
	v_mul_f64_e32 v[94:95], v[66:67], v[90:91]
	v_mul_f64_e32 v[92:93], v[64:65], v[90:91]
	s_wait_loadcnt 0x2
	v_mul_f64_e32 v[104:105], v[62:63], v[90:91]
	v_mul_f64_e32 v[96:97], v[60:61], v[90:91]
	s_wait_loadcnt 0x1
	;; [unrolled: 3-line block ×3, first 2 shown]
	v_mul_f64_e32 v[114:115], v[58:59], v[90:91]
	v_mul_f64_e32 v[130:131], v[56:57], v[90:91]
	v_fma_f64 v[90:91], v[64:65], v[88:89], -v[94:95]
	v_fmac_f64_e32 v[92:93], v[66:67], v[88:89]
	v_fma_f64 v[94:95], v[60:61], v[88:89], -v[104:105]
	v_fmac_f64_e32 v[96:97], v[62:63], v[88:89]
	;; [unrolled: 2-line block ×4, first 2 shown]
	v_add_nc_u64_e32 v[88:89], s[70:71], v[98:99]
	ds_load_b128 v[124:127], v186 offset:528
	ds_load_b128 v[120:123], v186 offset:544
	;; [unrolled: 1-line block ×3, first 2 shown]
	ds_store_b128 v187, v[90:93]
	ds_store_b128 v187, v[94:97] offset:1072
	ds_store_b128 v187, v[104:107] offset:2144
	;; [unrolled: 1-line block ×3, first 2 shown]
	s_wait_xcnt 0x0
	v_add_nc_u64_e32 v[98:99], s[68:69], v[88:89]
	s_wait_dscnt 0x0
	s_barrier_signal -1
	s_barrier_wait -1
	ds_load_b128 v[216:219], v188
	ds_load_b128 v[220:223], v188 offset:16
	ds_load_b128 v[224:227], v188 offset:32
	;; [unrolled: 1-line block ×3, first 2 shown]
	s_wait_dscnt 0x0
	v_add_nc_u64_e32 v[132:133], s[68:69], v[98:99]
	s_barrier_signal -1
	s_barrier_wait -1
	s_delay_alu instid0(VALU_DEP_1)
	v_add_nc_u64_e32 v[162:163], s[68:69], v[132:133]
	flat_load_b128 v[104:107], v[88:89]
	flat_load_b128 v[96:99], v[98:99]
	;; [unrolled: 1-line block ×4, first 2 shown]
	s_wait_xcnt 0x1
	ds_load_b128 v[132:135], v164
	ds_load_b128 v[128:131], v186 offset:768
	v_add_f64_e32 v[216:217], 0, v[216:217]
	v_add_f64_e32 v[218:219], 0, v[218:219]
	s_delay_alu instid0(VALU_DEP_2) | instskip(NEXT) | instid1(VALU_DEP_2)
	v_add_f64_e32 v[204:205], v[216:217], v[220:221]
	v_add_f64_e32 v[206:207], v[218:219], v[222:223]
	s_delay_alu instid0(VALU_DEP_2) | instskip(NEXT) | instid1(VALU_DEP_2)
	v_add_f64_e32 v[204:205], v[204:205], v[224:225]
	v_add_f64_e32 v[206:207], v[206:207], v[226:227]
	s_wait_loadcnt_dscnt 0x301
	v_mul_f64_e32 v[136:137], v[106:107], v[134:135]
	v_mul_f64_e32 v[234:235], v[104:105], v[134:135]
	s_wait_loadcnt 0x2
	v_mul_f64_e32 v[138:139], v[98:99], v[134:135]
	v_mul_f64_e32 v[238:239], v[96:97], v[134:135]
	s_wait_loadcnt 0x1
	;; [unrolled: 3-line block ×3, first 2 shown]
	v_mul_f64_e32 v[142:143], v[94:95], v[134:135]
	v_mul_f64_e32 v[246:247], v[92:93], v[134:135]
	v_fma_f64 v[232:233], v[104:105], v[132:133], -v[136:137]
	v_fmac_f64_e32 v[234:235], v[106:107], v[132:133]
	v_fma_f64 v[236:237], v[96:97], v[132:133], -v[138:139]
	v_fmac_f64_e32 v[238:239], v[98:99], v[132:133]
	;; [unrolled: 2-line block ×4, first 2 shown]
	ds_load_b128 v[140:143], v186 offset:784
	ds_load_b128 v[136:139], v186 offset:800
	;; [unrolled: 1-line block ×3, first 2 shown]
	ds_store_b128 v187, v[232:235]
	ds_store_b128 v187, v[236:239] offset:1072
	ds_store_b128 v187, v[240:243] offset:2144
	;; [unrolled: 1-line block ×3, first 2 shown]
	s_wait_dscnt 0x0
	s_barrier_signal -1
	s_barrier_wait -1
	ds_load_b128 v[232:235], v188
	v_add_f64_e32 v[236:237], 0, v[196:197]
	v_add_f64_e32 v[238:239], 0, v[198:199]
	ds_load_b128 v[196:199], v188 offset:16
	s_wait_dscnt 0x1
	v_add_f64_e32 v[232:233], 0, v[232:233]
	v_add_f64_e32 v[234:235], 0, v[234:235]
	v_add_f64_e32 v[236:237], v[236:237], v[108:109]
	v_add_f64_e32 v[238:239], v[238:239], v[110:111]
	ds_load_b128 v[108:111], v188 offset:32
	s_wait_dscnt 0x1
	v_add_f64_e32 v[196:197], v[232:233], v[196:197]
	v_add_f64_e32 v[198:199], v[234:235], v[198:199]
	v_add_f64_e32 v[216:217], v[236:237], v[100:101]
	v_add_f64_e32 v[218:219], v[238:239], v[102:103]
	ds_load_b128 v[100:103], v188 offset:48
	s_wait_dscnt 0x0
	s_barrier_signal -1
	s_barrier_wait -1
	v_add_f64_e32 v[208:209], v[196:197], v[108:109]
	v_add_f64_e32 v[210:211], v[198:199], v[110:111]
	;; [unrolled: 1-line block ×10, first 2 shown]
	ds_store_b128 v194, v[84:87]
	ds_store_b128 v194, v[108:111] offset:256
	ds_store_b128 v194, v[196:199] offset:512
	;; [unrolled: 1-line block ×3, first 2 shown]
	s_wait_dscnt 0x0
	s_barrier_signal -1
	s_barrier_wait -1
	s_wait_xcnt 0x0
	s_and_saveexec_b32 s35, s18
	s_cbranch_execz .LBB192_74
; %bb.78:                               ;   in Loop: Header=BB192_75 Depth=2
	ds_load_b128 v[84:87], v189
	ds_load_b128 v[100:103], v189 offset:16
	s_wait_dscnt 0x0
	v_add_f64_e32 v[108:109], v[100:101], v[84:85]
	v_add_f64_e32 v[110:111], v[102:103], v[86:87]
	ds_load_b128 v[84:87], v189 offset:32
	ds_load_b128 v[100:103], v189 offset:48
	s_wait_dscnt 0x1
	v_add_f64_e32 v[84:85], v[108:109], v[84:85]
	v_add_f64_e32 v[86:87], v[110:111], v[86:87]
	s_wait_dscnt 0x0
	s_delay_alu instid0(VALU_DEP_2) | instskip(NEXT) | instid1(VALU_DEP_2)
	v_add_f64_e32 v[108:109], v[84:85], v[100:101]
	v_add_f64_e32 v[110:111], v[86:87], v[102:103]
	ds_load_b128 v[84:87], v189 offset:64
	ds_load_b128 v[100:103], v189 offset:80
	s_wait_dscnt 0x1
	v_add_f64_e32 v[84:85], v[108:109], v[84:85]
	v_add_f64_e32 v[86:87], v[110:111], v[86:87]
	s_wait_dscnt 0x0
	s_delay_alu instid0(VALU_DEP_2) | instskip(NEXT) | instid1(VALU_DEP_2)
	;; [unrolled: 9-line block ×6, first 2 shown]
	v_add_f64_e32 v[108:109], v[84:85], v[100:101]
	v_add_f64_e32 v[110:111], v[86:87], v[102:103]
	ds_load_b128 v[84:87], v189 offset:224
	ds_load_b128 v[100:103], v190
	s_wait_dscnt 0x1
	v_add_f64_e32 v[84:85], v[108:109], v[84:85]
	v_add_f64_e32 v[86:87], v[110:111], v[86:87]
	s_wait_dscnt 0x0
	s_delay_alu instid0(VALU_DEP_2) | instskip(NEXT) | instid1(VALU_DEP_2)
	v_add_f64_e32 v[84:85], v[84:85], v[100:101]
	v_dual_add_f64 v[86:87], v[86:87], v[102:103] :: v_dual_add_nc_u32 v100, s40, v144
	global_store_b128 v100, v[84:87], s[78:79] scale_offset
	s_branch .LBB192_74
.LBB192_79:                             ;   in Loop: Header=BB192_4 Depth=1
	ds_store_b128 v191, v[0:3]
	s_wait_dscnt 0x0
	s_barrier_signal -1
	s_barrier_wait -1
	s_and_saveexec_b32 s19, s83
	s_cbranch_execz .LBB192_2
; %bb.80:                               ;   in Loop: Header=BB192_4 Depth=1
	ds_load_b128 v[0:3], v145 offset:1072
	ds_load_b128 v[4:7], v145
	s_wait_dscnt 0x0
	v_add_f64_e32 v[8:9], v[0:1], v[4:5]
	v_add_f64_e32 v[10:11], v[2:3], v[6:7]
	ds_load_b128 v[0:3], v145 offset:2144
	ds_load_b128 v[4:7], v145 offset:3216
	s_wait_dscnt 0x1
	v_add_f64_e32 v[0:1], v[8:9], v[0:1]
	v_add_f64_e32 v[2:3], v[10:11], v[2:3]
	s_wait_dscnt 0x0
	s_delay_alu instid0(VALU_DEP_2) | instskip(NEXT) | instid1(VALU_DEP_2)
	v_add_f64_e32 v[0:1], v[0:1], v[4:5]
	v_add_f64_e32 v[2:3], v[2:3], v[6:7]
	v_lshl_add_u64 v[4:5], v[148:149], 4, s[78:79]
	global_store_b128 v[4:5], v[0:3], off
	s_branch .LBB192_2
.LBB192_81:                             ;   in Loop: Header=BB192_4 Depth=1
	ds_load_b128 v[0:3], v170
	s_wait_dscnt 0x0
	ds_store_b128 v169, v[0:3]
	s_or_b32 exec_lo, exec_lo, s19
	s_and_saveexec_b32 s19, s8
	s_cbranch_execz .LBB192_28
.LBB192_82:                             ;   in Loop: Header=BB192_4 Depth=1
	ds_load_b128 v[0:3], v172
	s_wait_dscnt 0x0
	ds_store_b128 v171, v[0:3]
	s_or_b32 exec_lo, exec_lo, s19
	s_and_saveexec_b32 s19, s9
	s_cbranch_execz .LBB192_29
.LBB192_83:                             ;   in Loop: Header=BB192_4 Depth=1
	ds_load_b128 v[0:3], v174
	s_wait_dscnt 0x0
	ds_store_b128 v173, v[0:3]
	s_or_b32 exec_lo, exec_lo, s19
	s_and_saveexec_b32 s19, s10
	s_cbranch_execnz .LBB192_30
	s_branch .LBB192_31
.LBB192_84:                             ;   in Loop: Header=BB192_4 Depth=1
	ds_load_b128 v[6:9], v170
	s_wait_dscnt 0x0
	ds_store_b128 v180, v[6:9]
	s_or_b32 exec_lo, exec_lo, s19
	s_and_saveexec_b32 s19, s8
	s_cbranch_execz .LBB192_49
.LBB192_85:                             ;   in Loop: Header=BB192_4 Depth=1
	ds_load_b128 v[6:9], v172
	s_wait_dscnt 0x0
	ds_store_b128 v181, v[6:9]
	s_or_b32 exec_lo, exec_lo, s19
	s_and_saveexec_b32 s19, s9
	s_cbranch_execz .LBB192_50
.LBB192_86:                             ;   in Loop: Header=BB192_4 Depth=1
	ds_load_b128 v[6:9], v174
	s_wait_dscnt 0x0
	ds_store_b128 v182, v[6:9]
	s_or_b32 exec_lo, exec_lo, s19
	s_and_saveexec_b32 s19, s10
	s_cbranch_execnz .LBB192_51
	s_branch .LBB192_52
.LBB192_87:                             ;   in Loop: Header=BB192_4 Depth=1
	flat_load_b128 v[6:9], v[0:1]
	s_wait_loadcnt_dscnt 0x0
	ds_store_2addr_b64 v165, v[6:7], v[8:9] offset1:1
	s_wait_xcnt 0x0
	s_or_b32 exec_lo, exec_lo, s19
	s_and_saveexec_b32 s19, s4
	s_delay_alu instid0(SALU_CYCLE_1)
	s_xor_b32 s19, exec_lo, s19
	s_cbranch_execz .LBB192_19
.LBB192_88:                             ;   in Loop: Header=BB192_4 Depth=1
	v_dual_mov_b32 v6, v147 :: v_dual_mov_b32 v7, v147
	v_dual_mov_b32 v8, v147 :: v_dual_mov_b32 v9, v147
	ds_store_b128 v166, v[6:9]
	s_and_not1_saveexec_b32 s19, s19
	s_cbranch_execz .LBB192_20
.LBB192_89:                             ;   in Loop: Header=BB192_4 Depth=1
	v_add_nc_u64_e32 v[2:3], s[52:53], v[0:1]
	flat_load_b128 v[6:9], v[2:3]
	s_wait_loadcnt_dscnt 0x0
	ds_store_2addr_b64 v166, v[6:7], v[8:9] offset1:1
	s_wait_xcnt 0x0
	s_or_b32 exec_lo, exec_lo, s19
	s_and_saveexec_b32 s19, s5
	s_delay_alu instid0(SALU_CYCLE_1)
	s_xor_b32 s19, exec_lo, s19
	s_cbranch_execz .LBB192_21
.LBB192_90:                             ;   in Loop: Header=BB192_4 Depth=1
	v_dual_mov_b32 v6, v147 :: v_dual_mov_b32 v7, v147
	v_dual_mov_b32 v8, v147 :: v_dual_mov_b32 v9, v147
	ds_store_b128 v167, v[6:9]
	s_and_not1_saveexec_b32 s19, s19
	s_cbranch_execz .LBB192_22
.LBB192_91:                             ;   in Loop: Header=BB192_4 Depth=1
	v_add_nc_u64_e32 v[2:3], s[54:55], v[0:1]
	flat_load_b128 v[6:9], v[2:3]
	s_wait_loadcnt_dscnt 0x0
	ds_store_2addr_b64 v167, v[6:7], v[8:9] offset1:1
	s_wait_xcnt 0x0
	s_or_b32 exec_lo, exec_lo, s19
	s_and_saveexec_b32 s19, s6
	s_delay_alu instid0(SALU_CYCLE_1)
	s_xor_b32 s19, exec_lo, s19
	s_cbranch_execz .LBB192_23
.LBB192_92:                             ;   in Loop: Header=BB192_4 Depth=1
	v_dual_mov_b32 v6, v147 :: v_dual_mov_b32 v7, v147
	v_dual_mov_b32 v8, v147 :: v_dual_mov_b32 v9, v147
	ds_store_b128 v168, v[6:9]
	s_and_not1_saveexec_b32 s19, s19
	s_cbranch_execnz .LBB192_24
	s_branch .LBB192_25
.LBB192_93:                             ;   in Loop: Header=BB192_4 Depth=1
	flat_load_b128 v[8:11], v[6:7]
	s_wait_loadcnt_dscnt 0x0
	ds_store_2addr_b64 v165, v[8:9], v[10:11] offset1:1
	s_wait_xcnt 0x0
	s_or_b32 exec_lo, exec_lo, s19
	s_and_saveexec_b32 s19, s14
	s_delay_alu instid0(SALU_CYCLE_1)
	s_xor_b32 s19, exec_lo, s19
	s_cbranch_execz .LBB192_40
.LBB192_94:                             ;   in Loop: Header=BB192_4 Depth=1
	v_dual_mov_b32 v8, v147 :: v_dual_mov_b32 v9, v147
	v_dual_mov_b32 v10, v147 :: v_dual_mov_b32 v11, v147
	ds_store_b128 v166, v[8:11]
	s_and_not1_saveexec_b32 s19, s19
	s_cbranch_execz .LBB192_41
.LBB192_95:                             ;   in Loop: Header=BB192_4 Depth=1
	v_add_nc_u64_e32 v[8:9], s[52:53], v[6:7]
	flat_load_b128 v[8:11], v[8:9]
	s_wait_loadcnt_dscnt 0x0
	ds_store_2addr_b64 v166, v[8:9], v[10:11] offset1:1
	s_wait_xcnt 0x0
	s_or_b32 exec_lo, exec_lo, s19
	s_and_saveexec_b32 s19, s15
	s_delay_alu instid0(SALU_CYCLE_1)
	s_xor_b32 s19, exec_lo, s19
	s_cbranch_execz .LBB192_42
.LBB192_96:                             ;   in Loop: Header=BB192_4 Depth=1
	v_dual_mov_b32 v8, v147 :: v_dual_mov_b32 v9, v147
	v_dual_mov_b32 v10, v147 :: v_dual_mov_b32 v11, v147
	ds_store_b128 v167, v[8:11]
	s_and_not1_saveexec_b32 s19, s19
	s_cbranch_execz .LBB192_43
.LBB192_97:                             ;   in Loop: Header=BB192_4 Depth=1
	v_add_nc_u64_e32 v[8:9], s[54:55], v[6:7]
	flat_load_b128 v[8:11], v[8:9]
	s_wait_loadcnt_dscnt 0x0
	ds_store_2addr_b64 v167, v[8:9], v[10:11] offset1:1
	s_wait_xcnt 0x0
	s_or_b32 exec_lo, exec_lo, s19
	s_and_saveexec_b32 s19, s16
	s_delay_alu instid0(SALU_CYCLE_1)
	s_xor_b32 s19, exec_lo, s19
	s_cbranch_execz .LBB192_44
.LBB192_98:                             ;   in Loop: Header=BB192_4 Depth=1
	v_dual_mov_b32 v8, v147 :: v_dual_mov_b32 v9, v147
	v_dual_mov_b32 v10, v147 :: v_dual_mov_b32 v11, v147
	ds_store_b128 v168, v[8:11]
	s_and_not1_saveexec_b32 s19, s19
	s_cbranch_execnz .LBB192_45
	s_branch .LBB192_46
.LBB192_99:                             ;   in Loop: Header=BB192_4 Depth=1
	flat_load_b128 v[6:9], v[4:5]
	s_wait_loadcnt_dscnt 0x0
	ds_store_2addr_b64 v165, v[6:7], v[8:9] offset1:1
	s_wait_xcnt 0x0
	s_or_b32 exec_lo, exec_lo, s19
	s_and_saveexec_b32 s19, s4
	s_delay_alu instid0(SALU_CYCLE_1)
	s_xor_b32 s19, exec_lo, s19
	s_cbranch_execz .LBB192_61
.LBB192_100:                            ;   in Loop: Header=BB192_4 Depth=1
	v_dual_mov_b32 v6, v147 :: v_dual_mov_b32 v7, v147
	v_dual_mov_b32 v8, v147 :: v_dual_mov_b32 v9, v147
	ds_store_b128 v166, v[6:9]
	s_and_not1_saveexec_b32 s19, s19
	s_cbranch_execz .LBB192_62
.LBB192_101:                            ;   in Loop: Header=BB192_4 Depth=1
	v_add_nc_u64_e32 v[6:7], s[52:53], v[4:5]
	flat_load_b128 v[6:9], v[6:7]
	s_wait_loadcnt_dscnt 0x0
	ds_store_2addr_b64 v166, v[6:7], v[8:9] offset1:1
	s_wait_xcnt 0x0
	s_or_b32 exec_lo, exec_lo, s19
	s_and_saveexec_b32 s19, s5
	s_delay_alu instid0(SALU_CYCLE_1)
	s_xor_b32 s19, exec_lo, s19
	s_cbranch_execz .LBB192_63
.LBB192_102:                            ;   in Loop: Header=BB192_4 Depth=1
	v_dual_mov_b32 v6, v147 :: v_dual_mov_b32 v7, v147
	v_dual_mov_b32 v8, v147 :: v_dual_mov_b32 v9, v147
	ds_store_b128 v167, v[6:9]
	s_and_not1_saveexec_b32 s19, s19
	s_cbranch_execz .LBB192_64
.LBB192_103:                            ;   in Loop: Header=BB192_4 Depth=1
	v_add_nc_u64_e32 v[6:7], s[54:55], v[4:5]
	flat_load_b128 v[6:9], v[6:7]
	s_wait_loadcnt_dscnt 0x0
	ds_store_2addr_b64 v167, v[6:7], v[8:9] offset1:1
	s_wait_xcnt 0x0
	s_or_b32 exec_lo, exec_lo, s19
	s_and_saveexec_b32 s19, s6
	s_delay_alu instid0(SALU_CYCLE_1)
	s_xor_b32 s19, exec_lo, s19
	s_cbranch_execz .LBB192_65
.LBB192_104:                            ;   in Loop: Header=BB192_4 Depth=1
	v_dual_mov_b32 v6, v147 :: v_dual_mov_b32 v7, v147
	v_dual_mov_b32 v8, v147 :: v_dual_mov_b32 v9, v147
	ds_store_b128 v168, v[6:9]
	s_and_not1_saveexec_b32 s19, s19
	s_cbranch_execnz .LBB192_66
	s_branch .LBB192_67
.LBB192_105:
	s_sendmsg sendmsg(MSG_DEALLOC_VGPRS)
	s_endpgm
	.section	.rodata,"a",@progbits
	.p2align	6, 0x0
	.amdhsa_kernel _ZL26rocblas_hemvn_kernel_lowerILb0ELi64ELi4ELi33ELi32ELi16ElPK19rocblas_complex_numIdEPKS3_PS1_EviT6_lT7_lT5_lS8_lS9_lS7_lT8_i
		.amdhsa_group_segment_fixed_size 19200
		.amdhsa_private_segment_fixed_size 0
		.amdhsa_kernarg_size 376
		.amdhsa_user_sgpr_count 2
		.amdhsa_user_sgpr_dispatch_ptr 0
		.amdhsa_user_sgpr_queue_ptr 0
		.amdhsa_user_sgpr_kernarg_segment_ptr 1
		.amdhsa_user_sgpr_dispatch_id 0
		.amdhsa_user_sgpr_kernarg_preload_length 0
		.amdhsa_user_sgpr_kernarg_preload_offset 0
		.amdhsa_user_sgpr_private_segment_size 0
		.amdhsa_wavefront_size32 1
		.amdhsa_uses_dynamic_stack 0
		.amdhsa_enable_private_segment 0
		.amdhsa_system_sgpr_workgroup_id_x 1
		.amdhsa_system_sgpr_workgroup_id_y 0
		.amdhsa_system_sgpr_workgroup_id_z 1
		.amdhsa_system_sgpr_workgroup_info 0
		.amdhsa_system_vgpr_workitem_id 1
		.amdhsa_next_free_vgpr 248
		.amdhsa_next_free_sgpr 86
		.amdhsa_named_barrier_count 0
		.amdhsa_reserve_vcc 1
		.amdhsa_float_round_mode_32 0
		.amdhsa_float_round_mode_16_64 0
		.amdhsa_float_denorm_mode_32 3
		.amdhsa_float_denorm_mode_16_64 3
		.amdhsa_fp16_overflow 0
		.amdhsa_memory_ordered 1
		.amdhsa_forward_progress 1
		.amdhsa_inst_pref_size 64
		.amdhsa_round_robin_scheduling 0
		.amdhsa_exception_fp_ieee_invalid_op 0
		.amdhsa_exception_fp_denorm_src 0
		.amdhsa_exception_fp_ieee_div_zero 0
		.amdhsa_exception_fp_ieee_overflow 0
		.amdhsa_exception_fp_ieee_underflow 0
		.amdhsa_exception_fp_ieee_inexact 0
		.amdhsa_exception_int_div_zero 0
	.end_amdhsa_kernel
	.section	.text._ZL26rocblas_hemvn_kernel_lowerILb0ELi64ELi4ELi33ELi32ELi16ElPK19rocblas_complex_numIdEPKS3_PS1_EviT6_lT7_lT5_lS8_lS9_lS7_lT8_i,"axG",@progbits,_ZL26rocblas_hemvn_kernel_lowerILb0ELi64ELi4ELi33ELi32ELi16ElPK19rocblas_complex_numIdEPKS3_PS1_EviT6_lT7_lT5_lS8_lS9_lS7_lT8_i,comdat
.Lfunc_end192:
	.size	_ZL26rocblas_hemvn_kernel_lowerILb0ELi64ELi4ELi33ELi32ELi16ElPK19rocblas_complex_numIdEPKS3_PS1_EviT6_lT7_lT5_lS8_lS9_lS7_lT8_i, .Lfunc_end192-_ZL26rocblas_hemvn_kernel_lowerILb0ELi64ELi4ELi33ELi32ELi16ElPK19rocblas_complex_numIdEPKS3_PS1_EviT6_lT7_lT5_lS8_lS9_lS7_lT8_i
                                        ; -- End function
	.set _ZL26rocblas_hemvn_kernel_lowerILb0ELi64ELi4ELi33ELi32ELi16ElPK19rocblas_complex_numIdEPKS3_PS1_EviT6_lT7_lT5_lS8_lS9_lS7_lT8_i.num_vgpr, 248
	.set _ZL26rocblas_hemvn_kernel_lowerILb0ELi64ELi4ELi33ELi32ELi16ElPK19rocblas_complex_numIdEPKS3_PS1_EviT6_lT7_lT5_lS8_lS9_lS7_lT8_i.num_agpr, 0
	.set _ZL26rocblas_hemvn_kernel_lowerILb0ELi64ELi4ELi33ELi32ELi16ElPK19rocblas_complex_numIdEPKS3_PS1_EviT6_lT7_lT5_lS8_lS9_lS7_lT8_i.numbered_sgpr, 86
	.set _ZL26rocblas_hemvn_kernel_lowerILb0ELi64ELi4ELi33ELi32ELi16ElPK19rocblas_complex_numIdEPKS3_PS1_EviT6_lT7_lT5_lS8_lS9_lS7_lT8_i.num_named_barrier, 0
	.set _ZL26rocblas_hemvn_kernel_lowerILb0ELi64ELi4ELi33ELi32ELi16ElPK19rocblas_complex_numIdEPKS3_PS1_EviT6_lT7_lT5_lS8_lS9_lS7_lT8_i.private_seg_size, 0
	.set _ZL26rocblas_hemvn_kernel_lowerILb0ELi64ELi4ELi33ELi32ELi16ElPK19rocblas_complex_numIdEPKS3_PS1_EviT6_lT7_lT5_lS8_lS9_lS7_lT8_i.uses_vcc, 1
	.set _ZL26rocblas_hemvn_kernel_lowerILb0ELi64ELi4ELi33ELi32ELi16ElPK19rocblas_complex_numIdEPKS3_PS1_EviT6_lT7_lT5_lS8_lS9_lS7_lT8_i.uses_flat_scratch, 1
	.set _ZL26rocblas_hemvn_kernel_lowerILb0ELi64ELi4ELi33ELi32ELi16ElPK19rocblas_complex_numIdEPKS3_PS1_EviT6_lT7_lT5_lS8_lS9_lS7_lT8_i.has_dyn_sized_stack, 0
	.set _ZL26rocblas_hemvn_kernel_lowerILb0ELi64ELi4ELi33ELi32ELi16ElPK19rocblas_complex_numIdEPKS3_PS1_EviT6_lT7_lT5_lS8_lS9_lS7_lT8_i.has_recursion, 0
	.set _ZL26rocblas_hemvn_kernel_lowerILb0ELi64ELi4ELi33ELi32ELi16ElPK19rocblas_complex_numIdEPKS3_PS1_EviT6_lT7_lT5_lS8_lS9_lS7_lT8_i.has_indirect_call, 0
	.section	.AMDGPU.csdata,"",@progbits
; Kernel info:
; codeLenInByte = 8100
; TotalNumSgprs: 88
; NumVgprs: 248
; ScratchSize: 0
; MemoryBound: 0
; FloatMode: 240
; IeeeMode: 1
; LDSByteSize: 19200 bytes/workgroup (compile time only)
; SGPRBlocks: 0
; VGPRBlocks: 15
; NumSGPRsForWavesPerEU: 88
; NumVGPRsForWavesPerEU: 248
; NamedBarCnt: 0
; Occupancy: 4
; WaveLimiterHint : 0
; COMPUTE_PGM_RSRC2:SCRATCH_EN: 0
; COMPUTE_PGM_RSRC2:USER_SGPR: 2
; COMPUTE_PGM_RSRC2:TRAP_HANDLER: 0
; COMPUTE_PGM_RSRC2:TGID_X_EN: 1
; COMPUTE_PGM_RSRC2:TGID_Y_EN: 0
; COMPUTE_PGM_RSRC2:TGID_Z_EN: 1
; COMPUTE_PGM_RSRC2:TIDIG_COMP_CNT: 1
	.section	.text._ZL26rocblas_hemvn_kernel_lowerILb0ELi64ELi4ELi33ELi32ELi16EiPK19rocblas_complex_numIdEPKS3_PS1_EviT6_lT7_lT5_lS8_lS9_lS7_lT8_i,"axG",@progbits,_ZL26rocblas_hemvn_kernel_lowerILb0ELi64ELi4ELi33ELi32ELi16EiPK19rocblas_complex_numIdEPKS3_PS1_EviT6_lT7_lT5_lS8_lS9_lS7_lT8_i,comdat
	.globl	_ZL26rocblas_hemvn_kernel_lowerILb0ELi64ELi4ELi33ELi32ELi16EiPK19rocblas_complex_numIdEPKS3_PS1_EviT6_lT7_lT5_lS8_lS9_lS7_lT8_i ; -- Begin function _ZL26rocblas_hemvn_kernel_lowerILb0ELi64ELi4ELi33ELi32ELi16EiPK19rocblas_complex_numIdEPKS3_PS1_EviT6_lT7_lT5_lS8_lS9_lS7_lT8_i
	.p2align	8
	.type	_ZL26rocblas_hemvn_kernel_lowerILb0ELi64ELi4ELi33ELi32ELi16EiPK19rocblas_complex_numIdEPKS3_PS1_EviT6_lT7_lT5_lS8_lS9_lS7_lT8_i,@function
_ZL26rocblas_hemvn_kernel_lowerILb0ELi64ELi4ELi33ELi32ELi16EiPK19rocblas_complex_numIdEPKS3_PS1_EviT6_lT7_lT5_lS8_lS9_lS7_lT8_i: ; @_ZL26rocblas_hemvn_kernel_lowerILb0ELi64ELi4ELi33ELi32ELi16EiPK19rocblas_complex_numIdEPKS3_PS1_EviT6_lT7_lT5_lS8_lS9_lS7_lT8_i
; %bb.0:
	s_clause 0x1
	s_load_b64 s[2:3], s[0:1], 0x84
	s_load_b32 s33, s[0:1], 0x70
	s_bfe_u32 s4, ttmp6, 0x40014
	s_lshr_b32 s5, ttmp7, 16
	s_add_co_i32 s4, s4, 1
	s_bfe_u32 s6, ttmp6, 0x40008
	s_mul_i32 s7, s5, s4
	s_getreg_b32 s4, hwreg(HW_REG_IB_STS2, 6, 4)
	s_add_co_i32 s6, s6, s7
	s_mov_b32 s35, 0
	s_wait_kmcnt 0x0
	s_lshr_b32 s7, s2, 16
	s_and_b32 s2, s2, 0xffff
	s_and_b32 s3, s3, 0xffff
	s_mul_i32 s2, s7, s2
	s_cmp_eq_u32 s4, 0
	s_mul_i32 s2, s2, s3
	s_cselect_b32 s34, s5, s6
	s_cmp_lg_u32 s2, 0x100
	s_cselect_b32 s2, -1, 0
	s_cmp_ge_u32 s34, s33
	s_cselect_b32 s3, -1, 0
	s_delay_alu instid0(SALU_CYCLE_1) | instskip(NEXT) | instid1(SALU_CYCLE_1)
	s_or_b32 s2, s2, s3
	s_and_b32 vcc_lo, exec_lo, s2
	s_cbranch_vccnz .LBB193_105
; %bb.1:
	s_clause 0x1
	s_load_b32 s2, s[0:1], 0x0
	s_load_b32 s68, s[0:1], 0x28
	s_add_nc_u64 s[6:7], s[0:1], 0x78
	s_clause 0x4
	s_load_b256 s[20:27], s[0:1], 0x8
	s_load_b128 s[28:31], s[0:1], 0x38
	s_load_b32 s18, s[0:1], 0x48
	s_load_b64 s[8:9], s[0:1], 0x68
	s_load_b128 s[36:39], s[0:1], 0x58
	s_wait_xcnt 0x0
	s_bfe_u32 s1, ttmp6, 0x4000c
	v_bfe_u32 v1, v0, 10, 10
	s_add_co_i32 s1, s1, 1
	s_and_b32 s0, ttmp6, 15
	s_mul_i32 s1, ttmp9, s1
	v_and_b32_e32 v144, 0x3ff, v0
	s_add_co_i32 s1, s0, s1
	v_dual_lshlrev_b32 v2, 6, v1 :: v_dual_bitop2_b32 v146, 31, v0 bitop3:0x40
	s_load_b32 s6, s[6:7], 0x0
	v_mov_b32_e32 v147, 0
	s_wait_xcnt 0x0
	s_mov_b32 s7, s35
	v_lshlrev_b32_e32 v5, 4, v146
	v_add_nc_u32_e32 v188, 0x4300, v2
	v_cmp_eq_u32_e64 s0, 0, v1
	v_sub_nc_u64_e32 v[154:155], 0, v[146:147]
	s_wait_kmcnt 0x0
	s_ashr_i32 s3, s2, 31
	s_ashr_i32 s69, s68, 31
	s_cmp_eq_u32 s4, 0
	v_lshl_or_b32 v10, v146, 9, v5
	s_cselect_b32 s80, ttmp9, s1
	s_lshr_b32 s1, s3, 26
	s_lshl_b32 s74, s80, 6
	s_add_co_i32 s1, s2, s1
	v_dual_add_nc_u32 v148, s74, v144 :: v_dual_add_nc_u32 v3, v2, v144
	v_lshlrev_b32_e32 v166, 4, v144
	s_and_not1_b32 s1, s1, 63
	s_mul_i32 s46, s68, s74
	s_add_co_i32 s4, s6, -1
	v_lshrrev_b32_e32 v4, 5, v3
	s_sub_co_i32 s1, s2, s1
	s_cmp_eq_u32 s80, s4
	s_mul_u64 s[42:43], s[6:7], s[2:3]
	s_cselect_b32 s40, s1, 0
	v_dual_add_nc_u32 v8, 24, v4 :: v_dual_lshlrev_b32 v9, 2, v4
	v_lshlrev_b32_e32 v11, 6, v4
	v_mad_u32_u24 v168, 0x210, v4, v5
	v_mad_u32_u24 v173, 0x840, v4, v5
	s_cmp_eq_u32 s40, 0
	s_delay_alu instid0(VALU_DEP_3) | instskip(SKIP_3) | instid1(VALU_DEP_4)
	v_dual_add_nc_u32 v172, v10, v11 :: v_dual_bitop2_b32 v12, 1, v9 bitop3:0x54
	v_or_b32_e32 v10, 2, v9
	v_cmp_lt_u32_e64 s7, v9, v146
	v_dual_add_nc_u32 v6, 8, v4 :: v_dual_add_nc_u32 v7, 16, v4
	v_add_nc_u32_e32 v174, 16, v172
	v_mad_u32_u24 v175, 0x210, v12, v5
	v_or_b32_e32 v5, 3, v9
	v_mul_u32_u24_e32 v9, 33, v146
	s_cselect_b32 s81, -1, 0
	s_cmp_lg_u32 s40, 0
	s_mul_i32 s4, s2, s80
	s_delay_alu instid0(VALU_DEP_1)
	v_dual_add_nc_u32 v176, 32, v172 :: v_dual_lshlrev_b32 v178, 4, v9
	v_cmp_lt_u32_e64 s10, v5, v146
	v_dual_lshlrev_b32 v5, 4, v4 :: v_dual_bitop2_b32 v9, 32, v146 bitop3:0x54
	s_cselect_b32 s1, -1, 0
	s_ashr_i32 s5, s4, 31
	s_sub_co_i32 s16, s40, 32
	s_lshl_b64 s[2:3], s[4:5], 4
	v_cmp_le_i32_e64 s4, s40, v6
	v_cmp_le_i32_e64 s14, s16, v6
	v_mul_lo_u32 v6, v1, s68
	v_dual_add_nc_u32 v179, 48, v172 :: v_dual_add_nc_u32 v182, v178, v5
	v_mul_lo_u32 v150, s18, v148
	v_mad_u32 v152, s68, v4, v146
	s_add_nc_u64 s[44:45], s[8:9], s[2:3]
	v_cmp_le_i32_e64 s3, s40, v4
	v_cmp_le_i32_e64 s5, s40, v7
	;; [unrolled: 1-line block ×4, first 2 shown]
	v_cmp_eq_u32_e64 s17, 1, v4
	v_mul_i32_i24_e32 v7, 0xffffffd0, v4
	v_mad_u32_u24 v187, v4, 48, v182
	v_lshrrev_b32_e32 v4, 4, v3
	v_cmp_le_i32_e32 vcc_lo, s40, v144
	v_cmp_le_i32_e64 s6, s40, v8
	v_add_nc_u32_e32 v181, 0x4700, v11
	v_add_nc_u32_e32 v183, v178, v11
	v_cmp_le_i32_e64 s16, s16, v8
	v_lshl_add_u32 v156, v6, 2, v144
	v_and_b32_e32 v6, 15, v0
	v_and_b32_e32 v0, 48, v0
	v_dual_lshlrev_b32 v8, 6, v4 :: v_dual_add_nc_u32 v195, v181, v7
	v_dual_ashrrev_i32 v151, 31, v150 :: v_dual_ashrrev_i32 v153, 31, v152
	v_dual_mov_b32 v145, v147 :: v_dual_add_nc_u32 v170, 0x2100, v168
	s_and_b32 s1, s1, vcc_lo
	s_lshl_b32 s48, s68, 3
	s_lshl_b32 s50, s68, 4
	s_mul_i32 s52, s68, 24
	s_lshl_b32 s54, s68, 5
	s_mul_i32 s58, s18, s74
	v_lshlrev_b32_e32 v0, 4, v0
	v_or_b32_e32 v2, 0xf0, v166
	v_mad_u32_u24 v190, 0x430, v6, v8
	v_mul_i32_i24_e32 v4, 0xffffffd0, v4
	s_ashr_i32 s75, s74, 31
	s_ashr_i32 s47, s46, 31
	;; [unrolled: 1-line block ×7, first 2 shown]
	s_xor_b32 s19, s1, -1
	s_ashr_i32 s59, s58, 31
	s_cmp_gt_i32 s80, 0
	v_sub_nc_u64_e32 v[158:159], 0, v[152:153]
	v_sub_nc_u64_e32 v[160:161], 0, v[144:145]
	v_add_nc_u32_e32 v167, 0x4700, v166
	v_add_nc_u32_e32 v169, 0x1080, v168
	v_add_nc_u32_e32 v171, 0x3180, v168
	v_cmp_gt_i32_e64 s2, s40, v146
	v_cmp_lt_u32_e64 s8, v12, v146
	v_cmp_lt_u32_e64 s9, v10, v146
	v_add_nc_u32_e32 v177, 0x210, v175
	v_add_nc_u32_e32 v180, 0x420, v175
	v_cmp_gt_u32_e64 s11, 32, v3
	v_cmp_gt_i32_e64 s12, s40, v9
	v_dual_add_nc_u32 v184, 16, v183 :: v_dual_add_nc_u32 v185, 32, v183
	v_dual_add_nc_u32 v186, 48, v183 :: v_dual_ashrrev_i32 v157, 31, v156
	s_cselect_b32 s82, -1, 0
	s_lshl_b32 s83, s18, 6
	v_add_nc_u32_e32 v145, 0x4300, v166
	v_mad_u32_u24 v189, 0x10c0, v1, v166
	v_cmp_gt_u32_e64 s18, 64, v3
	v_mad_u32_u24 v192, 0x430, v6, v2
	v_mad_u32_u24 v193, 0x430, v1, v166
	v_ashrrev_i32_e32 v149, 31, v148
	v_add_nc_u32_e32 v194, 0x4700, v5
	v_dual_add_nc_u32 v196, v190, v4 :: v_dual_lshlrev_b32 v146, 4, v146
	v_mad_u32_u24 v191, 0x430, v6, v0
	s_sub_nc_u64 s[56:57], 0, s[54:55]
	s_sub_nc_u64 s[58:59], 0, s[58:59]
	;; [unrolled: 1-line block ×3, first 2 shown]
	s_and_b32 s84, s0, s19
	s_lshl_b64 s[62:63], s[68:69], 7
	s_sub_nc_u64 s[64:65], 0, s[40:41]
	s_lshl_b64 s[66:67], s[68:69], 4
	s_mul_u64 s[68:69], s[68:69], 0xd0
	s_mov_b64 s[70:71], 0xfffffffffffffdf0
	s_mov_b64 s[72:73], 0xfffffffffffffe00
	s_lshl_b64 s[30:31], s[30:31], 4
	s_lshl_b64 s[26:27], s[26:27], 4
	s_lshl_b64 s[74:75], s[74:75], 4
	s_branch .LBB193_4
.LBB193_2:                              ;   in Loop: Header=BB193_4 Depth=1
	s_wait_xcnt 0x0
	s_or_b32 exec_lo, exec_lo, s19
.LBB193_3:                              ;   in Loop: Header=BB193_4 Depth=1
	s_add_co_i32 s34, s34, 0x10000
	s_delay_alu instid0(SALU_CYCLE_1)
	s_cmp_lt_u32 s34, s33
	s_cbranch_scc0 .LBB193_105
.LBB193_4:                              ; =>This Loop Header: Depth=1
                                        ;     Child Loop BB193_75 Depth 2
	s_wait_xcnt 0x0
	s_mul_u64 s[76:77], s[22:23], s[34:35]
	s_delay_alu instid0(SALU_CYCLE_1) | instskip(NEXT) | instid1(SALU_CYCLE_1)
	s_lshl_b64 s[76:77], s[76:77], 4
	s_add_nc_u64 s[76:77], s[20:21], s[76:77]
	global_load_b128 v[0:3], v147, s[76:77]
	s_wait_loadcnt 0x0
	v_cmp_neq_f64_e32 vcc_lo, 0, v[0:1]
	v_cmp_neq_f64_e64 s19, 0, v[2:3]
	s_or_b32 s19, vcc_lo, s19
	s_delay_alu instid0(SALU_CYCLE_1)
	s_and_b32 vcc_lo, exec_lo, s19
	s_mov_b32 s19, -1
	s_cbranch_vccz .LBB193_6
; %bb.5:                                ;   in Loop: Header=BB193_4 Depth=1
	s_and_not1_b32 vcc_lo, exec_lo, s19
	s_cbranch_vccnz .LBB193_3
	s_branch .LBB193_7
.LBB193_6:                              ;   in Loop: Header=BB193_4 Depth=1
	s_wait_xcnt 0x0
	s_mul_u64 s[76:77], s[38:39], s[34:35]
	s_delay_alu instid0(SALU_CYCLE_1) | instskip(NEXT) | instid1(SALU_CYCLE_1)
	s_lshl_b64 s[76:77], s[76:77], 4
	s_add_nc_u64 s[76:77], s[36:37], s[76:77]
	global_load_b128 v[0:3], v147, s[76:77]
	s_wait_loadcnt 0x0
	v_cmp_eq_f64_e32 vcc_lo, 1.0, v[0:1]
	v_cmp_eq_f64_e64 s19, 0, v[2:3]
	s_and_b32 s19, vcc_lo, s19
	s_delay_alu instid0(SALU_CYCLE_1)
	s_and_not1_b32 vcc_lo, exec_lo, s19
	s_cbranch_execnz .LBB193_3
.LBB193_7:                              ;   in Loop: Header=BB193_4 Depth=1
	s_wait_xcnt 0x0
	s_lshl_b64 s[76:77], s[34:35], 3
	s_delay_alu instid0(SALU_CYCLE_1)
	s_add_nc_u64 s[78:79], s[28:29], s[76:77]
	s_add_nc_u64 s[76:77], s[24:25], s[76:77]
	s_clause 0x1
	global_load_b64 v[2:3], v147, s[78:79]
	global_load_b64 v[0:1], v147, s[76:77]
	s_wait_loadcnt 0x1
	v_add_nc_u64_e32 v[2:3], s[30:31], v[2:3]
	s_delay_alu instid0(VALU_DEP_1)
	v_lshl_add_u64 v[36:37], v[150:151], 4, v[2:3]
	s_wait_xcnt 0x0
	s_and_saveexec_b32 s19, s0
	s_cbranch_execz .LBB193_12
; %bb.8:                                ;   in Loop: Header=BB193_4 Depth=1
	s_and_saveexec_b32 s76, s1
	s_delay_alu instid0(SALU_CYCLE_1)
	s_xor_b32 s76, exec_lo, s76
; %bb.9:                                ;   in Loop: Header=BB193_4 Depth=1
	v_dual_mov_b32 v2, v147 :: v_dual_mov_b32 v3, v147
	v_dual_mov_b32 v4, v147 :: v_dual_mov_b32 v5, v147
	ds_store_b128 v167, v[2:5]
; %bb.10:                               ;   in Loop: Header=BB193_4 Depth=1
	s_and_not1_saveexec_b32 s76, s76
	s_cbranch_execz .LBB193_12
; %bb.11:                               ;   in Loop: Header=BB193_4 Depth=1
	flat_load_b128 v[2:5], v[36:37]
	s_wait_loadcnt_dscnt 0x0
	ds_store_2addr_b64 v167, v[2:3], v[4:5] offset1:1
.LBB193_12:                             ;   in Loop: Header=BB193_4 Depth=1
	s_wait_xcnt 0x0
	s_or_b32 exec_lo, exec_lo, s19
	s_wait_loadcnt 0x0
	v_add_nc_u64_e32 v[0:1], s[26:27], v[0:1]
	s_and_not1_b32 vcc_lo, exec_lo, s81
	s_mov_b32 s19, -1
	s_delay_alu instid0(VALU_DEP_1) | instskip(NEXT) | instid1(VALU_DEP_1)
	v_add_nc_u64_e32 v[0:1], s[74:75], v[0:1]
	v_lshl_add_u64 v[0:1], v[152:153], 4, v[0:1]
	s_delay_alu instid0(VALU_DEP_1)
	v_lshl_add_u64 v[4:5], s[46:47], 4, v[0:1]
	s_cbranch_vccnz .LBB193_14
; %bb.13:                               ;   in Loop: Header=BB193_4 Depth=1
	flat_load_b128 v[0:3], v[4:5]
	v_lshl_add_u64 v[6:7], s[48:49], 4, v[4:5]
	s_mov_b32 s19, 0
	s_wait_loadcnt_dscnt 0x0
	ds_store_2addr_b64 v168, v[0:1], v[2:3] offset1:1
	flat_load_b128 v[0:3], v[6:7]
	s_wait_xcnt 0x0
	v_add_nc_u64_e32 v[6:7], s[62:63], v[6:7]
	s_wait_loadcnt_dscnt 0x0
	ds_store_2addr_b64 v169, v[0:1], v[2:3] offset1:1
	flat_load_b128 v[0:3], v[6:7]
	s_wait_xcnt 0x0
	v_add_nc_u64_e32 v[6:7], s[62:63], v[6:7]
	s_wait_loadcnt_dscnt 0x0
	ds_store_2addr_b64 v170, v[0:1], v[2:3] offset1:1
	flat_load_b128 v[0:3], v[6:7]
	s_wait_loadcnt_dscnt 0x0
	ds_store_2addr_b64 v171, v[0:1], v[2:3] offset1:1
.LBB193_14:                             ;   in Loop: Header=BB193_4 Depth=1
	s_and_not1_b32 vcc_lo, exec_lo, s19
	s_cbranch_vccnz .LBB193_26
; %bb.15:                               ;   in Loop: Header=BB193_4 Depth=1
	s_wait_xcnt 0x0
	s_and_saveexec_b32 s19, s3
	s_delay_alu instid0(SALU_CYCLE_1)
	s_xor_b32 s19, exec_lo, s19
; %bb.16:                               ;   in Loop: Header=BB193_4 Depth=1
	v_dual_mov_b32 v0, v147 :: v_dual_mov_b32 v1, v147
	v_dual_mov_b32 v2, v147 :: v_dual_mov_b32 v3, v147
	ds_store_b128 v168, v[0:3]
; %bb.17:                               ;   in Loop: Header=BB193_4 Depth=1
	s_or_saveexec_b32 s19, s19
	v_lshl_add_u64 v[0:1], v[154:155], 4, v[4:5]
	s_delay_alu instid0(VALU_DEP_1) | instskip(NEXT) | instid1(VALU_DEP_1)
	v_lshl_add_u64 v[0:1], s[40:41], 4, v[0:1]
	v_add_nc_u64_e32 v[0:1], -16, v[0:1]
	s_delay_alu instid0(VALU_DEP_1)
	v_dual_cndmask_b32 v1, v1, v5, s2 :: v_dual_cndmask_b32 v0, v0, v4, s2
	s_xor_b32 exec_lo, exec_lo, s19
	s_cbranch_execnz .LBB193_87
; %bb.18:                               ;   in Loop: Header=BB193_4 Depth=1
	s_or_b32 exec_lo, exec_lo, s19
	s_and_saveexec_b32 s19, s4
	s_delay_alu instid0(SALU_CYCLE_1)
	s_xor_b32 s19, exec_lo, s19
	s_cbranch_execnz .LBB193_88
.LBB193_19:                             ;   in Loop: Header=BB193_4 Depth=1
	s_and_not1_saveexec_b32 s19, s19
	s_cbranch_execnz .LBB193_89
.LBB193_20:                             ;   in Loop: Header=BB193_4 Depth=1
	s_or_b32 exec_lo, exec_lo, s19
	s_and_saveexec_b32 s19, s5
	s_delay_alu instid0(SALU_CYCLE_1)
	s_xor_b32 s19, exec_lo, s19
	s_cbranch_execnz .LBB193_90
.LBB193_21:                             ;   in Loop: Header=BB193_4 Depth=1
	s_and_not1_saveexec_b32 s19, s19
	s_cbranch_execnz .LBB193_91
.LBB193_22:                             ;   in Loop: Header=BB193_4 Depth=1
	s_or_b32 exec_lo, exec_lo, s19
	s_and_saveexec_b32 s19, s6
	s_delay_alu instid0(SALU_CYCLE_1)
	s_xor_b32 s19, exec_lo, s19
	s_cbranch_execnz .LBB193_92
.LBB193_23:                             ;   in Loop: Header=BB193_4 Depth=1
	s_and_not1_saveexec_b32 s19, s19
	s_cbranch_execz .LBB193_25
.LBB193_24:                             ;   in Loop: Header=BB193_4 Depth=1
	v_lshl_add_u64 v[2:3], s[52:53], 4, v[0:1]
	flat_load_b128 v[6:9], v[2:3]
	s_wait_loadcnt_dscnt 0x0
	ds_store_2addr_b64 v171, v[6:7], v[8:9] offset1:1
.LBB193_25:                             ;   in Loop: Header=BB193_4 Depth=1
	s_wait_xcnt 0x0
	s_or_b32 exec_lo, exec_lo, s19
	v_add_nc_u64_e32 v[0:1], v[0:1], v[146:147]
	s_delay_alu instid0(VALU_DEP_1) | instskip(NEXT) | instid1(VALU_DEP_1)
	v_lshl_add_u64 v[0:1], s[64:65], 4, v[0:1]
	v_add_nc_u64_e32 v[0:1], 16, v[0:1]
	s_delay_alu instid0(VALU_DEP_1)
	v_dual_cndmask_b32 v5, v1, v5, s2 :: v_dual_cndmask_b32 v4, v0, v4, s2
.LBB193_26:                             ;   in Loop: Header=BB193_4 Depth=1
	s_wait_dscnt 0x0
	s_barrier_signal -1
	s_barrier_wait -1
	s_wait_xcnt 0x0
	s_and_saveexec_b32 s19, s7
	s_cbranch_execnz .LBB193_81
; %bb.27:                               ;   in Loop: Header=BB193_4 Depth=1
	s_or_b32 exec_lo, exec_lo, s19
	s_and_saveexec_b32 s19, s8
	s_cbranch_execnz .LBB193_82
.LBB193_28:                             ;   in Loop: Header=BB193_4 Depth=1
	s_or_b32 exec_lo, exec_lo, s19
	s_and_saveexec_b32 s19, s9
	s_cbranch_execnz .LBB193_83
.LBB193_29:                             ;   in Loop: Header=BB193_4 Depth=1
	s_or_b32 exec_lo, exec_lo, s19
	s_and_saveexec_b32 s19, s10
	s_cbranch_execz .LBB193_31
.LBB193_30:                             ;   in Loop: Header=BB193_4 Depth=1
	ds_load_b128 v[0:3], v180
	s_wait_dscnt 0x0
	ds_store_b128 v179, v[0:3]
.LBB193_31:                             ;   in Loop: Header=BB193_4 Depth=1
	s_or_b32 exec_lo, exec_lo, s19
	s_wait_dscnt 0x0
	s_barrier_signal -1
	s_barrier_wait -1
	ds_load_b128 v[0:3], v181
	ds_load_b128 v[6:9], v181 offset:16
	ds_load_b128 v[10:13], v181 offset:32
	;; [unrolled: 1-line block ×3, first 2 shown]
	ds_load_b128 v[18:21], v173
	s_wait_dscnt 0x0
	v_mul_f64_e32 v[22:23], v[2:3], v[20:21]
	v_mul_f64_e32 v[20:21], v[0:1], v[20:21]
	s_delay_alu instid0(VALU_DEP_2) | instskip(NEXT) | instid1(VALU_DEP_2)
	v_fma_f64 v[22:23], v[0:1], v[18:19], -v[22:23]
	v_fmac_f64_e32 v[20:21], v[2:3], v[18:19]
	v_mov_b64_e32 v[0:1], 0
	s_delay_alu instid0(VALU_DEP_3) | instskip(NEXT) | instid1(VALU_DEP_3)
	v_add_f64_e32 v[2:3], 0, v[22:23]
	v_add_f64_e32 v[22:23], 0, v[20:21]
	ds_load_b128 v[18:21], v175
	s_wait_dscnt 0x0
	v_mul_f64_e32 v[24:25], v[8:9], v[20:21]
	s_delay_alu instid0(VALU_DEP_1) | instskip(SKIP_1) | instid1(VALU_DEP_2)
	v_fma_f64 v[24:25], v[6:7], v[18:19], -v[24:25]
	v_mul_f64_e32 v[6:7], v[6:7], v[20:21]
	v_add_f64_e32 v[2:3], v[2:3], v[24:25]
	s_delay_alu instid0(VALU_DEP_2) | instskip(NEXT) | instid1(VALU_DEP_1)
	v_fmac_f64_e32 v[6:7], v[8:9], v[18:19]
	v_add_f64_e32 v[18:19], v[22:23], v[6:7]
	ds_load_b128 v[6:9], v177
	s_wait_dscnt 0x0
	v_mul_f64_e32 v[20:21], v[12:13], v[8:9]
	v_mul_f64_e32 v[8:9], v[10:11], v[8:9]
	s_delay_alu instid0(VALU_DEP_2) | instskip(NEXT) | instid1(VALU_DEP_2)
	v_fma_f64 v[20:21], v[10:11], v[6:7], -v[20:21]
	v_fmac_f64_e32 v[8:9], v[12:13], v[6:7]
	s_delay_alu instid0(VALU_DEP_2) | instskip(NEXT) | instid1(VALU_DEP_2)
	v_add_f64_e32 v[2:3], v[2:3], v[20:21]
	v_add_f64_e32 v[10:11], v[18:19], v[8:9]
	ds_load_b128 v[6:9], v180
	s_wait_dscnt 0x0
	s_barrier_signal -1
	s_barrier_wait -1
	v_mul_f64_e32 v[12:13], v[16:17], v[8:9]
	v_mul_f64_e32 v[8:9], v[14:15], v[8:9]
	s_delay_alu instid0(VALU_DEP_2) | instskip(NEXT) | instid1(VALU_DEP_2)
	v_fma_f64 v[12:13], v[14:15], v[6:7], -v[12:13]
	v_fmac_f64_e32 v[8:9], v[16:17], v[6:7]
	s_delay_alu instid0(VALU_DEP_2) | instskip(NEXT) | instid1(VALU_DEP_2)
	v_add_f64_e32 v[6:7], v[2:3], v[12:13]
	v_add_f64_e32 v[8:9], v[10:11], v[8:9]
	v_mov_b64_e32 v[2:3], 0
	ds_store_b128 v182, v[6:9]
	s_wait_dscnt 0x0
	s_barrier_signal -1
	s_barrier_wait -1
	s_and_saveexec_b32 s19, s11
	s_cbranch_execz .LBB193_33
; %bb.32:                               ;   in Loop: Header=BB193_4 Depth=1
	ds_load_b128 v[0:3], v178
	ds_load_b128 v[6:9], v178 offset:16
	s_wait_dscnt 0x0
	v_add_f64_e32 v[10:11], v[6:7], v[0:1]
	v_add_f64_e32 v[12:13], v[8:9], v[2:3]
	ds_load_b128 v[0:3], v178 offset:32
	ds_load_b128 v[6:9], v178 offset:48
	s_wait_dscnt 0x1
	v_add_f64_e32 v[0:1], v[10:11], v[0:1]
	v_add_f64_e32 v[2:3], v[12:13], v[2:3]
	s_wait_dscnt 0x0
	s_delay_alu instid0(VALU_DEP_2) | instskip(NEXT) | instid1(VALU_DEP_2)
	v_add_f64_e32 v[10:11], v[0:1], v[6:7]
	v_add_f64_e32 v[12:13], v[2:3], v[8:9]
	ds_load_b128 v[0:3], v178 offset:64
	ds_load_b128 v[6:9], v178 offset:80
	s_wait_dscnt 0x1
	v_add_f64_e32 v[0:1], v[10:11], v[0:1]
	v_add_f64_e32 v[2:3], v[12:13], v[2:3]
	s_wait_dscnt 0x0
	s_delay_alu instid0(VALU_DEP_2) | instskip(NEXT) | instid1(VALU_DEP_2)
	;; [unrolled: 9-line block ×3, first 2 shown]
	v_add_f64_e32 v[0:1], v[0:1], v[6:7]
	v_add_f64_e32 v[2:3], v[2:3], v[8:9]
.LBB193_33:                             ;   in Loop: Header=BB193_4 Depth=1
	s_or_b32 exec_lo, exec_lo, s19
	v_lshl_add_u64 v[6:7], s[54:55], 4, v[4:5]
	s_and_not1_b32 vcc_lo, exec_lo, s81
	s_mov_b32 s19, -1
	s_barrier_signal -1
	s_delay_alu instid0(VALU_DEP_1)
	v_add_nc_u64_e32 v[4:5], 0x200, v[6:7]
	s_barrier_wait -1
	s_cbranch_vccnz .LBB193_35
; %bb.34:                               ;   in Loop: Header=BB193_4 Depth=1
	flat_load_b128 v[8:11], v[4:5]
	v_lshl_add_u64 v[12:13], s[48:49], 4, v[6:7]
	s_mov_b32 s19, 0
	s_wait_loadcnt_dscnt 0x0
	ds_store_2addr_b64 v168, v[8:9], v[10:11] offset1:1
	flat_load_b128 v[8:11], v[12:13] offset:512
	s_wait_xcnt 0x0
	v_add_nc_u64_e32 v[12:13], s[62:63], v[12:13]
	s_wait_loadcnt_dscnt 0x0
	ds_store_2addr_b64 v169, v[8:9], v[10:11] offset1:1
	flat_load_b128 v[8:11], v[12:13] offset:512
	s_wait_xcnt 0x0
	v_add_nc_u64_e32 v[12:13], s[62:63], v[12:13]
	s_wait_loadcnt_dscnt 0x0
	ds_store_2addr_b64 v170, v[8:9], v[10:11] offset1:1
	flat_load_b128 v[8:11], v[12:13] offset:512
	s_wait_loadcnt_dscnt 0x0
	ds_store_2addr_b64 v171, v[8:9], v[10:11] offset1:1
.LBB193_35:                             ;   in Loop: Header=BB193_4 Depth=1
	s_and_not1_b32 vcc_lo, exec_lo, s19
	s_cbranch_vccnz .LBB193_47
; %bb.36:                               ;   in Loop: Header=BB193_4 Depth=1
	s_wait_xcnt 0x0
	s_and_saveexec_b32 s19, s13
	s_delay_alu instid0(SALU_CYCLE_1)
	s_xor_b32 s19, exec_lo, s19
; %bb.37:                               ;   in Loop: Header=BB193_4 Depth=1
	v_dual_mov_b32 v8, v147 :: v_dual_mov_b32 v9, v147
	v_dual_mov_b32 v10, v147 :: v_dual_mov_b32 v11, v147
	ds_store_b128 v168, v[8:11]
; %bb.38:                               ;   in Loop: Header=BB193_4 Depth=1
	s_or_saveexec_b32 s19, s19
	v_lshl_add_u64 v[6:7], v[154:155], 4, v[6:7]
	s_delay_alu instid0(VALU_DEP_1) | instskip(NEXT) | instid1(VALU_DEP_1)
	v_lshl_add_u64 v[6:7], s[40:41], 4, v[6:7]
	v_add_nc_u64_e32 v[6:7], -16, v[6:7]
	s_delay_alu instid0(VALU_DEP_1)
	v_dual_cndmask_b32 v7, v7, v5, s12 :: v_dual_cndmask_b32 v6, v6, v4, s12
	s_xor_b32 exec_lo, exec_lo, s19
	s_cbranch_execnz .LBB193_93
; %bb.39:                               ;   in Loop: Header=BB193_4 Depth=1
	s_or_b32 exec_lo, exec_lo, s19
	s_and_saveexec_b32 s19, s14
	s_delay_alu instid0(SALU_CYCLE_1)
	s_xor_b32 s19, exec_lo, s19
	s_cbranch_execnz .LBB193_94
.LBB193_40:                             ;   in Loop: Header=BB193_4 Depth=1
	s_and_not1_saveexec_b32 s19, s19
	s_cbranch_execnz .LBB193_95
.LBB193_41:                             ;   in Loop: Header=BB193_4 Depth=1
	s_or_b32 exec_lo, exec_lo, s19
	s_and_saveexec_b32 s19, s15
	s_delay_alu instid0(SALU_CYCLE_1)
	s_xor_b32 s19, exec_lo, s19
	s_cbranch_execnz .LBB193_96
.LBB193_42:                             ;   in Loop: Header=BB193_4 Depth=1
	s_and_not1_saveexec_b32 s19, s19
	s_cbranch_execnz .LBB193_97
.LBB193_43:                             ;   in Loop: Header=BB193_4 Depth=1
	s_or_b32 exec_lo, exec_lo, s19
	s_and_saveexec_b32 s19, s16
	s_delay_alu instid0(SALU_CYCLE_1)
	s_xor_b32 s19, exec_lo, s19
	s_cbranch_execnz .LBB193_98
.LBB193_44:                             ;   in Loop: Header=BB193_4 Depth=1
	s_and_not1_saveexec_b32 s19, s19
	s_cbranch_execz .LBB193_46
.LBB193_45:                             ;   in Loop: Header=BB193_4 Depth=1
	v_lshl_add_u64 v[8:9], s[52:53], 4, v[6:7]
	flat_load_b128 v[8:11], v[8:9]
	s_wait_loadcnt_dscnt 0x0
	ds_store_2addr_b64 v171, v[8:9], v[10:11] offset1:1
.LBB193_46:                             ;   in Loop: Header=BB193_4 Depth=1
	s_wait_xcnt 0x0
	s_or_b32 exec_lo, exec_lo, s19
	v_add_nc_u64_e32 v[6:7], v[6:7], v[146:147]
	s_delay_alu instid0(VALU_DEP_1) | instskip(NEXT) | instid1(VALU_DEP_1)
	v_lshl_add_u64 v[6:7], s[64:65], 4, v[6:7]
	v_add_nc_u64_e32 v[6:7], 0x210, v[6:7]
	s_delay_alu instid0(VALU_DEP_1)
	v_dual_cndmask_b32 v5, v7, v5, s12 :: v_dual_cndmask_b32 v4, v6, v4, s12
.LBB193_47:                             ;   in Loop: Header=BB193_4 Depth=1
	s_wait_dscnt 0x0
	s_barrier_signal -1
	s_barrier_wait -1
	s_wait_xcnt 0x0
	s_and_saveexec_b32 s19, s7
	s_cbranch_execnz .LBB193_84
; %bb.48:                               ;   in Loop: Header=BB193_4 Depth=1
	s_or_b32 exec_lo, exec_lo, s19
	s_and_saveexec_b32 s19, s8
	s_cbranch_execnz .LBB193_85
.LBB193_49:                             ;   in Loop: Header=BB193_4 Depth=1
	s_or_b32 exec_lo, exec_lo, s19
	s_and_saveexec_b32 s19, s9
	s_cbranch_execnz .LBB193_86
.LBB193_50:                             ;   in Loop: Header=BB193_4 Depth=1
	s_or_b32 exec_lo, exec_lo, s19
	s_and_saveexec_b32 s19, s10
	s_cbranch_execz .LBB193_52
.LBB193_51:                             ;   in Loop: Header=BB193_4 Depth=1
	ds_load_b128 v[6:9], v180
	s_wait_dscnt 0x0
	ds_store_b128 v186, v[6:9]
.LBB193_52:                             ;   in Loop: Header=BB193_4 Depth=1
	s_or_b32 exec_lo, exec_lo, s19
	s_wait_dscnt 0x0
	s_barrier_signal -1
	s_barrier_wait -1
	ds_load_b128 v[6:9], v173
	ds_load_b128 v[10:13], v181 offset:512
	ds_load_b128 v[14:17], v181 offset:528
	ds_load_b128 v[18:21], v175
	s_wait_dscnt 0x2
	v_mul_f64_e32 v[22:23], v[12:13], v[8:9]
	v_mul_f64_e32 v[28:29], v[10:11], v[8:9]
	s_wait_dscnt 0x0
	v_mul_f64_e32 v[30:31], v[16:17], v[20:21]
	v_mul_f64_e32 v[32:33], v[14:15], v[20:21]
	s_delay_alu instid0(VALU_DEP_4) | instskip(NEXT) | instid1(VALU_DEP_4)
	v_fma_f64 v[34:35], v[10:11], v[6:7], -v[22:23]
	v_fmac_f64_e32 v[28:29], v[12:13], v[6:7]
	ds_load_b128 v[6:9], v177
	ds_load_b128 v[10:13], v181 offset:544
	ds_load_b128 v[20:23], v181 offset:560
	ds_load_b128 v[24:27], v180
	v_fma_f64 v[14:15], v[14:15], v[18:19], -v[30:31]
	v_fmac_f64_e32 v[32:33], v[16:17], v[18:19]
	s_wait_dscnt 0x0
	s_barrier_signal -1
	s_barrier_wait -1
	v_mul_f64_e32 v[38:39], v[12:13], v[8:9]
	v_mul_f64_e32 v[8:9], v[10:11], v[8:9]
	v_add_f64_e32 v[16:17], 0, v[34:35]
	v_add_f64_e32 v[18:19], 0, v[28:29]
	v_mul_f64_e32 v[28:29], v[22:23], v[26:27]
	v_mul_f64_e32 v[26:27], v[20:21], v[26:27]
	v_fma_f64 v[10:11], v[10:11], v[6:7], -v[38:39]
	v_fmac_f64_e32 v[8:9], v[12:13], v[6:7]
	v_add_f64_e32 v[6:7], v[16:17], v[14:15]
	v_add_f64_e32 v[12:13], v[18:19], v[32:33]
	v_fma_f64 v[14:15], v[20:21], v[24:25], -v[28:29]
	v_fmac_f64_e32 v[26:27], v[22:23], v[24:25]
	s_delay_alu instid0(VALU_DEP_4) | instskip(NEXT) | instid1(VALU_DEP_4)
	v_add_f64_e32 v[6:7], v[6:7], v[10:11]
	v_add_f64_e32 v[8:9], v[12:13], v[8:9]
	s_delay_alu instid0(VALU_DEP_2) | instskip(NEXT) | instid1(VALU_DEP_2)
	v_add_f64_e32 v[6:7], v[6:7], v[14:15]
	v_add_f64_e32 v[8:9], v[8:9], v[26:27]
	ds_store_b128 v182, v[6:9]
	s_wait_dscnt 0x0
	s_barrier_signal -1
	s_barrier_wait -1
	s_and_saveexec_b32 s19, s17
	s_cbranch_execz .LBB193_54
; %bb.53:                               ;   in Loop: Header=BB193_4 Depth=1
	ds_load_b128 v[0:3], v178
	ds_load_b128 v[6:9], v178 offset:16
	s_wait_dscnt 0x0
	v_add_f64_e32 v[10:11], v[6:7], v[0:1]
	v_add_f64_e32 v[12:13], v[8:9], v[2:3]
	ds_load_b128 v[0:3], v178 offset:32
	ds_load_b128 v[6:9], v178 offset:48
	s_wait_dscnt 0x1
	v_add_f64_e32 v[0:1], v[10:11], v[0:1]
	v_add_f64_e32 v[2:3], v[12:13], v[2:3]
	s_wait_dscnt 0x0
	s_delay_alu instid0(VALU_DEP_2) | instskip(NEXT) | instid1(VALU_DEP_2)
	v_add_f64_e32 v[10:11], v[0:1], v[6:7]
	v_add_f64_e32 v[12:13], v[2:3], v[8:9]
	ds_load_b128 v[0:3], v178 offset:64
	ds_load_b128 v[6:9], v178 offset:80
	s_wait_dscnt 0x1
	v_add_f64_e32 v[0:1], v[10:11], v[0:1]
	v_add_f64_e32 v[2:3], v[12:13], v[2:3]
	s_wait_dscnt 0x0
	s_delay_alu instid0(VALU_DEP_2) | instskip(NEXT) | instid1(VALU_DEP_2)
	;; [unrolled: 9-line block ×3, first 2 shown]
	v_add_f64_e32 v[0:1], v[0:1], v[6:7]
	v_add_f64_e32 v[2:3], v[2:3], v[8:9]
.LBB193_54:                             ;   in Loop: Header=BB193_4 Depth=1
	s_or_b32 exec_lo, exec_lo, s19
	v_lshl_add_u64 v[38:39], s[56:57], 4, v[4:5]
	s_and_not1_b32 vcc_lo, exec_lo, s81
	s_mov_b32 s19, -1
	s_barrier_signal -1
	s_barrier_wait -1
	s_cbranch_vccnz .LBB193_56
; %bb.55:                               ;   in Loop: Header=BB193_4 Depth=1
	flat_load_b128 v[4:7], v[38:39]
	v_lshl_add_u64 v[8:9], s[48:49], 4, v[38:39]
	s_mov_b32 s19, 0
	s_wait_loadcnt_dscnt 0x0
	ds_store_2addr_b64 v168, v[4:5], v[6:7] offset1:1
	flat_load_b128 v[4:7], v[8:9]
	s_wait_xcnt 0x0
	v_add_nc_u64_e32 v[8:9], s[62:63], v[8:9]
	s_wait_loadcnt_dscnt 0x0
	ds_store_2addr_b64 v169, v[4:5], v[6:7] offset1:1
	flat_load_b128 v[4:7], v[8:9]
	s_wait_xcnt 0x0
	v_add_nc_u64_e32 v[8:9], s[62:63], v[8:9]
	s_wait_loadcnt_dscnt 0x0
	ds_store_2addr_b64 v170, v[4:5], v[6:7] offset1:1
	flat_load_b128 v[4:7], v[8:9]
	s_wait_loadcnt_dscnt 0x0
	ds_store_2addr_b64 v171, v[4:5], v[6:7] offset1:1
.LBB193_56:                             ;   in Loop: Header=BB193_4 Depth=1
	s_and_not1_b32 vcc_lo, exec_lo, s19
	s_cbranch_vccnz .LBB193_68
; %bb.57:                               ;   in Loop: Header=BB193_4 Depth=1
	s_wait_xcnt 0x0
	s_and_saveexec_b32 s19, s3
	s_delay_alu instid0(SALU_CYCLE_1)
	s_xor_b32 s19, exec_lo, s19
; %bb.58:                               ;   in Loop: Header=BB193_4 Depth=1
	v_dual_mov_b32 v4, v147 :: v_dual_mov_b32 v5, v147
	v_dual_mov_b32 v6, v147 :: v_dual_mov_b32 v7, v147
	ds_store_b128 v168, v[4:7]
; %bb.59:                               ;   in Loop: Header=BB193_4 Depth=1
	s_or_saveexec_b32 s19, s19
	v_lshl_add_u64 v[4:5], v[154:155], 4, v[38:39]
	s_delay_alu instid0(VALU_DEP_1) | instskip(NEXT) | instid1(VALU_DEP_1)
	v_lshl_add_u64 v[4:5], s[40:41], 4, v[4:5]
	v_add_nc_u64_e32 v[4:5], s[70:71], v[4:5]
	s_delay_alu instid0(VALU_DEP_1)
	v_dual_cndmask_b32 v5, v5, v39, s12 :: v_dual_cndmask_b32 v4, v4, v38, s12
	s_xor_b32 exec_lo, exec_lo, s19
	s_cbranch_execnz .LBB193_99
; %bb.60:                               ;   in Loop: Header=BB193_4 Depth=1
	s_or_b32 exec_lo, exec_lo, s19
	s_and_saveexec_b32 s19, s4
	s_delay_alu instid0(SALU_CYCLE_1)
	s_xor_b32 s19, exec_lo, s19
	s_cbranch_execnz .LBB193_100
.LBB193_61:                             ;   in Loop: Header=BB193_4 Depth=1
	s_and_not1_saveexec_b32 s19, s19
	s_cbranch_execnz .LBB193_101
.LBB193_62:                             ;   in Loop: Header=BB193_4 Depth=1
	s_or_b32 exec_lo, exec_lo, s19
	s_and_saveexec_b32 s19, s5
	s_delay_alu instid0(SALU_CYCLE_1)
	s_xor_b32 s19, exec_lo, s19
	s_cbranch_execnz .LBB193_102
.LBB193_63:                             ;   in Loop: Header=BB193_4 Depth=1
	s_and_not1_saveexec_b32 s19, s19
	s_cbranch_execnz .LBB193_103
.LBB193_64:                             ;   in Loop: Header=BB193_4 Depth=1
	s_or_b32 exec_lo, exec_lo, s19
	s_and_saveexec_b32 s19, s6
	s_delay_alu instid0(SALU_CYCLE_1)
	s_xor_b32 s19, exec_lo, s19
	s_cbranch_execnz .LBB193_104
.LBB193_65:                             ;   in Loop: Header=BB193_4 Depth=1
	s_and_not1_saveexec_b32 s19, s19
	s_cbranch_execz .LBB193_67
.LBB193_66:                             ;   in Loop: Header=BB193_4 Depth=1
	v_lshl_add_u64 v[6:7], s[52:53], 4, v[4:5]
	flat_load_b128 v[6:9], v[6:7]
	s_wait_loadcnt_dscnt 0x0
	ds_store_2addr_b64 v171, v[6:7], v[8:9] offset1:1
.LBB193_67:                             ;   in Loop: Header=BB193_4 Depth=1
	s_wait_xcnt 0x0
	s_or_b32 exec_lo, exec_lo, s19
	v_add_nc_u64_e32 v[4:5], v[4:5], v[146:147]
	s_delay_alu instid0(VALU_DEP_1) | instskip(NEXT) | instid1(VALU_DEP_1)
	v_lshl_add_u64 v[4:5], s[64:65], 4, v[4:5]
	v_add_nc_u64_e32 v[4:5], 0x210, v[4:5]
	s_delay_alu instid0(VALU_DEP_1)
	v_dual_cndmask_b32 v39, v5, v39, s12 :: v_dual_cndmask_b32 v38, v4, v38, s12
.LBB193_68:                             ;   in Loop: Header=BB193_4 Depth=1
	s_wait_dscnt 0x0
	s_barrier_signal -1
	s_barrier_wait -1
	ds_load_b128 v[4:7], v195
	s_wait_xcnt 0x0
	ds_load_b128 v[8:11], v168
	ds_load_b128 v[12:15], v169
	ds_load_b128 v[16:19], v194 offset:384
	ds_load_b128 v[20:23], v194 offset:128
	;; [unrolled: 1-line block ×3, first 2 shown]
	s_wait_dscnt 0x4
	v_mul_f64_e32 v[28:29], v[6:7], v[10:11]
	v_mul_f64_e32 v[30:31], v[4:5], v[10:11]
	s_wait_dscnt 0x1
	v_mul_f64_e32 v[32:33], v[22:23], v[14:15]
	v_mul_f64_e32 v[14:15], v[20:21], v[14:15]
	s_delay_alu instid0(VALU_DEP_4) | instskip(NEXT) | instid1(VALU_DEP_4)
	v_fma_f64 v[28:29], v[4:5], v[8:9], -v[28:29]
	v_fmac_f64_e32 v[30:31], v[6:7], v[8:9]
	ds_load_b128 v[4:7], v170
	ds_load_b128 v[8:11], v171
	v_fma_f64 v[20:21], v[20:21], v[12:13], -v[32:33]
	v_fmac_f64_e32 v[14:15], v[22:23], v[12:13]
	s_wait_dscnt 0x1
	v_mul_f64_e32 v[34:35], v[26:27], v[6:7]
	v_mul_f64_e32 v[6:7], v[24:25], v[6:7]
	v_add_f64_e32 v[12:13], 0, v[28:29]
	v_add_f64_e32 v[22:23], 0, v[30:31]
	s_wait_dscnt 0x0
	v_mul_f64_e32 v[28:29], v[18:19], v[10:11]
	v_mul_f64_e32 v[10:11], v[16:17], v[10:11]
	v_fma_f64 v[24:25], v[24:25], v[4:5], -v[34:35]
	v_fmac_f64_e32 v[6:7], v[26:27], v[4:5]
	v_add_f64_e32 v[4:5], v[12:13], v[20:21]
	v_add_f64_e32 v[12:13], v[22:23], v[14:15]
	v_fma_f64 v[14:15], v[16:17], v[8:9], -v[28:29]
	v_fmac_f64_e32 v[10:11], v[18:19], v[8:9]
	s_delay_alu instid0(VALU_DEP_4) | instskip(NEXT) | instid1(VALU_DEP_4)
	v_add_f64_e32 v[4:5], v[4:5], v[24:25]
	v_add_f64_e32 v[6:7], v[12:13], v[6:7]
	s_delay_alu instid0(VALU_DEP_2) | instskip(NEXT) | instid1(VALU_DEP_2)
	v_add_f64_e32 v[40:41], v[4:5], v[14:15]
	v_add_f64_e32 v[42:43], v[6:7], v[10:11]
	ds_load_b128 v[28:31], v187
	ds_load_b128 v[20:23], v187 offset:16
	ds_load_b128 v[8:11], v187 offset:32
	;; [unrolled: 1-line block ×7, first 2 shown]
	s_wait_dscnt 0x0
	s_barrier_signal -1
	s_barrier_wait -1
	ds_store_b128 v182, v[40:43]
	s_wait_dscnt 0x0
	s_barrier_signal -1
	s_barrier_wait -1
	s_and_saveexec_b32 s19, s17
	s_cbranch_execz .LBB193_70
; %bb.69:                               ;   in Loop: Header=BB193_4 Depth=1
	ds_load_b128 v[40:43], v178
	ds_load_b128 v[44:47], v178 offset:16
	s_wait_dscnt 0x1
	v_add_f64_e32 v[0:1], v[0:1], v[40:41]
	v_add_f64_e32 v[2:3], v[2:3], v[42:43]
	s_wait_dscnt 0x0
	s_delay_alu instid0(VALU_DEP_2) | instskip(NEXT) | instid1(VALU_DEP_2)
	v_add_f64_e32 v[44:45], v[0:1], v[44:45]
	v_add_f64_e32 v[46:47], v[2:3], v[46:47]
	ds_load_b128 v[0:3], v178 offset:32
	ds_load_b128 v[40:43], v178 offset:48
	s_wait_dscnt 0x1
	v_add_f64_e32 v[0:1], v[44:45], v[0:1]
	v_add_f64_e32 v[2:3], v[46:47], v[2:3]
	s_wait_dscnt 0x0
	s_delay_alu instid0(VALU_DEP_2) | instskip(NEXT) | instid1(VALU_DEP_2)
	v_add_f64_e32 v[44:45], v[0:1], v[40:41]
	v_add_f64_e32 v[46:47], v[2:3], v[42:43]
	ds_load_b128 v[0:3], v178 offset:64
	;; [unrolled: 9-line block ×3, first 2 shown]
	ds_load_b128 v[40:43], v178 offset:112
	s_wait_dscnt 0x1
	v_add_f64_e32 v[0:1], v[44:45], v[0:1]
	v_add_f64_e32 v[2:3], v[46:47], v[2:3]
	s_wait_dscnt 0x0
	s_delay_alu instid0(VALU_DEP_2) | instskip(NEXT) | instid1(VALU_DEP_2)
	v_add_f64_e32 v[0:1], v[0:1], v[40:41]
	v_add_f64_e32 v[2:3], v[2:3], v[42:43]
.LBB193_70:                             ;   in Loop: Header=BB193_4 Depth=1
	s_or_b32 exec_lo, exec_lo, s19
	v_mul_f64_e32 v[40:41], v[30:31], v[34:35]
	v_mul_f64_e32 v[34:35], v[28:29], v[34:35]
	;; [unrolled: 1-line block ×4, first 2 shown]
	s_barrier_signal -1
	s_barrier_wait -1
	s_delay_alu instid0(VALU_DEP_4) | instskip(NEXT) | instid1(VALU_DEP_4)
	v_fma_f64 v[28:29], v[28:29], v[32:33], -v[40:41]
	v_fmac_f64_e32 v[34:35], v[30:31], v[32:33]
	v_mul_f64_e32 v[30:31], v[10:11], v[18:19]
	v_mul_f64_e32 v[18:19], v[8:9], v[18:19]
	v_fma_f64 v[20:21], v[20:21], v[24:25], -v[42:43]
	v_fmac_f64_e32 v[26:27], v[22:23], v[24:25]
	v_add_f64_e32 v[22:23], 0, v[28:29]
	v_add_f64_e32 v[24:25], 0, v[34:35]
	v_mul_f64_e32 v[28:29], v[6:7], v[14:15]
	v_mul_f64_e32 v[14:15], v[4:5], v[14:15]
	v_fma_f64 v[8:9], v[8:9], v[16:17], -v[30:31]
	v_fmac_f64_e32 v[18:19], v[10:11], v[16:17]
	v_add_f64_e32 v[10:11], v[22:23], v[20:21]
	v_add_f64_e32 v[16:17], v[24:25], v[26:27]
	v_fma_f64 v[4:5], v[4:5], v[12:13], -v[28:29]
	v_fmac_f64_e32 v[14:15], v[6:7], v[12:13]
	s_delay_alu instid0(VALU_DEP_4) | instskip(NEXT) | instid1(VALU_DEP_4)
	v_add_f64_e32 v[6:7], v[10:11], v[8:9]
	v_add_f64_e32 v[8:9], v[16:17], v[18:19]
	s_delay_alu instid0(VALU_DEP_2) | instskip(NEXT) | instid1(VALU_DEP_2)
	v_add_f64_e32 v[4:5], v[6:7], v[4:5]
	v_add_f64_e32 v[6:7], v[8:9], v[14:15]
	ds_store_b128 v182, v[4:7]
	s_wait_dscnt 0x0
	s_barrier_signal -1
	s_barrier_wait -1
	s_and_saveexec_b32 s19, s11
	s_cbranch_execz .LBB193_72
; %bb.71:                               ;   in Loop: Header=BB193_4 Depth=1
	ds_load_b128 v[4:7], v178
	ds_load_b128 v[8:11], v178 offset:16
	s_wait_dscnt 0x1
	v_add_f64_e32 v[0:1], v[0:1], v[4:5]
	v_add_f64_e32 v[2:3], v[2:3], v[6:7]
	s_wait_dscnt 0x0
	s_delay_alu instid0(VALU_DEP_2) | instskip(NEXT) | instid1(VALU_DEP_2)
	v_add_f64_e32 v[8:9], v[0:1], v[8:9]
	v_add_f64_e32 v[10:11], v[2:3], v[10:11]
	ds_load_b128 v[0:3], v178 offset:32
	ds_load_b128 v[4:7], v178 offset:48
	s_wait_dscnt 0x1
	v_add_f64_e32 v[0:1], v[8:9], v[0:1]
	v_add_f64_e32 v[2:3], v[10:11], v[2:3]
	s_wait_dscnt 0x0
	s_delay_alu instid0(VALU_DEP_2) | instskip(NEXT) | instid1(VALU_DEP_2)
	v_add_f64_e32 v[8:9], v[0:1], v[4:5]
	v_add_f64_e32 v[10:11], v[2:3], v[6:7]
	ds_load_b128 v[0:3], v178 offset:64
	;; [unrolled: 9-line block ×3, first 2 shown]
	ds_load_b128 v[4:7], v178 offset:112
	s_wait_dscnt 0x1
	v_add_f64_e32 v[0:1], v[8:9], v[0:1]
	v_add_f64_e32 v[2:3], v[10:11], v[2:3]
	s_wait_dscnt 0x0
	s_delay_alu instid0(VALU_DEP_2) | instskip(NEXT) | instid1(VALU_DEP_2)
	v_add_f64_e32 v[0:1], v[0:1], v[4:5]
	v_add_f64_e32 v[2:3], v[2:3], v[6:7]
.LBB193_72:                             ;   in Loop: Header=BB193_4 Depth=1
	s_or_b32 exec_lo, exec_lo, s19
	s_mul_u64 s[76:77], s[42:43], s[34:35]
	s_and_not1_b32 vcc_lo, exec_lo, s82
	s_lshl_b64 s[76:77], s[76:77], 4
	s_delay_alu instid0(SALU_CYCLE_1)
	s_add_nc_u64 s[76:77], s[44:45], s[76:77]
	s_barrier_signal -1
	s_barrier_wait -1
	s_cbranch_vccnz .LBB193_79
; %bb.73:                               ;   in Loop: Header=BB193_4 Depth=1
	v_lshl_add_u64 v[4:5], s[60:61], 4, v[38:39]
	v_lshl_add_u64 v[162:163], s[58:59], 4, v[36:37]
	v_mov_b32_e32 v197, v144
	s_mov_b32 s78, 0
	s_mov_b32 s19, s80
	v_lshl_add_u64 v[4:5], v[158:159], 4, v[4:5]
	s_delay_alu instid0(VALU_DEP_1) | instskip(NEXT) | instid1(VALU_DEP_1)
	v_lshl_add_u64 v[4:5], v[156:157], 4, v[4:5]
	v_lshl_add_u64 v[6:7], v[160:161], 4, v[4:5]
	v_add_nc_u64_e32 v[4:5], s[72:73], v[4:5]
	s_delay_alu instid0(VALU_DEP_2) | instskip(NEXT) | instid1(VALU_DEP_1)
	v_lshl_add_u64 v[6:7], s[40:41], 4, v[6:7]
	v_add_nc_u64_e32 v[6:7], s[70:71], v[6:7]
	s_delay_alu instid0(VALU_DEP_1)
	v_dual_cndmask_b32 v5, v5, v7, s1 :: v_dual_cndmask_b32 v4, v4, v6, s1
	s_branch .LBB193_75
.LBB193_74:                             ;   in Loop: Header=BB193_75 Depth=2
	s_wait_xcnt 0x0
	s_or_b32 exec_lo, exec_lo, s79
	v_dual_mul_f64 v[84:85], v[18:19], v[42:43] :: v_dual_add_nc_u32 v197, 64, v197
	v_mul_f64_e32 v[42:43], v[16:17], v[42:43]
	v_mul_f64_e32 v[86:87], v[14:15], v[50:51]
	;; [unrolled: 1-line block ×3, first 2 shown]
	s_add_co_i32 s19, s19, -1
	s_add_co_i32 s78, s78, s83
	s_cmp_eq_u32 s19, 0
	s_wait_storecnt 0x0
	s_barrier_signal -1
	s_barrier_wait -1
	s_delay_alu instid0(VALU_DEP_4) | instskip(NEXT) | instid1(VALU_DEP_4)
	v_fma_f64 v[16:17], v[16:17], v[40:41], -v[84:85]
	v_fmac_f64_e32 v[42:43], v[18:19], v[40:41]
	v_mul_f64_e32 v[18:19], v[10:11], v[46:47]
	v_mul_f64_e32 v[40:41], v[8:9], v[46:47]
	v_fma_f64 v[12:13], v[12:13], v[48:49], -v[86:87]
	v_fmac_f64_e32 v[50:51], v[14:15], v[48:49]
	v_mul_f64_e32 v[14:15], v[6:7], v[38:39]
	v_add_f64_e32 v[0:1], v[0:1], v[16:17]
	v_mul_f64_e32 v[16:17], v[4:5], v[38:39]
	v_add_f64_e32 v[2:3], v[2:3], v[42:43]
	v_fma_f64 v[8:9], v[8:9], v[44:45], -v[18:19]
	v_fmac_f64_e32 v[40:41], v[10:11], v[44:45]
	v_mul_f64_e32 v[10:11], v[34:35], v[74:75]
	v_fma_f64 v[4:5], v[4:5], v[36:37], -v[14:15]
	v_mul_f64_e32 v[14:15], v[24:25], v[78:79]
	v_add_f64_e32 v[0:1], v[0:1], v[12:13]
	v_mul_f64_e32 v[12:13], v[32:33], v[74:75]
	v_add_f64_e32 v[2:3], v[2:3], v[50:51]
	v_fmac_f64_e32 v[16:17], v[6:7], v[36:37]
	v_mul_f64_e32 v[6:7], v[30:31], v[82:83]
	v_fma_f64 v[10:11], v[32:33], v[72:73], -v[10:11]
	v_fmac_f64_e32 v[14:15], v[26:27], v[76:77]
	v_add_f64_e32 v[0:1], v[0:1], v[8:9]
	v_mul_f64_e32 v[8:9], v[28:29], v[82:83]
	v_add_f64_e32 v[2:3], v[2:3], v[40:41]
	v_fmac_f64_e32 v[12:13], v[34:35], v[72:73]
	v_fma_f64 v[6:7], v[28:29], v[80:81], -v[6:7]
	v_add_f64_e32 v[0:1], v[0:1], v[4:5]
	v_mul_f64_e32 v[4:5], v[26:27], v[78:79]
	v_add_f64_e32 v[2:3], v[2:3], v[16:17]
	v_fmac_f64_e32 v[8:9], v[30:31], v[80:81]
	s_delay_alu instid0(VALU_DEP_4) | instskip(SKIP_1) | instid1(VALU_DEP_4)
	v_add_f64_e32 v[0:1], v[0:1], v[10:11]
	v_mul_f64_e32 v[10:11], v[22:23], v[70:71]
	v_add_f64_e32 v[2:3], v[2:3], v[12:13]
	v_mul_f64_e32 v[12:13], v[20:21], v[70:71]
	v_fma_f64 v[4:5], v[24:25], v[76:77], -v[4:5]
	v_add_f64_e32 v[0:1], v[0:1], v[6:7]
	v_mul_f64_e32 v[6:7], v[66:67], v[118:119]
	v_add_f64_e32 v[2:3], v[2:3], v[8:9]
	v_mul_f64_e32 v[8:9], v[64:65], v[118:119]
	v_fma_f64 v[10:11], v[20:21], v[68:69], -v[10:11]
	v_fmac_f64_e32 v[12:13], v[22:23], v[68:69]
	v_add_f64_e32 v[0:1], v[0:1], v[4:5]
	v_mul_f64_e32 v[4:5], v[62:63], v[126:127]
	v_add_f64_e32 v[2:3], v[2:3], v[14:15]
	v_mul_f64_e32 v[14:15], v[60:61], v[126:127]
	v_fma_f64 v[6:7], v[64:65], v[116:117], -v[6:7]
	v_fmac_f64_e32 v[8:9], v[66:67], v[116:117]
	;; [unrolled: 6-line block ×8, first 2 shown]
	v_add_f64_e32 v[0:1], v[0:1], v[10:11]
	v_fma_f64 v[4:5], v[92:93], v[132:133], -v[4:5]
	v_add_f64_e32 v[2:3], v[2:3], v[12:13]
	v_fmac_f64_e32 v[14:15], v[94:95], v[132:133]
	s_delay_alu instid0(VALU_DEP_4) | instskip(NEXT) | instid1(VALU_DEP_3)
	v_add_f64_e32 v[0:1], v[0:1], v[6:7]
	v_add_f64_e32 v[2:3], v[2:3], v[8:9]
	s_delay_alu instid0(VALU_DEP_2) | instskip(SKIP_1) | instid1(VALU_DEP_3)
	v_add_f64_e32 v[0:1], v[0:1], v[4:5]
	v_add_nc_u64_e32 v[4:5], s[68:69], v[164:165]
	v_add_f64_e32 v[2:3], v[2:3], v[14:15]
	s_cbranch_scc1 .LBB193_79
.LBB193_75:                             ;   Parent Loop BB193_4 Depth=1
                                        ; =>  This Inner Loop Header: Depth=2
	s_and_saveexec_b32 s85, s0
	s_cbranch_execz .LBB193_77
; %bb.76:                               ;   in Loop: Header=BB193_75 Depth=2
	s_ashr_i32 s79, s78, 31
	s_delay_alu instid0(SALU_CYCLE_1)
	v_lshl_add_u64 v[6:7], s[78:79], 4, v[162:163]
	flat_load_b128 v[6:9], v[6:7]
	s_wait_loadcnt_dscnt 0x0
	ds_store_2addr_b64 v145, v[6:7], v[8:9] offset1:1
.LBB193_77:                             ;   in Loop: Header=BB193_75 Depth=2
	s_wait_xcnt 0x0
	s_or_b32 exec_lo, exec_lo, s85
	v_add_nc_u64_e32 v[6:7], s[66:67], v[4:5]
	s_wait_dscnt 0x0
	s_barrier_signal -1
	s_barrier_wait -1
	s_delay_alu instid0(VALU_DEP_1) | instskip(NEXT) | instid1(VALU_DEP_1)
	v_add_nc_u64_e32 v[8:9], s[66:67], v[6:7]
	v_add_nc_u64_e32 v[34:35], s[66:67], v[8:9]
	s_clause 0x3
	flat_load_b128 v[16:19], v[4:5]
	flat_load_b128 v[12:15], v[6:7]
	;; [unrolled: 1-line block ×4, first 2 shown]
	ds_load_b128 v[20:23], v167
	ds_load_b128 v[40:43], v188
	s_wait_loadcnt_dscnt 0x301
	v_mul_f64_e32 v[26:27], v[18:19], v[22:23]
	v_mul_f64_e32 v[24:25], v[16:17], v[22:23]
	s_wait_loadcnt 0x2
	v_mul_f64_e32 v[30:31], v[14:15], v[22:23]
	v_mul_f64_e32 v[28:29], v[12:13], v[22:23]
	s_wait_loadcnt 0x1
	;; [unrolled: 3-line block ×3, first 2 shown]
	v_mul_f64_e32 v[38:39], v[6:7], v[22:23]
	v_mul_f64_e32 v[54:55], v[4:5], v[22:23]
	v_fma_f64 v[22:23], v[16:17], v[20:21], -v[26:27]
	v_fmac_f64_e32 v[24:25], v[18:19], v[20:21]
	v_fma_f64 v[26:27], v[12:13], v[20:21], -v[30:31]
	v_fmac_f64_e32 v[28:29], v[14:15], v[20:21]
	;; [unrolled: 2-line block ×4, first 2 shown]
	v_add_nc_u64_e32 v[20:21], s[68:69], v[34:35]
	ds_load_b128 v[48:51], v188 offset:16
	ds_load_b128 v[44:47], v188 offset:32
	;; [unrolled: 1-line block ×3, first 2 shown]
	ds_store_b128 v189, v[22:25]
	ds_store_b128 v189, v[26:29] offset:1072
	ds_store_b128 v189, v[30:33] offset:2144
	ds_store_b128 v189, v[52:55] offset:3216
	v_add_nc_u64_e32 v[56:57], s[66:67], v[20:21]
	s_wait_dscnt 0x0
	s_barrier_signal -1
	s_barrier_wait -1
	ds_load_b128 v[198:201], v190
	ds_load_b128 v[108:111], v190 offset:16
	ds_load_b128 v[100:103], v190 offset:32
	;; [unrolled: 1-line block ×3, first 2 shown]
	s_wait_dscnt 0x0
	v_add_nc_u64_e32 v[58:59], s[66:67], v[56:57]
	s_barrier_signal -1
	s_barrier_wait -1
	s_delay_alu instid0(VALU_DEP_1)
	v_add_nc_u64_e32 v[66:67], s[66:67], v[58:59]
	s_clause 0x3
	flat_load_b128 v[32:35], v[20:21]
	flat_load_b128 v[28:31], v[56:57]
	;; [unrolled: 1-line block ×4, first 2 shown]
	ds_load_b128 v[52:55], v167
	ds_load_b128 v[72:75], v188 offset:256
	s_wait_loadcnt_dscnt 0x301
	s_wait_xcnt 0x1
	v_mul_f64_e32 v[58:59], v[34:35], v[54:55]
	v_mul_f64_e32 v[56:57], v[32:33], v[54:55]
	s_wait_loadcnt 0x2
	v_mul_f64_e32 v[62:63], v[30:31], v[54:55]
	v_mul_f64_e32 v[60:61], v[28:29], v[54:55]
	s_wait_loadcnt 0x1
	;; [unrolled: 3-line block ×3, first 2 shown]
	v_mul_f64_e32 v[70:71], v[22:23], v[54:55]
	v_mul_f64_e32 v[90:91], v[20:21], v[54:55]
	v_fma_f64 v[54:55], v[32:33], v[52:53], -v[58:59]
	v_fmac_f64_e32 v[56:57], v[34:35], v[52:53]
	v_fma_f64 v[58:59], v[28:29], v[52:53], -v[62:63]
	v_fmac_f64_e32 v[60:61], v[30:31], v[52:53]
	;; [unrolled: 2-line block ×4, first 2 shown]
	v_add_nc_u64_e32 v[52:53], s[68:69], v[66:67]
	ds_load_b128 v[80:83], v188 offset:272
	ds_load_b128 v[76:79], v188 offset:288
	;; [unrolled: 1-line block ×3, first 2 shown]
	ds_store_b128 v189, v[54:57]
	ds_store_b128 v189, v[58:61] offset:1072
	ds_store_b128 v189, v[62:65] offset:2144
	;; [unrolled: 1-line block ×3, first 2 shown]
	v_add_nc_u64_e32 v[92:93], s[66:67], v[52:53]
	s_wait_dscnt 0x0
	s_barrier_signal -1
	s_barrier_wait -1
	ds_load_b128 v[202:205], v190
	ds_load_b128 v[206:209], v190 offset:16
	ds_load_b128 v[210:213], v190 offset:32
	;; [unrolled: 1-line block ×3, first 2 shown]
	s_wait_dscnt 0x0
	v_add_nc_u64_e32 v[94:95], s[66:67], v[92:93]
	s_barrier_signal -1
	s_barrier_wait -1
	s_delay_alu instid0(VALU_DEP_1)
	v_add_nc_u64_e32 v[98:99], s[66:67], v[94:95]
	s_clause 0x2
	flat_load_b128 v[64:67], v[52:53]
	flat_load_b128 v[60:63], v[92:93]
	;; [unrolled: 1-line block ×4, first 2 shown]
	ds_load_b128 v[88:91], v167
	ds_load_b128 v[116:119], v188 offset:512
	v_add_f64_e32 v[202:203], 0, v[202:203]
	v_add_f64_e32 v[204:205], 0, v[204:205]
	s_delay_alu instid0(VALU_DEP_2) | instskip(NEXT) | instid1(VALU_DEP_2)
	v_add_f64_e32 v[202:203], v[202:203], v[206:207]
	v_add_f64_e32 v[204:205], v[204:205], v[208:209]
	s_delay_alu instid0(VALU_DEP_2) | instskip(NEXT) | instid1(VALU_DEP_2)
	v_add_f64_e32 v[202:203], v[202:203], v[210:211]
	v_add_f64_e32 v[204:205], v[204:205], v[212:213]
	s_wait_loadcnt_dscnt 0x301
	s_wait_xcnt 0x1
	v_mul_f64_e32 v[94:95], v[66:67], v[90:91]
	v_mul_f64_e32 v[92:93], v[64:65], v[90:91]
	s_wait_loadcnt 0x2
	v_mul_f64_e32 v[104:105], v[62:63], v[90:91]
	v_mul_f64_e32 v[96:97], v[60:61], v[90:91]
	s_wait_loadcnt 0x1
	;; [unrolled: 3-line block ×3, first 2 shown]
	v_mul_f64_e32 v[114:115], v[58:59], v[90:91]
	v_mul_f64_e32 v[130:131], v[56:57], v[90:91]
	v_fma_f64 v[90:91], v[64:65], v[88:89], -v[94:95]
	v_fmac_f64_e32 v[92:93], v[66:67], v[88:89]
	v_fma_f64 v[94:95], v[60:61], v[88:89], -v[104:105]
	v_fmac_f64_e32 v[96:97], v[62:63], v[88:89]
	;; [unrolled: 2-line block ×4, first 2 shown]
	v_add_nc_u64_e32 v[88:89], s[68:69], v[98:99]
	ds_load_b128 v[124:127], v188 offset:528
	ds_load_b128 v[120:123], v188 offset:544
	;; [unrolled: 1-line block ×3, first 2 shown]
	ds_store_b128 v189, v[90:93]
	ds_store_b128 v189, v[94:97] offset:1072
	ds_store_b128 v189, v[104:107] offset:2144
	;; [unrolled: 1-line block ×3, first 2 shown]
	s_wait_xcnt 0x0
	v_add_nc_u64_e32 v[98:99], s[66:67], v[88:89]
	s_wait_dscnt 0x0
	s_barrier_signal -1
	s_barrier_wait -1
	ds_load_b128 v[218:221], v190
	ds_load_b128 v[222:225], v190 offset:16
	ds_load_b128 v[226:229], v190 offset:32
	;; [unrolled: 1-line block ×3, first 2 shown]
	s_wait_dscnt 0x0
	v_add_nc_u64_e32 v[132:133], s[66:67], v[98:99]
	s_barrier_signal -1
	s_barrier_wait -1
	s_delay_alu instid0(VALU_DEP_1)
	v_add_nc_u64_e32 v[164:165], s[66:67], v[132:133]
	flat_load_b128 v[104:107], v[88:89]
	flat_load_b128 v[96:99], v[98:99]
	;; [unrolled: 1-line block ×4, first 2 shown]
	s_wait_xcnt 0x1
	ds_load_b128 v[132:135], v167
	ds_load_b128 v[128:131], v188 offset:768
	v_add_f64_e32 v[218:219], 0, v[218:219]
	v_add_f64_e32 v[220:221], 0, v[220:221]
	s_delay_alu instid0(VALU_DEP_2) | instskip(NEXT) | instid1(VALU_DEP_2)
	v_add_f64_e32 v[206:207], v[218:219], v[222:223]
	v_add_f64_e32 v[208:209], v[220:221], v[224:225]
	s_delay_alu instid0(VALU_DEP_2) | instskip(NEXT) | instid1(VALU_DEP_2)
	v_add_f64_e32 v[206:207], v[206:207], v[226:227]
	v_add_f64_e32 v[208:209], v[208:209], v[228:229]
	s_wait_loadcnt_dscnt 0x301
	v_mul_f64_e32 v[136:137], v[106:107], v[134:135]
	v_mul_f64_e32 v[236:237], v[104:105], v[134:135]
	s_wait_loadcnt 0x2
	v_mul_f64_e32 v[138:139], v[98:99], v[134:135]
	v_mul_f64_e32 v[240:241], v[96:97], v[134:135]
	s_wait_loadcnt 0x1
	;; [unrolled: 3-line block ×3, first 2 shown]
	v_mul_f64_e32 v[142:143], v[94:95], v[134:135]
	v_mul_f64_e32 v[248:249], v[92:93], v[134:135]
	v_fma_f64 v[234:235], v[104:105], v[132:133], -v[136:137]
	v_fmac_f64_e32 v[236:237], v[106:107], v[132:133]
	v_fma_f64 v[238:239], v[96:97], v[132:133], -v[138:139]
	v_fmac_f64_e32 v[240:241], v[98:99], v[132:133]
	;; [unrolled: 2-line block ×4, first 2 shown]
	ds_load_b128 v[140:143], v188 offset:784
	ds_load_b128 v[136:139], v188 offset:800
	;; [unrolled: 1-line block ×3, first 2 shown]
	ds_store_b128 v189, v[234:237]
	ds_store_b128 v189, v[238:241] offset:1072
	ds_store_b128 v189, v[242:245] offset:2144
	;; [unrolled: 1-line block ×3, first 2 shown]
	s_wait_dscnt 0x0
	s_barrier_signal -1
	s_barrier_wait -1
	ds_load_b128 v[234:237], v190
	v_add_f64_e32 v[238:239], 0, v[198:199]
	v_add_f64_e32 v[240:241], 0, v[200:201]
	ds_load_b128 v[198:201], v190 offset:16
	s_wait_dscnt 0x1
	v_add_f64_e32 v[234:235], 0, v[234:235]
	v_add_f64_e32 v[236:237], 0, v[236:237]
	;; [unrolled: 1-line block ×4, first 2 shown]
	ds_load_b128 v[108:111], v190 offset:32
	s_wait_dscnt 0x1
	v_add_f64_e32 v[198:199], v[234:235], v[198:199]
	v_add_f64_e32 v[200:201], v[236:237], v[200:201]
	;; [unrolled: 1-line block ×4, first 2 shown]
	ds_load_b128 v[100:103], v190 offset:48
	s_wait_dscnt 0x0
	s_barrier_signal -1
	s_barrier_wait -1
	v_add_f64_e32 v[210:211], v[198:199], v[108:109]
	v_add_f64_e32 v[212:213], v[200:201], v[110:111]
	;; [unrolled: 1-line block ×10, first 2 shown]
	ds_store_b128 v196, v[84:87]
	ds_store_b128 v196, v[108:111] offset:256
	ds_store_b128 v196, v[198:201] offset:512
	;; [unrolled: 1-line block ×3, first 2 shown]
	s_wait_dscnt 0x0
	s_barrier_signal -1
	s_barrier_wait -1
	s_wait_xcnt 0x0
	s_and_saveexec_b32 s79, s18
	s_cbranch_execz .LBB193_74
; %bb.78:                               ;   in Loop: Header=BB193_75 Depth=2
	ds_load_b128 v[84:87], v191
	ds_load_b128 v[100:103], v191 offset:16
	s_wait_dscnt 0x0
	v_add_f64_e32 v[108:109], v[100:101], v[84:85]
	v_add_f64_e32 v[110:111], v[102:103], v[86:87]
	ds_load_b128 v[84:87], v191 offset:32
	ds_load_b128 v[100:103], v191 offset:48
	s_wait_dscnt 0x1
	v_add_f64_e32 v[84:85], v[108:109], v[84:85]
	v_add_f64_e32 v[86:87], v[110:111], v[86:87]
	s_wait_dscnt 0x0
	s_delay_alu instid0(VALU_DEP_2) | instskip(NEXT) | instid1(VALU_DEP_2)
	v_add_f64_e32 v[108:109], v[84:85], v[100:101]
	v_add_f64_e32 v[110:111], v[86:87], v[102:103]
	ds_load_b128 v[84:87], v191 offset:64
	ds_load_b128 v[100:103], v191 offset:80
	s_wait_dscnt 0x1
	v_add_f64_e32 v[84:85], v[108:109], v[84:85]
	v_add_f64_e32 v[86:87], v[110:111], v[86:87]
	s_wait_dscnt 0x0
	s_delay_alu instid0(VALU_DEP_2) | instskip(NEXT) | instid1(VALU_DEP_2)
	;; [unrolled: 9-line block ×6, first 2 shown]
	v_add_f64_e32 v[108:109], v[84:85], v[100:101]
	v_add_f64_e32 v[110:111], v[86:87], v[102:103]
	ds_load_b128 v[84:87], v191 offset:224
	ds_load_b128 v[100:103], v192
	s_wait_dscnt 0x1
	v_add_f64_e32 v[84:85], v[108:109], v[84:85]
	v_add_f64_e32 v[86:87], v[110:111], v[86:87]
	s_wait_dscnt 0x0
	s_delay_alu instid0(VALU_DEP_2) | instskip(NEXT) | instid1(VALU_DEP_2)
	v_add_f64_e32 v[84:85], v[84:85], v[100:101]
	v_add_f64_e32 v[86:87], v[86:87], v[102:103]
	global_store_b128 v197, v[84:87], s[76:77] scale_offset
	s_branch .LBB193_74
.LBB193_79:                             ;   in Loop: Header=BB193_4 Depth=1
	ds_store_b128 v193, v[0:3]
	s_wait_dscnt 0x0
	s_barrier_signal -1
	s_barrier_wait -1
	s_and_saveexec_b32 s19, s84
	s_cbranch_execz .LBB193_2
; %bb.80:                               ;   in Loop: Header=BB193_4 Depth=1
	ds_load_b128 v[0:3], v166 offset:1072
	ds_load_b128 v[4:7], v166
	s_wait_dscnt 0x0
	v_add_f64_e32 v[8:9], v[0:1], v[4:5]
	v_add_f64_e32 v[10:11], v[2:3], v[6:7]
	ds_load_b128 v[0:3], v166 offset:2144
	ds_load_b128 v[4:7], v166 offset:3216
	s_wait_dscnt 0x1
	v_add_f64_e32 v[0:1], v[8:9], v[0:1]
	v_add_f64_e32 v[2:3], v[10:11], v[2:3]
	s_wait_dscnt 0x0
	s_delay_alu instid0(VALU_DEP_2) | instskip(NEXT) | instid1(VALU_DEP_2)
	v_add_f64_e32 v[0:1], v[0:1], v[4:5]
	v_add_f64_e32 v[2:3], v[2:3], v[6:7]
	v_lshl_add_u64 v[4:5], v[148:149], 4, s[76:77]
	global_store_b128 v[4:5], v[0:3], off
	s_branch .LBB193_2
.LBB193_81:                             ;   in Loop: Header=BB193_4 Depth=1
	ds_load_b128 v[0:3], v173
	s_wait_dscnt 0x0
	ds_store_b128 v172, v[0:3]
	s_or_b32 exec_lo, exec_lo, s19
	s_and_saveexec_b32 s19, s8
	s_cbranch_execz .LBB193_28
.LBB193_82:                             ;   in Loop: Header=BB193_4 Depth=1
	ds_load_b128 v[0:3], v175
	s_wait_dscnt 0x0
	ds_store_b128 v174, v[0:3]
	s_or_b32 exec_lo, exec_lo, s19
	s_and_saveexec_b32 s19, s9
	s_cbranch_execz .LBB193_29
.LBB193_83:                             ;   in Loop: Header=BB193_4 Depth=1
	ds_load_b128 v[0:3], v177
	s_wait_dscnt 0x0
	ds_store_b128 v176, v[0:3]
	s_or_b32 exec_lo, exec_lo, s19
	s_and_saveexec_b32 s19, s10
	s_cbranch_execnz .LBB193_30
	s_branch .LBB193_31
.LBB193_84:                             ;   in Loop: Header=BB193_4 Depth=1
	ds_load_b128 v[6:9], v173
	s_wait_dscnt 0x0
	ds_store_b128 v183, v[6:9]
	s_or_b32 exec_lo, exec_lo, s19
	s_and_saveexec_b32 s19, s8
	s_cbranch_execz .LBB193_49
.LBB193_85:                             ;   in Loop: Header=BB193_4 Depth=1
	ds_load_b128 v[6:9], v175
	s_wait_dscnt 0x0
	ds_store_b128 v184, v[6:9]
	s_or_b32 exec_lo, exec_lo, s19
	s_and_saveexec_b32 s19, s9
	s_cbranch_execz .LBB193_50
.LBB193_86:                             ;   in Loop: Header=BB193_4 Depth=1
	ds_load_b128 v[6:9], v177
	s_wait_dscnt 0x0
	ds_store_b128 v185, v[6:9]
	s_or_b32 exec_lo, exec_lo, s19
	s_and_saveexec_b32 s19, s10
	s_cbranch_execnz .LBB193_51
	s_branch .LBB193_52
.LBB193_87:                             ;   in Loop: Header=BB193_4 Depth=1
	flat_load_b128 v[6:9], v[0:1]
	s_wait_loadcnt_dscnt 0x0
	ds_store_2addr_b64 v168, v[6:7], v[8:9] offset1:1
	s_wait_xcnt 0x0
	s_or_b32 exec_lo, exec_lo, s19
	s_and_saveexec_b32 s19, s4
	s_delay_alu instid0(SALU_CYCLE_1)
	s_xor_b32 s19, exec_lo, s19
	s_cbranch_execz .LBB193_19
.LBB193_88:                             ;   in Loop: Header=BB193_4 Depth=1
	v_dual_mov_b32 v6, v147 :: v_dual_mov_b32 v7, v147
	v_dual_mov_b32 v8, v147 :: v_dual_mov_b32 v9, v147
	ds_store_b128 v169, v[6:9]
	s_and_not1_saveexec_b32 s19, s19
	s_cbranch_execz .LBB193_20
.LBB193_89:                             ;   in Loop: Header=BB193_4 Depth=1
	v_lshl_add_u64 v[2:3], s[48:49], 4, v[0:1]
	flat_load_b128 v[6:9], v[2:3]
	s_wait_loadcnt_dscnt 0x0
	ds_store_2addr_b64 v169, v[6:7], v[8:9] offset1:1
	s_wait_xcnt 0x0
	s_or_b32 exec_lo, exec_lo, s19
	s_and_saveexec_b32 s19, s5
	s_delay_alu instid0(SALU_CYCLE_1)
	s_xor_b32 s19, exec_lo, s19
	s_cbranch_execz .LBB193_21
.LBB193_90:                             ;   in Loop: Header=BB193_4 Depth=1
	v_dual_mov_b32 v6, v147 :: v_dual_mov_b32 v7, v147
	v_dual_mov_b32 v8, v147 :: v_dual_mov_b32 v9, v147
	ds_store_b128 v170, v[6:9]
	s_and_not1_saveexec_b32 s19, s19
	s_cbranch_execz .LBB193_22
.LBB193_91:                             ;   in Loop: Header=BB193_4 Depth=1
	v_lshl_add_u64 v[2:3], s[50:51], 4, v[0:1]
	flat_load_b128 v[6:9], v[2:3]
	s_wait_loadcnt_dscnt 0x0
	ds_store_2addr_b64 v170, v[6:7], v[8:9] offset1:1
	s_wait_xcnt 0x0
	s_or_b32 exec_lo, exec_lo, s19
	s_and_saveexec_b32 s19, s6
	s_delay_alu instid0(SALU_CYCLE_1)
	s_xor_b32 s19, exec_lo, s19
	s_cbranch_execz .LBB193_23
.LBB193_92:                             ;   in Loop: Header=BB193_4 Depth=1
	v_dual_mov_b32 v6, v147 :: v_dual_mov_b32 v7, v147
	v_dual_mov_b32 v8, v147 :: v_dual_mov_b32 v9, v147
	ds_store_b128 v171, v[6:9]
	s_and_not1_saveexec_b32 s19, s19
	s_cbranch_execnz .LBB193_24
	s_branch .LBB193_25
.LBB193_93:                             ;   in Loop: Header=BB193_4 Depth=1
	flat_load_b128 v[8:11], v[6:7]
	s_wait_loadcnt_dscnt 0x0
	ds_store_2addr_b64 v168, v[8:9], v[10:11] offset1:1
	s_wait_xcnt 0x0
	s_or_b32 exec_lo, exec_lo, s19
	s_and_saveexec_b32 s19, s14
	s_delay_alu instid0(SALU_CYCLE_1)
	s_xor_b32 s19, exec_lo, s19
	s_cbranch_execz .LBB193_40
.LBB193_94:                             ;   in Loop: Header=BB193_4 Depth=1
	v_dual_mov_b32 v8, v147 :: v_dual_mov_b32 v9, v147
	v_dual_mov_b32 v10, v147 :: v_dual_mov_b32 v11, v147
	ds_store_b128 v169, v[8:11]
	s_and_not1_saveexec_b32 s19, s19
	s_cbranch_execz .LBB193_41
.LBB193_95:                             ;   in Loop: Header=BB193_4 Depth=1
	v_lshl_add_u64 v[8:9], s[48:49], 4, v[6:7]
	flat_load_b128 v[8:11], v[8:9]
	s_wait_loadcnt_dscnt 0x0
	ds_store_2addr_b64 v169, v[8:9], v[10:11] offset1:1
	s_wait_xcnt 0x0
	s_or_b32 exec_lo, exec_lo, s19
	s_and_saveexec_b32 s19, s15
	s_delay_alu instid0(SALU_CYCLE_1)
	s_xor_b32 s19, exec_lo, s19
	s_cbranch_execz .LBB193_42
.LBB193_96:                             ;   in Loop: Header=BB193_4 Depth=1
	v_dual_mov_b32 v8, v147 :: v_dual_mov_b32 v9, v147
	v_dual_mov_b32 v10, v147 :: v_dual_mov_b32 v11, v147
	ds_store_b128 v170, v[8:11]
	s_and_not1_saveexec_b32 s19, s19
	s_cbranch_execz .LBB193_43
.LBB193_97:                             ;   in Loop: Header=BB193_4 Depth=1
	v_lshl_add_u64 v[8:9], s[50:51], 4, v[6:7]
	flat_load_b128 v[8:11], v[8:9]
	s_wait_loadcnt_dscnt 0x0
	ds_store_2addr_b64 v170, v[8:9], v[10:11] offset1:1
	s_wait_xcnt 0x0
	s_or_b32 exec_lo, exec_lo, s19
	s_and_saveexec_b32 s19, s16
	s_delay_alu instid0(SALU_CYCLE_1)
	s_xor_b32 s19, exec_lo, s19
	s_cbranch_execz .LBB193_44
.LBB193_98:                             ;   in Loop: Header=BB193_4 Depth=1
	v_dual_mov_b32 v8, v147 :: v_dual_mov_b32 v9, v147
	v_dual_mov_b32 v10, v147 :: v_dual_mov_b32 v11, v147
	ds_store_b128 v171, v[8:11]
	s_and_not1_saveexec_b32 s19, s19
	s_cbranch_execnz .LBB193_45
	s_branch .LBB193_46
.LBB193_99:                             ;   in Loop: Header=BB193_4 Depth=1
	flat_load_b128 v[6:9], v[4:5]
	s_wait_loadcnt_dscnt 0x0
	ds_store_2addr_b64 v168, v[6:7], v[8:9] offset1:1
	s_wait_xcnt 0x0
	s_or_b32 exec_lo, exec_lo, s19
	s_and_saveexec_b32 s19, s4
	s_delay_alu instid0(SALU_CYCLE_1)
	s_xor_b32 s19, exec_lo, s19
	s_cbranch_execz .LBB193_61
.LBB193_100:                            ;   in Loop: Header=BB193_4 Depth=1
	v_dual_mov_b32 v6, v147 :: v_dual_mov_b32 v7, v147
	v_dual_mov_b32 v8, v147 :: v_dual_mov_b32 v9, v147
	ds_store_b128 v169, v[6:9]
	s_and_not1_saveexec_b32 s19, s19
	s_cbranch_execz .LBB193_62
.LBB193_101:                            ;   in Loop: Header=BB193_4 Depth=1
	v_lshl_add_u64 v[6:7], s[48:49], 4, v[4:5]
	flat_load_b128 v[6:9], v[6:7]
	s_wait_loadcnt_dscnt 0x0
	ds_store_2addr_b64 v169, v[6:7], v[8:9] offset1:1
	s_wait_xcnt 0x0
	s_or_b32 exec_lo, exec_lo, s19
	s_and_saveexec_b32 s19, s5
	s_delay_alu instid0(SALU_CYCLE_1)
	s_xor_b32 s19, exec_lo, s19
	s_cbranch_execz .LBB193_63
.LBB193_102:                            ;   in Loop: Header=BB193_4 Depth=1
	v_dual_mov_b32 v6, v147 :: v_dual_mov_b32 v7, v147
	v_dual_mov_b32 v8, v147 :: v_dual_mov_b32 v9, v147
	ds_store_b128 v170, v[6:9]
	s_and_not1_saveexec_b32 s19, s19
	s_cbranch_execz .LBB193_64
.LBB193_103:                            ;   in Loop: Header=BB193_4 Depth=1
	v_lshl_add_u64 v[6:7], s[50:51], 4, v[4:5]
	flat_load_b128 v[6:9], v[6:7]
	s_wait_loadcnt_dscnt 0x0
	ds_store_2addr_b64 v170, v[6:7], v[8:9] offset1:1
	s_wait_xcnt 0x0
	s_or_b32 exec_lo, exec_lo, s19
	s_and_saveexec_b32 s19, s6
	s_delay_alu instid0(SALU_CYCLE_1)
	s_xor_b32 s19, exec_lo, s19
	s_cbranch_execz .LBB193_65
.LBB193_104:                            ;   in Loop: Header=BB193_4 Depth=1
	v_dual_mov_b32 v6, v147 :: v_dual_mov_b32 v7, v147
	v_dual_mov_b32 v8, v147 :: v_dual_mov_b32 v9, v147
	ds_store_b128 v171, v[6:9]
	s_and_not1_saveexec_b32 s19, s19
	s_cbranch_execnz .LBB193_66
	s_branch .LBB193_67
.LBB193_105:
	s_sendmsg sendmsg(MSG_DEALLOC_VGPRS)
	s_endpgm
	.section	.rodata,"a",@progbits
	.p2align	6, 0x0
	.amdhsa_kernel _ZL26rocblas_hemvn_kernel_lowerILb0ELi64ELi4ELi33ELi32ELi16EiPK19rocblas_complex_numIdEPKS3_PS1_EviT6_lT7_lT5_lS8_lS9_lS7_lT8_i
		.amdhsa_group_segment_fixed_size 19200
		.amdhsa_private_segment_fixed_size 0
		.amdhsa_kernarg_size 376
		.amdhsa_user_sgpr_count 2
		.amdhsa_user_sgpr_dispatch_ptr 0
		.amdhsa_user_sgpr_queue_ptr 0
		.amdhsa_user_sgpr_kernarg_segment_ptr 1
		.amdhsa_user_sgpr_dispatch_id 0
		.amdhsa_user_sgpr_kernarg_preload_length 0
		.amdhsa_user_sgpr_kernarg_preload_offset 0
		.amdhsa_user_sgpr_private_segment_size 0
		.amdhsa_wavefront_size32 1
		.amdhsa_uses_dynamic_stack 0
		.amdhsa_enable_private_segment 0
		.amdhsa_system_sgpr_workgroup_id_x 1
		.amdhsa_system_sgpr_workgroup_id_y 0
		.amdhsa_system_sgpr_workgroup_id_z 1
		.amdhsa_system_sgpr_workgroup_info 0
		.amdhsa_system_vgpr_workitem_id 1
		.amdhsa_next_free_vgpr 250
		.amdhsa_next_free_sgpr 86
		.amdhsa_named_barrier_count 0
		.amdhsa_reserve_vcc 1
		.amdhsa_float_round_mode_32 0
		.amdhsa_float_round_mode_16_64 0
		.amdhsa_float_denorm_mode_32 3
		.amdhsa_float_denorm_mode_16_64 3
		.amdhsa_fp16_overflow 0
		.amdhsa_memory_ordered 1
		.amdhsa_forward_progress 1
		.amdhsa_inst_pref_size 64
		.amdhsa_round_robin_scheduling 0
		.amdhsa_exception_fp_ieee_invalid_op 0
		.amdhsa_exception_fp_denorm_src 0
		.amdhsa_exception_fp_ieee_div_zero 0
		.amdhsa_exception_fp_ieee_overflow 0
		.amdhsa_exception_fp_ieee_underflow 0
		.amdhsa_exception_fp_ieee_inexact 0
		.amdhsa_exception_int_div_zero 0
	.end_amdhsa_kernel
	.section	.text._ZL26rocblas_hemvn_kernel_lowerILb0ELi64ELi4ELi33ELi32ELi16EiPK19rocblas_complex_numIdEPKS3_PS1_EviT6_lT7_lT5_lS8_lS9_lS7_lT8_i,"axG",@progbits,_ZL26rocblas_hemvn_kernel_lowerILb0ELi64ELi4ELi33ELi32ELi16EiPK19rocblas_complex_numIdEPKS3_PS1_EviT6_lT7_lT5_lS8_lS9_lS7_lT8_i,comdat
.Lfunc_end193:
	.size	_ZL26rocblas_hemvn_kernel_lowerILb0ELi64ELi4ELi33ELi32ELi16EiPK19rocblas_complex_numIdEPKS3_PS1_EviT6_lT7_lT5_lS8_lS9_lS7_lT8_i, .Lfunc_end193-_ZL26rocblas_hemvn_kernel_lowerILb0ELi64ELi4ELi33ELi32ELi16EiPK19rocblas_complex_numIdEPKS3_PS1_EviT6_lT7_lT5_lS8_lS9_lS7_lT8_i
                                        ; -- End function
	.set _ZL26rocblas_hemvn_kernel_lowerILb0ELi64ELi4ELi33ELi32ELi16EiPK19rocblas_complex_numIdEPKS3_PS1_EviT6_lT7_lT5_lS8_lS9_lS7_lT8_i.num_vgpr, 250
	.set _ZL26rocblas_hemvn_kernel_lowerILb0ELi64ELi4ELi33ELi32ELi16EiPK19rocblas_complex_numIdEPKS3_PS1_EviT6_lT7_lT5_lS8_lS9_lS7_lT8_i.num_agpr, 0
	.set _ZL26rocblas_hemvn_kernel_lowerILb0ELi64ELi4ELi33ELi32ELi16EiPK19rocblas_complex_numIdEPKS3_PS1_EviT6_lT7_lT5_lS8_lS9_lS7_lT8_i.numbered_sgpr, 86
	.set _ZL26rocblas_hemvn_kernel_lowerILb0ELi64ELi4ELi33ELi32ELi16EiPK19rocblas_complex_numIdEPKS3_PS1_EviT6_lT7_lT5_lS8_lS9_lS7_lT8_i.num_named_barrier, 0
	.set _ZL26rocblas_hemvn_kernel_lowerILb0ELi64ELi4ELi33ELi32ELi16EiPK19rocblas_complex_numIdEPKS3_PS1_EviT6_lT7_lT5_lS8_lS9_lS7_lT8_i.private_seg_size, 0
	.set _ZL26rocblas_hemvn_kernel_lowerILb0ELi64ELi4ELi33ELi32ELi16EiPK19rocblas_complex_numIdEPKS3_PS1_EviT6_lT7_lT5_lS8_lS9_lS7_lT8_i.uses_vcc, 1
	.set _ZL26rocblas_hemvn_kernel_lowerILb0ELi64ELi4ELi33ELi32ELi16EiPK19rocblas_complex_numIdEPKS3_PS1_EviT6_lT7_lT5_lS8_lS9_lS7_lT8_i.uses_flat_scratch, 1
	.set _ZL26rocblas_hemvn_kernel_lowerILb0ELi64ELi4ELi33ELi32ELi16EiPK19rocblas_complex_numIdEPKS3_PS1_EviT6_lT7_lT5_lS8_lS9_lS7_lT8_i.has_dyn_sized_stack, 0
	.set _ZL26rocblas_hemvn_kernel_lowerILb0ELi64ELi4ELi33ELi32ELi16EiPK19rocblas_complex_numIdEPKS3_PS1_EviT6_lT7_lT5_lS8_lS9_lS7_lT8_i.has_recursion, 0
	.set _ZL26rocblas_hemvn_kernel_lowerILb0ELi64ELi4ELi33ELi32ELi16EiPK19rocblas_complex_numIdEPKS3_PS1_EviT6_lT7_lT5_lS8_lS9_lS7_lT8_i.has_indirect_call, 0
	.section	.AMDGPU.csdata,"",@progbits
; Kernel info:
; codeLenInByte = 8184
; TotalNumSgprs: 88
; NumVgprs: 250
; ScratchSize: 0
; MemoryBound: 0
; FloatMode: 240
; IeeeMode: 1
; LDSByteSize: 19200 bytes/workgroup (compile time only)
; SGPRBlocks: 0
; VGPRBlocks: 15
; NumSGPRsForWavesPerEU: 88
; NumVGPRsForWavesPerEU: 250
; NamedBarCnt: 0
; Occupancy: 4
; WaveLimiterHint : 0
; COMPUTE_PGM_RSRC2:SCRATCH_EN: 0
; COMPUTE_PGM_RSRC2:USER_SGPR: 2
; COMPUTE_PGM_RSRC2:TRAP_HANDLER: 0
; COMPUTE_PGM_RSRC2:TGID_X_EN: 1
; COMPUTE_PGM_RSRC2:TGID_Y_EN: 0
; COMPUTE_PGM_RSRC2:TGID_Z_EN: 1
; COMPUTE_PGM_RSRC2:TIDIG_COMP_CNT: 1
	.section	.text._ZL26rocblas_hemvn_kernel_lowerILb0ELi64ELi4ELi33ELi32ELi16El19rocblas_complex_numIdEPKPKS1_PS1_EviT6_lT7_lT5_lS8_lS9_lS7_lT8_i,"axG",@progbits,_ZL26rocblas_hemvn_kernel_lowerILb0ELi64ELi4ELi33ELi32ELi16El19rocblas_complex_numIdEPKPKS1_PS1_EviT6_lT7_lT5_lS8_lS9_lS7_lT8_i,comdat
	.globl	_ZL26rocblas_hemvn_kernel_lowerILb0ELi64ELi4ELi33ELi32ELi16El19rocblas_complex_numIdEPKPKS1_PS1_EviT6_lT7_lT5_lS8_lS9_lS7_lT8_i ; -- Begin function _ZL26rocblas_hemvn_kernel_lowerILb0ELi64ELi4ELi33ELi32ELi16El19rocblas_complex_numIdEPKPKS1_PS1_EviT6_lT7_lT5_lS8_lS9_lS7_lT8_i
	.p2align	8
	.type	_ZL26rocblas_hemvn_kernel_lowerILb0ELi64ELi4ELi33ELi32ELi16El19rocblas_complex_numIdEPKPKS1_PS1_EviT6_lT7_lT5_lS8_lS9_lS7_lT8_i,@function
_ZL26rocblas_hemvn_kernel_lowerILb0ELi64ELi4ELi33ELi32ELi16El19rocblas_complex_numIdEPKPKS1_PS1_EviT6_lT7_lT5_lS8_lS9_lS7_lT8_i: ; @_ZL26rocblas_hemvn_kernel_lowerILb0ELi64ELi4ELi33ELi32ELi16El19rocblas_complex_numIdEPKPKS1_PS1_EviT6_lT7_lT5_lS8_lS9_lS7_lT8_i
; %bb.0:
	s_clause 0x1
	s_load_b64 s[2:3], s[0:1], 0x94
	s_load_b32 s19, s[0:1], 0x80
	s_bfe_u32 s4, ttmp6, 0x40014
	s_lshr_b32 s5, ttmp7, 16
	s_add_co_i32 s4, s4, 1
	s_bfe_u32 s6, ttmp6, 0x40008
	s_mul_i32 s4, s5, s4
	s_getreg_b32 s8, hwreg(HW_REG_IB_STS2, 6, 4)
	s_add_co_i32 s6, s6, s4
	s_mov_b32 s31, 0
	s_wait_kmcnt 0x0
	s_lshr_b32 s4, s2, 16
	s_and_b32 s2, s2, 0xffff
	s_and_b32 s3, s3, 0xffff
	s_mul_i32 s2, s4, s2
	s_cmp_eq_u32 s8, 0
	s_mul_i32 s2, s2, s3
	s_cselect_b32 s28, s5, s6
	s_cmp_lg_u32 s2, 0x100
	s_cselect_b32 s2, -1, 0
	s_cmp_ge_u32 s28, s19
	s_cselect_b32 s3, -1, 0
	s_delay_alu instid0(SALU_CYCLE_1) | instskip(NEXT) | instid1(SALU_CYCLE_1)
	s_or_b32 s2, s2, s3
	s_and_b32 vcc_lo, exec_lo, s2
	s_cbranch_vccnz .LBB194_105
; %bb.1:
	s_clause 0x3
	s_load_b128 s[4:7], s[0:1], 0x8
	s_load_b128 s[12:15], s[0:1], 0x60
	s_load_b32 s10, s[0:1], 0x0
	s_load_b64 s[2:3], s[0:1], 0x78
	s_add_nc_u64 s[16:17], s[0:1], 0x88
	s_clause 0x3
	s_load_b128 s[20:23], s[0:1], 0x20
	s_load_b64 s[62:63], s[0:1], 0x30
	s_load_b64 s[34:35], s[0:1], 0x50
	s_load_b128 s[24:27], s[0:1], 0x40
	v_bfe_u32 v1, v0, 10, 10
	v_and_b32_e32 v144, 0x3ff, v0
	s_wait_xcnt 0x0
	s_bfe_u32 s0, ttmp6, 0x4000c
	v_and_b32_e32 v146, 31, v0
	s_add_co_i32 s0, s0, 1
	v_lshlrev_b32_e32 v4, 6, v1
	s_load_b32 s30, s[16:17], 0x0
	s_mul_i32 s9, ttmp9, s0
	v_mov_b32_e32 v147, 0
	v_cmp_eq_u32_e64 s0, 0, v1
	v_dual_add_nc_u32 v5, v4, v144 :: v_dual_lshlrev_b32 v145, 4, v144
	v_add_nc_u32_e32 v186, 0x4300, v4
	s_delay_alu instid0(VALU_DEP_4)
	v_sub_nc_u64_e32 v[154:155], 0, v[146:147]
	s_wait_kmcnt 0x0
	v_cmp_eq_f64_e64 s1, s[4:5], 0
	v_cmp_eq_f64_e64 s5, s[6:7], 0
	v_cmp_neq_f64_e64 s6, s[12:13], 1.0
	v_cmp_neq_f64_e64 s7, s[14:15], 0
	s_and_b32 s4, ttmp6, 15
	s_ashr_i32 s11, s10, 31
	s_add_co_i32 s4, s4, s9
	s_cmp_eq_u32 s8, 0
	v_lshrrev_b32_e32 v2, 5, v5
	s_cselect_b32 s33, ttmp9, s4
	s_lshr_b32 s4, s11, 26
	s_lshl_b32 s68, s33, 6
	s_delay_alu instid0(SALU_CYCLE_1) | instskip(SKIP_2) | instid1(VALU_DEP_3)
	v_dual_lshlrev_b32 v3, 4, v146 :: v_dual_add_nc_u32 v150, s68, v144
	v_dual_add_nc_u32 v8, 24, v2 :: v_dual_lshlrev_b32 v9, 2, v2
	v_lshlrev_b32_e32 v11, 6, v2
	v_lshl_or_b32 v10, v146, 9, v3
	s_delay_alu instid0(VALU_DEP_4)
	v_ashrrev_i32_e32 v151, 31, v150
	s_add_co_i32 s9, s10, s4
	v_or_b32_e32 v12, 1, v9
	v_mad_u32_u24 v165, 0x210, v2, v3
	s_and_not1_b32 s9, s9, 63
	v_add_nc_u32_e32 v169, v10, v11
	v_mad_u32_u24 v170, 0x840, v2, v3
	v_or_b32_e32 v10, 2, v9
	v_mad_u32_u24 v172, 0x210, v12, v3
	v_or_b32_e32 v3, 3, v9
	s_add_co_i32 s8, s30, -1
	s_sub_co_i32 s9, s10, s9
	v_mad_nc_u64_u32 v[148:149], s62, v2, v[146:147]
	s_mul_i32 s4, s10, s33
	s_mul_u64 s[36:37], s[30:31], s[10:11]
	s_and_b32 s72, s1, s5
	v_dual_add_nc_u32 v6, 8, v2 :: v_dual_add_nc_u32 v7, 16, v2
	s_or_b32 s73, s6, s7
	v_cmp_lt_u32_e64 s7, v9, v146
	v_mul_u32_u24_e32 v9, 33, v146
	s_cmp_eq_u32 s33, s8
	v_cmp_lt_u32_e64 s10, v3, v146
	s_cselect_b32 s38, s9, 0
	v_cmp_lt_u32_e64 s9, v10, v146
	v_dual_lshlrev_b32 v10, 4, v2 :: v_dual_lshlrev_b32 v175, 4, v9
	s_cmp_eq_u32 s38, 0
	v_dual_add_nc_u32 v176, 48, v169 :: v_dual_bitop2_b32 v3, 32, v146 bitop3:0x54
	s_cselect_b32 s74, -1, 0
	s_cmp_lg_u32 s38, 0
	v_dual_add_nc_u32 v179, v175, v10 :: v_dual_add_nc_u32 v180, v175, v11
	s_cselect_b32 s1, -1, 0
	s_ashr_i32 s5, s4, 31
	s_sub_co_i32 s16, s38, 32
	s_lshl_b64 s[4:5], s[4:5], 4
	v_add_nc_u32_e32 v164, 0x4700, v145
	v_mad_u32 v149, s63, v2, v149
	s_add_nc_u64 s[46:47], s[2:3], s[4:5]
	v_cmp_le_i32_e64 s3, s38, v2
	v_cmp_le_i32_e64 s4, s38, v6
	v_cmp_gt_i32_e64 s12, s38, v3
	v_cmp_le_i32_e64 s13, s16, v2
	v_cmp_le_i32_e64 s14, s16, v6
	v_add_nc_u32_e32 v183, 48, v180
	v_cmp_eq_u32_e64 s17, 1, v2
	v_mul_i32_i24_e32 v6, 0xffffffd0, v2
	v_mad_u32_u24 v184, v2, 48, v179
	v_dual_mov_b32 v3, v147 :: v_dual_lshlrev_b32 v2, 2, v1
	v_mul_u64_e32 v[152:153], s[34:35], v[150:151]
	v_cmp_le_i32_e64 s5, s38, v7
	v_cmp_le_i32_e64 s15, s16, v7
	v_lshrrev_b32_e32 v7, 4, v5
	v_mul_u64_e32 v[158:159], s[62:63], v[2:3]
	v_cmp_le_i32_e64 s6, s38, v8
	v_cmp_le_i32_e64 s16, s16, v8
	v_and_b32_e32 v8, 15, v0
	v_dual_lshlrev_b32 v2, 6, v7 :: v_dual_bitop2_b32 v0, 48, v0 bitop3:0x40
	v_cmp_le_i32_e32 vcc_lo, s38, v144
	v_add_nc_u32_e32 v178, 0x4700, v11
	v_or_b32_e32 v3, 0xf0, v145
	s_delay_alu instid0(VALU_DEP_4)
	v_lshlrev_b32_e32 v0, 4, v0
	v_mad_u32_u24 v188, 0x430, v8, v2
	v_mul_i32_i24_e32 v2, 0xffffffd0, v7
	s_and_b32 s1, s1, vcc_lo
	v_sub_nc_u64_e32 v[156:157], 0, v[148:149]
	s_ashr_i32 s69, s68, 31
	v_add_nc_u32_e32 v166, 0x1080, v165
	v_add_nc_u32_e32 v167, 0x2100, v165
	s_lshl_b64 s[40:41], s[62:63], 7
	s_lshl_b64 s[42:43], s[62:63], 8
	v_add_nc_u32_e32 v168, 0x3180, v165
	v_cmp_gt_i32_e64 s2, s38, v146
	s_ashr_i32 s39, s38, 31
	v_cmp_lt_u32_e64 s8, v12, v146
	v_dual_add_nc_u32 v171, 16, v169 :: v_dual_add_nc_u32 v173, 32, v169
	v_add_nc_u32_e32 v174, 0x210, v172
	v_add_nc_u32_e32 v177, 0x420, v172
	v_cmp_gt_u32_e64 s11, 32, v5
	s_lshl_b64 s[50:51], s[62:63], 5
	v_dual_add_nc_u32 v181, 16, v180 :: v_dual_add_nc_u32 v182, 32, v180
	s_xor_b32 s29, s1, -1
	v_add_nc_u32_e32 v185, 0x4300, v145
	v_mad_u32_u24 v187, 0x10c0, v1, v145
	v_cmp_gt_u32_e64 s18, 64, v5
	v_mad_u32_u24 v190, 0x430, v8, v3
	v_mad_u32_u24 v191, 0x430, v1, v145
	v_add_nc_u32_e32 v192, 0x4700, v10
	v_add_nc_u32_e32 v193, v178, v6
	v_mad_u32_u24 v189, 0x430, v8, v0
	v_add_nc_u32_e32 v194, v188, v2
	v_lshlrev_b32_e32 v146, 4, v146
	s_mul_u64 s[44:45], s[62:63], s[68:69]
	s_mul_u64 s[54:55], s[34:35], s[68:69]
	s_cmp_gt_i32 s33, 0
	s_mul_u64 s[48:49], s[62:63], 0x180
	s_sub_nc_u64 s[52:53], 0, s[50:51]
	s_sub_nc_u64 s[54:55], 0, s[54:55]
	s_cselect_b32 s75, -1, 0
	s_sub_nc_u64 s[56:57], 0, s[44:45]
	s_and_b32 s76, s0, s29
	s_sub_nc_u64 s[58:59], 0, s[38:39]
	s_lshl_b64 s[60:61], s[62:63], 4
	s_mul_u64 s[62:63], s[62:63], 0xd0
	s_mov_b64 s[64:65], 0xfffffffffffffdf0
	s_mov_b64 s[66:67], 0xfffffffffffffe00
	s_lshl_b64 s[26:27], s[26:27], 4
	s_lshl_b64 s[22:23], s[22:23], 4
	;; [unrolled: 1-line block ×3, first 2 shown]
	s_branch .LBB194_4
.LBB194_2:                              ;   in Loop: Header=BB194_4 Depth=1
	s_wait_xcnt 0x0
	s_or_b32 exec_lo, exec_lo, s29
.LBB194_3:                              ;   in Loop: Header=BB194_4 Depth=1
	s_add_co_i32 s28, s28, 0x10000
	s_delay_alu instid0(SALU_CYCLE_1)
	s_cmp_lt_u32 s28, s19
	s_cbranch_scc0 .LBB194_105
.LBB194_4:                              ; =>This Loop Header: Depth=1
                                        ;     Child Loop BB194_75 Depth 2
	s_and_not1_b32 vcc_lo, exec_lo, s72
	s_mov_b32 s29, -1
	s_cbranch_vccz .LBB194_6
; %bb.5:                                ;   in Loop: Header=BB194_4 Depth=1
	s_and_not1_b32 vcc_lo, exec_lo, s29
	s_cbranch_vccnz .LBB194_3
	s_branch .LBB194_7
.LBB194_6:                              ;   in Loop: Header=BB194_4 Depth=1
	s_and_b32 vcc_lo, exec_lo, s73
	s_cbranch_execnz .LBB194_3
.LBB194_7:                              ;   in Loop: Header=BB194_4 Depth=1
	v_mov_b32_e32 v0, s28
	s_clause 0x1
	global_load_b64 v[2:3], v0, s[24:25] scale_offset
	global_load_b64 v[0:1], v0, s[20:21] scale_offset
	s_wait_loadcnt 0x1
	v_add_nc_u64_e32 v[2:3], s[26:27], v[2:3]
	s_delay_alu instid0(VALU_DEP_1)
	v_lshl_add_u64 v[36:37], v[152:153], 4, v[2:3]
	s_wait_xcnt 0x0
	s_and_saveexec_b32 s29, s0
	s_cbranch_execz .LBB194_12
; %bb.8:                                ;   in Loop: Header=BB194_4 Depth=1
	s_and_saveexec_b32 s30, s1
	s_delay_alu instid0(SALU_CYCLE_1)
	s_xor_b32 s30, exec_lo, s30
; %bb.9:                                ;   in Loop: Header=BB194_4 Depth=1
	v_dual_mov_b32 v2, v147 :: v_dual_mov_b32 v3, v147
	v_dual_mov_b32 v4, v147 :: v_dual_mov_b32 v5, v147
	ds_store_b128 v164, v[2:5]
; %bb.10:                               ;   in Loop: Header=BB194_4 Depth=1
	s_and_not1_saveexec_b32 s30, s30
	s_cbranch_execz .LBB194_12
; %bb.11:                               ;   in Loop: Header=BB194_4 Depth=1
	flat_load_b128 v[2:5], v[36:37]
	s_wait_loadcnt_dscnt 0x0
	ds_store_2addr_b64 v164, v[2:3], v[4:5] offset1:1
.LBB194_12:                             ;   in Loop: Header=BB194_4 Depth=1
	s_wait_xcnt 0x0
	s_or_b32 exec_lo, exec_lo, s29
	s_wait_loadcnt 0x0
	v_add_nc_u64_e32 v[0:1], s[22:23], v[0:1]
	s_and_not1_b32 vcc_lo, exec_lo, s74
	s_mov_b32 s29, -1
	s_delay_alu instid0(VALU_DEP_1) | instskip(NEXT) | instid1(VALU_DEP_1)
	v_add_nc_u64_e32 v[0:1], s[68:69], v[0:1]
	v_lshl_add_u64 v[0:1], v[148:149], 4, v[0:1]
	s_delay_alu instid0(VALU_DEP_1)
	v_lshl_add_u64 v[4:5], s[44:45], 4, v[0:1]
	s_cbranch_vccnz .LBB194_14
; %bb.13:                               ;   in Loop: Header=BB194_4 Depth=1
	flat_load_b128 v[0:3], v[4:5]
	v_add_nc_u64_e32 v[6:7], s[40:41], v[4:5]
	s_mov_b32 s29, 0
	s_wait_loadcnt_dscnt 0x0
	ds_store_2addr_b64 v165, v[0:1], v[2:3] offset1:1
	flat_load_b128 v[0:3], v[6:7]
	s_wait_xcnt 0x0
	v_add_nc_u64_e32 v[6:7], s[40:41], v[6:7]
	s_wait_loadcnt_dscnt 0x0
	ds_store_2addr_b64 v166, v[0:1], v[2:3] offset1:1
	flat_load_b128 v[0:3], v[6:7]
	s_wait_xcnt 0x0
	v_add_nc_u64_e32 v[6:7], s[40:41], v[6:7]
	s_wait_loadcnt_dscnt 0x0
	ds_store_2addr_b64 v167, v[0:1], v[2:3] offset1:1
	flat_load_b128 v[0:3], v[6:7]
	s_wait_loadcnt_dscnt 0x0
	ds_store_2addr_b64 v168, v[0:1], v[2:3] offset1:1
.LBB194_14:                             ;   in Loop: Header=BB194_4 Depth=1
	s_and_not1_b32 vcc_lo, exec_lo, s29
	s_cbranch_vccnz .LBB194_26
; %bb.15:                               ;   in Loop: Header=BB194_4 Depth=1
	s_wait_xcnt 0x0
	s_and_saveexec_b32 s29, s3
	s_delay_alu instid0(SALU_CYCLE_1)
	s_xor_b32 s29, exec_lo, s29
; %bb.16:                               ;   in Loop: Header=BB194_4 Depth=1
	v_dual_mov_b32 v0, v147 :: v_dual_mov_b32 v1, v147
	v_dual_mov_b32 v2, v147 :: v_dual_mov_b32 v3, v147
	ds_store_b128 v165, v[0:3]
; %bb.17:                               ;   in Loop: Header=BB194_4 Depth=1
	s_or_saveexec_b32 s29, s29
	v_lshl_add_u64 v[0:1], v[154:155], 4, v[4:5]
	s_delay_alu instid0(VALU_DEP_1) | instskip(NEXT) | instid1(VALU_DEP_1)
	v_lshl_add_u64 v[0:1], s[38:39], 4, v[0:1]
	v_add_nc_u64_e32 v[0:1], -16, v[0:1]
	s_delay_alu instid0(VALU_DEP_1)
	v_dual_cndmask_b32 v1, v1, v5, s2 :: v_dual_cndmask_b32 v0, v0, v4, s2
	s_xor_b32 exec_lo, exec_lo, s29
	s_cbranch_execnz .LBB194_87
; %bb.18:                               ;   in Loop: Header=BB194_4 Depth=1
	s_or_b32 exec_lo, exec_lo, s29
	s_and_saveexec_b32 s29, s4
	s_delay_alu instid0(SALU_CYCLE_1)
	s_xor_b32 s29, exec_lo, s29
	s_cbranch_execnz .LBB194_88
.LBB194_19:                             ;   in Loop: Header=BB194_4 Depth=1
	s_and_not1_saveexec_b32 s29, s29
	s_cbranch_execnz .LBB194_89
.LBB194_20:                             ;   in Loop: Header=BB194_4 Depth=1
	s_or_b32 exec_lo, exec_lo, s29
	s_and_saveexec_b32 s29, s5
	s_delay_alu instid0(SALU_CYCLE_1)
	s_xor_b32 s29, exec_lo, s29
	s_cbranch_execnz .LBB194_90
.LBB194_21:                             ;   in Loop: Header=BB194_4 Depth=1
	s_and_not1_saveexec_b32 s29, s29
	s_cbranch_execnz .LBB194_91
.LBB194_22:                             ;   in Loop: Header=BB194_4 Depth=1
	s_or_b32 exec_lo, exec_lo, s29
	s_and_saveexec_b32 s29, s6
	s_delay_alu instid0(SALU_CYCLE_1)
	s_xor_b32 s29, exec_lo, s29
	s_cbranch_execnz .LBB194_92
.LBB194_23:                             ;   in Loop: Header=BB194_4 Depth=1
	s_and_not1_saveexec_b32 s29, s29
	s_cbranch_execz .LBB194_25
.LBB194_24:                             ;   in Loop: Header=BB194_4 Depth=1
	v_add_nc_u64_e32 v[2:3], s[48:49], v[0:1]
	flat_load_b128 v[6:9], v[2:3]
	s_wait_loadcnt_dscnt 0x0
	ds_store_2addr_b64 v168, v[6:7], v[8:9] offset1:1
.LBB194_25:                             ;   in Loop: Header=BB194_4 Depth=1
	s_wait_xcnt 0x0
	s_or_b32 exec_lo, exec_lo, s29
	v_add_nc_u64_e32 v[0:1], v[0:1], v[146:147]
	s_delay_alu instid0(VALU_DEP_1) | instskip(NEXT) | instid1(VALU_DEP_1)
	v_lshl_add_u64 v[0:1], s[58:59], 4, v[0:1]
	v_add_nc_u64_e32 v[0:1], 16, v[0:1]
	s_delay_alu instid0(VALU_DEP_1)
	v_dual_cndmask_b32 v5, v1, v5, s2 :: v_dual_cndmask_b32 v4, v0, v4, s2
.LBB194_26:                             ;   in Loop: Header=BB194_4 Depth=1
	s_mov_b32 s29, s31
	s_wait_dscnt 0x0
	s_barrier_signal -1
	s_barrier_wait -1
	s_wait_xcnt 0x0
	s_and_saveexec_b32 s30, s7
	s_cbranch_execnz .LBB194_81
; %bb.27:                               ;   in Loop: Header=BB194_4 Depth=1
	s_or_b32 exec_lo, exec_lo, s30
	s_and_saveexec_b32 s30, s8
	s_cbranch_execnz .LBB194_82
.LBB194_28:                             ;   in Loop: Header=BB194_4 Depth=1
	s_or_b32 exec_lo, exec_lo, s30
	s_and_saveexec_b32 s30, s9
	s_cbranch_execnz .LBB194_83
.LBB194_29:                             ;   in Loop: Header=BB194_4 Depth=1
	s_or_b32 exec_lo, exec_lo, s30
	s_and_saveexec_b32 s30, s10
	s_cbranch_execz .LBB194_31
.LBB194_30:                             ;   in Loop: Header=BB194_4 Depth=1
	ds_load_b128 v[0:3], v177
	s_wait_dscnt 0x0
	ds_store_b128 v176, v[0:3]
.LBB194_31:                             ;   in Loop: Header=BB194_4 Depth=1
	s_or_b32 exec_lo, exec_lo, s30
	s_wait_dscnt 0x0
	s_barrier_signal -1
	s_barrier_wait -1
	ds_load_b128 v[0:3], v170
	ds_load_b128 v[6:9], v178
	ds_load_b128 v[10:13], v178 offset:16
	ds_load_b128 v[14:17], v172
	s_wait_dscnt 0x2
	v_mul_f64_e32 v[18:19], v[8:9], v[2:3]
	v_mul_f64_e32 v[24:25], v[6:7], v[2:3]
	s_wait_dscnt 0x0
	v_mul_f64_e32 v[26:27], v[12:13], v[16:17]
	v_mul_f64_e32 v[28:29], v[10:11], v[16:17]
	s_delay_alu instid0(VALU_DEP_4) | instskip(NEXT) | instid1(VALU_DEP_4)
	v_fma_f64 v[30:31], v[6:7], v[0:1], -v[18:19]
	v_fmac_f64_e32 v[24:25], v[8:9], v[0:1]
	ds_load_b128 v[0:3], v174
	ds_load_b128 v[6:9], v178 offset:32
	ds_load_b128 v[16:19], v178 offset:48
	ds_load_b128 v[20:23], v177
	v_fma_f64 v[10:11], v[10:11], v[14:15], -v[26:27]
	v_fmac_f64_e32 v[28:29], v[12:13], v[14:15]
	s_wait_dscnt 0x0
	s_barrier_signal -1
	s_barrier_wait -1
	v_mul_f64_e32 v[32:33], v[8:9], v[2:3]
	v_mul_f64_e32 v[2:3], v[6:7], v[2:3]
	v_add_f64_e32 v[12:13], 0, v[30:31]
	v_add_f64_e32 v[14:15], 0, v[24:25]
	v_mul_f64_e32 v[24:25], v[18:19], v[22:23]
	v_mul_f64_e32 v[22:23], v[16:17], v[22:23]
	v_fma_f64 v[6:7], v[6:7], v[0:1], -v[32:33]
	v_fmac_f64_e32 v[2:3], v[8:9], v[0:1]
	v_add_f64_e32 v[0:1], v[12:13], v[10:11]
	v_add_f64_e32 v[8:9], v[14:15], v[28:29]
	v_fma_f64 v[10:11], v[16:17], v[20:21], -v[24:25]
	v_fmac_f64_e32 v[22:23], v[18:19], v[20:21]
	s_delay_alu instid0(VALU_DEP_4) | instskip(NEXT) | instid1(VALU_DEP_4)
	v_add_f64_e32 v[0:1], v[0:1], v[6:7]
	v_add_f64_e32 v[2:3], v[8:9], v[2:3]
	s_delay_alu instid0(VALU_DEP_2) | instskip(NEXT) | instid1(VALU_DEP_2)
	v_add_f64_e32 v[6:7], v[0:1], v[10:11]
	v_add_f64_e32 v[8:9], v[2:3], v[22:23]
	v_mov_b64_e32 v[0:1], 0
	v_mov_b64_e32 v[2:3], 0
	ds_store_b128 v179, v[6:9]
	s_wait_dscnt 0x0
	s_barrier_signal -1
	s_barrier_wait -1
	s_and_saveexec_b32 s30, s11
	s_cbranch_execz .LBB194_33
; %bb.32:                               ;   in Loop: Header=BB194_4 Depth=1
	ds_load_b128 v[0:3], v175
	ds_load_b128 v[6:9], v175 offset:16
	s_wait_dscnt 0x0
	v_add_f64_e32 v[10:11], v[6:7], v[0:1]
	v_add_f64_e32 v[12:13], v[8:9], v[2:3]
	ds_load_b128 v[0:3], v175 offset:32
	ds_load_b128 v[6:9], v175 offset:48
	s_wait_dscnt 0x1
	v_add_f64_e32 v[0:1], v[10:11], v[0:1]
	v_add_f64_e32 v[2:3], v[12:13], v[2:3]
	s_wait_dscnt 0x0
	s_delay_alu instid0(VALU_DEP_2) | instskip(NEXT) | instid1(VALU_DEP_2)
	v_add_f64_e32 v[10:11], v[0:1], v[6:7]
	v_add_f64_e32 v[12:13], v[2:3], v[8:9]
	ds_load_b128 v[0:3], v175 offset:64
	ds_load_b128 v[6:9], v175 offset:80
	s_wait_dscnt 0x1
	v_add_f64_e32 v[0:1], v[10:11], v[0:1]
	v_add_f64_e32 v[2:3], v[12:13], v[2:3]
	s_wait_dscnt 0x0
	s_delay_alu instid0(VALU_DEP_2) | instskip(NEXT) | instid1(VALU_DEP_2)
	v_add_f64_e32 v[10:11], v[0:1], v[6:7]
	v_add_f64_e32 v[12:13], v[2:3], v[8:9]
	ds_load_b128 v[0:3], v175 offset:96
	ds_load_b128 v[6:9], v175 offset:112
	s_wait_dscnt 0x1
	v_add_f64_e32 v[0:1], v[10:11], v[0:1]
	v_add_f64_e32 v[2:3], v[12:13], v[2:3]
	s_wait_dscnt 0x0
	s_delay_alu instid0(VALU_DEP_2) | instskip(NEXT) | instid1(VALU_DEP_2)
	v_add_f64_e32 v[0:1], v[0:1], v[6:7]
	v_add_f64_e32 v[2:3], v[2:3], v[8:9]
.LBB194_33:                             ;   in Loop: Header=BB194_4 Depth=1
	s_or_b32 exec_lo, exec_lo, s30
	v_lshl_add_u64 v[6:7], s[50:51], 4, v[4:5]
	s_and_not1_b32 vcc_lo, exec_lo, s74
	s_mov_b32 s30, -1
	s_barrier_signal -1
	s_delay_alu instid0(VALU_DEP_1)
	v_add_nc_u64_e32 v[4:5], 0x200, v[6:7]
	s_barrier_wait -1
	s_cbranch_vccnz .LBB194_35
; %bb.34:                               ;   in Loop: Header=BB194_4 Depth=1
	flat_load_b128 v[8:11], v[4:5]
	v_add_nc_u64_e32 v[12:13], s[40:41], v[6:7]
	s_mov_b32 s30, 0
	s_wait_loadcnt_dscnt 0x0
	ds_store_2addr_b64 v165, v[8:9], v[10:11] offset1:1
	flat_load_b128 v[8:11], v[12:13] offset:512
	s_wait_xcnt 0x0
	v_add_nc_u64_e32 v[12:13], s[40:41], v[12:13]
	s_wait_loadcnt_dscnt 0x0
	ds_store_2addr_b64 v166, v[8:9], v[10:11] offset1:1
	flat_load_b128 v[8:11], v[12:13] offset:512
	s_wait_xcnt 0x0
	v_add_nc_u64_e32 v[12:13], s[40:41], v[12:13]
	s_wait_loadcnt_dscnt 0x0
	ds_store_2addr_b64 v167, v[8:9], v[10:11] offset1:1
	flat_load_b128 v[8:11], v[12:13] offset:512
	s_wait_loadcnt_dscnt 0x0
	ds_store_2addr_b64 v168, v[8:9], v[10:11] offset1:1
.LBB194_35:                             ;   in Loop: Header=BB194_4 Depth=1
	s_and_not1_b32 vcc_lo, exec_lo, s30
	s_cbranch_vccnz .LBB194_47
; %bb.36:                               ;   in Loop: Header=BB194_4 Depth=1
	s_wait_xcnt 0x0
	s_and_saveexec_b32 s30, s13
	s_delay_alu instid0(SALU_CYCLE_1)
	s_xor_b32 s30, exec_lo, s30
; %bb.37:                               ;   in Loop: Header=BB194_4 Depth=1
	v_dual_mov_b32 v8, v147 :: v_dual_mov_b32 v9, v147
	v_dual_mov_b32 v10, v147 :: v_dual_mov_b32 v11, v147
	ds_store_b128 v165, v[8:11]
; %bb.38:                               ;   in Loop: Header=BB194_4 Depth=1
	s_or_saveexec_b32 s30, s30
	v_lshl_add_u64 v[6:7], v[154:155], 4, v[6:7]
	s_delay_alu instid0(VALU_DEP_1) | instskip(NEXT) | instid1(VALU_DEP_1)
	v_lshl_add_u64 v[6:7], s[38:39], 4, v[6:7]
	v_add_nc_u64_e32 v[6:7], -16, v[6:7]
	s_delay_alu instid0(VALU_DEP_1)
	v_dual_cndmask_b32 v7, v7, v5, s12 :: v_dual_cndmask_b32 v6, v6, v4, s12
	s_xor_b32 exec_lo, exec_lo, s30
	s_cbranch_execnz .LBB194_93
; %bb.39:                               ;   in Loop: Header=BB194_4 Depth=1
	s_or_b32 exec_lo, exec_lo, s30
	s_and_saveexec_b32 s30, s14
	s_delay_alu instid0(SALU_CYCLE_1)
	s_xor_b32 s30, exec_lo, s30
	s_cbranch_execnz .LBB194_94
.LBB194_40:                             ;   in Loop: Header=BB194_4 Depth=1
	s_and_not1_saveexec_b32 s30, s30
	s_cbranch_execnz .LBB194_95
.LBB194_41:                             ;   in Loop: Header=BB194_4 Depth=1
	s_or_b32 exec_lo, exec_lo, s30
	s_and_saveexec_b32 s30, s15
	s_delay_alu instid0(SALU_CYCLE_1)
	s_xor_b32 s30, exec_lo, s30
	s_cbranch_execnz .LBB194_96
.LBB194_42:                             ;   in Loop: Header=BB194_4 Depth=1
	s_and_not1_saveexec_b32 s30, s30
	s_cbranch_execnz .LBB194_97
.LBB194_43:                             ;   in Loop: Header=BB194_4 Depth=1
	s_or_b32 exec_lo, exec_lo, s30
	s_and_saveexec_b32 s30, s16
	s_delay_alu instid0(SALU_CYCLE_1)
	s_xor_b32 s30, exec_lo, s30
	s_cbranch_execnz .LBB194_98
.LBB194_44:                             ;   in Loop: Header=BB194_4 Depth=1
	s_and_not1_saveexec_b32 s30, s30
	s_cbranch_execz .LBB194_46
.LBB194_45:                             ;   in Loop: Header=BB194_4 Depth=1
	v_add_nc_u64_e32 v[8:9], s[48:49], v[6:7]
	flat_load_b128 v[8:11], v[8:9]
	s_wait_loadcnt_dscnt 0x0
	ds_store_2addr_b64 v168, v[8:9], v[10:11] offset1:1
.LBB194_46:                             ;   in Loop: Header=BB194_4 Depth=1
	s_wait_xcnt 0x0
	s_or_b32 exec_lo, exec_lo, s30
	v_add_nc_u64_e32 v[6:7], v[6:7], v[146:147]
	s_delay_alu instid0(VALU_DEP_1) | instskip(NEXT) | instid1(VALU_DEP_1)
	v_lshl_add_u64 v[6:7], s[58:59], 4, v[6:7]
	v_add_nc_u64_e32 v[6:7], 0x210, v[6:7]
	s_delay_alu instid0(VALU_DEP_1)
	v_dual_cndmask_b32 v5, v7, v5, s12 :: v_dual_cndmask_b32 v4, v6, v4, s12
.LBB194_47:                             ;   in Loop: Header=BB194_4 Depth=1
	s_wait_dscnt 0x0
	s_barrier_signal -1
	s_barrier_wait -1
	s_wait_xcnt 0x0
	s_and_saveexec_b32 s30, s7
	s_cbranch_execnz .LBB194_84
; %bb.48:                               ;   in Loop: Header=BB194_4 Depth=1
	s_or_b32 exec_lo, exec_lo, s30
	s_and_saveexec_b32 s30, s8
	s_cbranch_execnz .LBB194_85
.LBB194_49:                             ;   in Loop: Header=BB194_4 Depth=1
	s_or_b32 exec_lo, exec_lo, s30
	s_and_saveexec_b32 s30, s9
	s_cbranch_execnz .LBB194_86
.LBB194_50:                             ;   in Loop: Header=BB194_4 Depth=1
	s_or_b32 exec_lo, exec_lo, s30
	s_and_saveexec_b32 s30, s10
	s_cbranch_execz .LBB194_52
.LBB194_51:                             ;   in Loop: Header=BB194_4 Depth=1
	ds_load_b128 v[6:9], v177
	s_wait_dscnt 0x0
	ds_store_b128 v183, v[6:9]
.LBB194_52:                             ;   in Loop: Header=BB194_4 Depth=1
	s_or_b32 exec_lo, exec_lo, s30
	s_wait_dscnt 0x0
	s_barrier_signal -1
	s_barrier_wait -1
	ds_load_b128 v[6:9], v170
	ds_load_b128 v[10:13], v178 offset:512
	ds_load_b128 v[14:17], v178 offset:528
	ds_load_b128 v[18:21], v172
	s_wait_dscnt 0x2
	v_mul_f64_e32 v[22:23], v[12:13], v[8:9]
	v_mul_f64_e32 v[28:29], v[10:11], v[8:9]
	s_wait_dscnt 0x0
	v_mul_f64_e32 v[30:31], v[16:17], v[20:21]
	v_mul_f64_e32 v[32:33], v[14:15], v[20:21]
	s_delay_alu instid0(VALU_DEP_4) | instskip(NEXT) | instid1(VALU_DEP_4)
	v_fma_f64 v[34:35], v[10:11], v[6:7], -v[22:23]
	v_fmac_f64_e32 v[28:29], v[12:13], v[6:7]
	ds_load_b128 v[6:9], v174
	ds_load_b128 v[10:13], v178 offset:544
	ds_load_b128 v[20:23], v178 offset:560
	ds_load_b128 v[24:27], v177
	v_fma_f64 v[14:15], v[14:15], v[18:19], -v[30:31]
	v_fmac_f64_e32 v[32:33], v[16:17], v[18:19]
	s_wait_dscnt 0x0
	s_barrier_signal -1
	s_barrier_wait -1
	v_mul_f64_e32 v[38:39], v[12:13], v[8:9]
	v_mul_f64_e32 v[8:9], v[10:11], v[8:9]
	v_add_f64_e32 v[16:17], 0, v[34:35]
	v_add_f64_e32 v[18:19], 0, v[28:29]
	v_mul_f64_e32 v[28:29], v[22:23], v[26:27]
	v_mul_f64_e32 v[26:27], v[20:21], v[26:27]
	v_fma_f64 v[10:11], v[10:11], v[6:7], -v[38:39]
	v_fmac_f64_e32 v[8:9], v[12:13], v[6:7]
	v_add_f64_e32 v[6:7], v[16:17], v[14:15]
	v_add_f64_e32 v[12:13], v[18:19], v[32:33]
	v_fma_f64 v[14:15], v[20:21], v[24:25], -v[28:29]
	v_fmac_f64_e32 v[26:27], v[22:23], v[24:25]
	s_delay_alu instid0(VALU_DEP_4) | instskip(NEXT) | instid1(VALU_DEP_4)
	v_add_f64_e32 v[6:7], v[6:7], v[10:11]
	v_add_f64_e32 v[8:9], v[12:13], v[8:9]
	s_delay_alu instid0(VALU_DEP_2) | instskip(NEXT) | instid1(VALU_DEP_2)
	v_add_f64_e32 v[6:7], v[6:7], v[14:15]
	v_add_f64_e32 v[8:9], v[8:9], v[26:27]
	ds_store_b128 v179, v[6:9]
	s_wait_dscnt 0x0
	s_barrier_signal -1
	s_barrier_wait -1
	s_and_saveexec_b32 s30, s17
	s_cbranch_execz .LBB194_54
; %bb.53:                               ;   in Loop: Header=BB194_4 Depth=1
	ds_load_b128 v[0:3], v175
	ds_load_b128 v[6:9], v175 offset:16
	s_wait_dscnt 0x0
	v_add_f64_e32 v[10:11], v[6:7], v[0:1]
	v_add_f64_e32 v[12:13], v[8:9], v[2:3]
	ds_load_b128 v[0:3], v175 offset:32
	ds_load_b128 v[6:9], v175 offset:48
	s_wait_dscnt 0x1
	v_add_f64_e32 v[0:1], v[10:11], v[0:1]
	v_add_f64_e32 v[2:3], v[12:13], v[2:3]
	s_wait_dscnt 0x0
	s_delay_alu instid0(VALU_DEP_2) | instskip(NEXT) | instid1(VALU_DEP_2)
	v_add_f64_e32 v[10:11], v[0:1], v[6:7]
	v_add_f64_e32 v[12:13], v[2:3], v[8:9]
	ds_load_b128 v[0:3], v175 offset:64
	ds_load_b128 v[6:9], v175 offset:80
	s_wait_dscnt 0x1
	v_add_f64_e32 v[0:1], v[10:11], v[0:1]
	v_add_f64_e32 v[2:3], v[12:13], v[2:3]
	s_wait_dscnt 0x0
	s_delay_alu instid0(VALU_DEP_2) | instskip(NEXT) | instid1(VALU_DEP_2)
	;; [unrolled: 9-line block ×3, first 2 shown]
	v_add_f64_e32 v[0:1], v[0:1], v[6:7]
	v_add_f64_e32 v[2:3], v[2:3], v[8:9]
.LBB194_54:                             ;   in Loop: Header=BB194_4 Depth=1
	s_or_b32 exec_lo, exec_lo, s30
	v_lshl_add_u64 v[38:39], s[52:53], 4, v[4:5]
	s_and_not1_b32 vcc_lo, exec_lo, s74
	s_mov_b32 s30, -1
	s_barrier_signal -1
	s_barrier_wait -1
	s_cbranch_vccnz .LBB194_56
; %bb.55:                               ;   in Loop: Header=BB194_4 Depth=1
	flat_load_b128 v[4:7], v[38:39]
	v_add_nc_u64_e32 v[8:9], s[40:41], v[38:39]
	s_mov_b32 s30, 0
	s_wait_loadcnt_dscnt 0x0
	ds_store_2addr_b64 v165, v[4:5], v[6:7] offset1:1
	flat_load_b128 v[4:7], v[8:9]
	s_wait_xcnt 0x0
	v_add_nc_u64_e32 v[8:9], s[40:41], v[8:9]
	s_wait_loadcnt_dscnt 0x0
	ds_store_2addr_b64 v166, v[4:5], v[6:7] offset1:1
	flat_load_b128 v[4:7], v[8:9]
	s_wait_xcnt 0x0
	v_add_nc_u64_e32 v[8:9], s[40:41], v[8:9]
	s_wait_loadcnt_dscnt 0x0
	ds_store_2addr_b64 v167, v[4:5], v[6:7] offset1:1
	flat_load_b128 v[4:7], v[8:9]
	s_wait_loadcnt_dscnt 0x0
	ds_store_2addr_b64 v168, v[4:5], v[6:7] offset1:1
.LBB194_56:                             ;   in Loop: Header=BB194_4 Depth=1
	s_and_not1_b32 vcc_lo, exec_lo, s30
	s_cbranch_vccnz .LBB194_68
; %bb.57:                               ;   in Loop: Header=BB194_4 Depth=1
	s_wait_xcnt 0x0
	s_and_saveexec_b32 s30, s3
	s_delay_alu instid0(SALU_CYCLE_1)
	s_xor_b32 s30, exec_lo, s30
; %bb.58:                               ;   in Loop: Header=BB194_4 Depth=1
	v_dual_mov_b32 v4, v147 :: v_dual_mov_b32 v5, v147
	v_dual_mov_b32 v6, v147 :: v_dual_mov_b32 v7, v147
	ds_store_b128 v165, v[4:7]
; %bb.59:                               ;   in Loop: Header=BB194_4 Depth=1
	s_or_saveexec_b32 s30, s30
	v_lshl_add_u64 v[4:5], v[154:155], 4, v[38:39]
	s_delay_alu instid0(VALU_DEP_1) | instskip(NEXT) | instid1(VALU_DEP_1)
	v_lshl_add_u64 v[4:5], s[38:39], 4, v[4:5]
	v_add_nc_u64_e32 v[4:5], s[64:65], v[4:5]
	s_delay_alu instid0(VALU_DEP_1)
	v_dual_cndmask_b32 v5, v5, v39, s12 :: v_dual_cndmask_b32 v4, v4, v38, s12
	s_xor_b32 exec_lo, exec_lo, s30
	s_cbranch_execnz .LBB194_99
; %bb.60:                               ;   in Loop: Header=BB194_4 Depth=1
	s_or_b32 exec_lo, exec_lo, s30
	s_and_saveexec_b32 s30, s4
	s_delay_alu instid0(SALU_CYCLE_1)
	s_xor_b32 s30, exec_lo, s30
	s_cbranch_execnz .LBB194_100
.LBB194_61:                             ;   in Loop: Header=BB194_4 Depth=1
	s_and_not1_saveexec_b32 s30, s30
	s_cbranch_execnz .LBB194_101
.LBB194_62:                             ;   in Loop: Header=BB194_4 Depth=1
	s_or_b32 exec_lo, exec_lo, s30
	s_and_saveexec_b32 s30, s5
	s_delay_alu instid0(SALU_CYCLE_1)
	s_xor_b32 s30, exec_lo, s30
	s_cbranch_execnz .LBB194_102
.LBB194_63:                             ;   in Loop: Header=BB194_4 Depth=1
	s_and_not1_saveexec_b32 s30, s30
	s_cbranch_execnz .LBB194_103
.LBB194_64:                             ;   in Loop: Header=BB194_4 Depth=1
	s_or_b32 exec_lo, exec_lo, s30
	s_and_saveexec_b32 s30, s6
	s_delay_alu instid0(SALU_CYCLE_1)
	s_xor_b32 s30, exec_lo, s30
	s_cbranch_execnz .LBB194_104
.LBB194_65:                             ;   in Loop: Header=BB194_4 Depth=1
	s_and_not1_saveexec_b32 s30, s30
	s_cbranch_execz .LBB194_67
.LBB194_66:                             ;   in Loop: Header=BB194_4 Depth=1
	v_add_nc_u64_e32 v[6:7], s[48:49], v[4:5]
	flat_load_b128 v[6:9], v[6:7]
	s_wait_loadcnt_dscnt 0x0
	ds_store_2addr_b64 v168, v[6:7], v[8:9] offset1:1
.LBB194_67:                             ;   in Loop: Header=BB194_4 Depth=1
	s_wait_xcnt 0x0
	s_or_b32 exec_lo, exec_lo, s30
	v_add_nc_u64_e32 v[4:5], v[4:5], v[146:147]
	s_delay_alu instid0(VALU_DEP_1) | instskip(NEXT) | instid1(VALU_DEP_1)
	v_lshl_add_u64 v[4:5], s[58:59], 4, v[4:5]
	v_add_nc_u64_e32 v[4:5], 0x210, v[4:5]
	s_delay_alu instid0(VALU_DEP_1)
	v_dual_cndmask_b32 v39, v5, v39, s12 :: v_dual_cndmask_b32 v38, v4, v38, s12
.LBB194_68:                             ;   in Loop: Header=BB194_4 Depth=1
	s_wait_dscnt 0x0
	s_barrier_signal -1
	s_barrier_wait -1
	ds_load_b128 v[4:7], v193
	s_wait_xcnt 0x0
	ds_load_b128 v[8:11], v165
	ds_load_b128 v[12:15], v166
	ds_load_b128 v[16:19], v192 offset:384
	ds_load_b128 v[20:23], v192 offset:128
	;; [unrolled: 1-line block ×3, first 2 shown]
	s_wait_dscnt 0x4
	v_mul_f64_e32 v[28:29], v[6:7], v[10:11]
	v_mul_f64_e32 v[30:31], v[4:5], v[10:11]
	s_wait_dscnt 0x1
	v_mul_f64_e32 v[32:33], v[22:23], v[14:15]
	v_mul_f64_e32 v[14:15], v[20:21], v[14:15]
	s_delay_alu instid0(VALU_DEP_4) | instskip(NEXT) | instid1(VALU_DEP_4)
	v_fma_f64 v[28:29], v[4:5], v[8:9], -v[28:29]
	v_fmac_f64_e32 v[30:31], v[6:7], v[8:9]
	ds_load_b128 v[4:7], v167
	ds_load_b128 v[8:11], v168
	v_fma_f64 v[20:21], v[20:21], v[12:13], -v[32:33]
	v_fmac_f64_e32 v[14:15], v[22:23], v[12:13]
	s_wait_dscnt 0x1
	v_mul_f64_e32 v[34:35], v[26:27], v[6:7]
	v_mul_f64_e32 v[6:7], v[24:25], v[6:7]
	v_add_f64_e32 v[12:13], 0, v[28:29]
	v_add_f64_e32 v[22:23], 0, v[30:31]
	s_wait_dscnt 0x0
	v_mul_f64_e32 v[28:29], v[18:19], v[10:11]
	v_mul_f64_e32 v[10:11], v[16:17], v[10:11]
	v_fma_f64 v[24:25], v[24:25], v[4:5], -v[34:35]
	v_fmac_f64_e32 v[6:7], v[26:27], v[4:5]
	v_add_f64_e32 v[4:5], v[12:13], v[20:21]
	v_add_f64_e32 v[12:13], v[22:23], v[14:15]
	v_fma_f64 v[14:15], v[16:17], v[8:9], -v[28:29]
	v_fmac_f64_e32 v[10:11], v[18:19], v[8:9]
	s_delay_alu instid0(VALU_DEP_4) | instskip(NEXT) | instid1(VALU_DEP_4)
	v_add_f64_e32 v[4:5], v[4:5], v[24:25]
	v_add_f64_e32 v[6:7], v[12:13], v[6:7]
	s_delay_alu instid0(VALU_DEP_2) | instskip(NEXT) | instid1(VALU_DEP_2)
	v_add_f64_e32 v[40:41], v[4:5], v[14:15]
	v_add_f64_e32 v[42:43], v[6:7], v[10:11]
	ds_load_b128 v[28:31], v184
	ds_load_b128 v[20:23], v184 offset:16
	ds_load_b128 v[8:11], v184 offset:32
	ds_load_b128 v[4:7], v184 offset:48
	ds_load_b128 v[32:35], v178 offset:512
	ds_load_b128 v[24:27], v178 offset:528
	ds_load_b128 v[16:19], v178 offset:544
	ds_load_b128 v[12:15], v178 offset:560
	s_wait_dscnt 0x0
	s_barrier_signal -1
	s_barrier_wait -1
	ds_store_b128 v179, v[40:43]
	s_wait_dscnt 0x0
	s_barrier_signal -1
	s_barrier_wait -1
	s_and_saveexec_b32 s30, s17
	s_cbranch_execz .LBB194_70
; %bb.69:                               ;   in Loop: Header=BB194_4 Depth=1
	ds_load_b128 v[40:43], v175
	ds_load_b128 v[44:47], v175 offset:16
	s_wait_dscnt 0x1
	v_add_f64_e32 v[0:1], v[0:1], v[40:41]
	v_add_f64_e32 v[2:3], v[2:3], v[42:43]
	s_wait_dscnt 0x0
	s_delay_alu instid0(VALU_DEP_2) | instskip(NEXT) | instid1(VALU_DEP_2)
	v_add_f64_e32 v[44:45], v[0:1], v[44:45]
	v_add_f64_e32 v[46:47], v[2:3], v[46:47]
	ds_load_b128 v[0:3], v175 offset:32
	ds_load_b128 v[40:43], v175 offset:48
	s_wait_dscnt 0x1
	v_add_f64_e32 v[0:1], v[44:45], v[0:1]
	v_add_f64_e32 v[2:3], v[46:47], v[2:3]
	s_wait_dscnt 0x0
	s_delay_alu instid0(VALU_DEP_2) | instskip(NEXT) | instid1(VALU_DEP_2)
	v_add_f64_e32 v[44:45], v[0:1], v[40:41]
	v_add_f64_e32 v[46:47], v[2:3], v[42:43]
	ds_load_b128 v[0:3], v175 offset:64
	;; [unrolled: 9-line block ×3, first 2 shown]
	ds_load_b128 v[40:43], v175 offset:112
	s_wait_dscnt 0x1
	v_add_f64_e32 v[0:1], v[44:45], v[0:1]
	v_add_f64_e32 v[2:3], v[46:47], v[2:3]
	s_wait_dscnt 0x0
	s_delay_alu instid0(VALU_DEP_2) | instskip(NEXT) | instid1(VALU_DEP_2)
	v_add_f64_e32 v[0:1], v[0:1], v[40:41]
	v_add_f64_e32 v[2:3], v[2:3], v[42:43]
.LBB194_70:                             ;   in Loop: Header=BB194_4 Depth=1
	s_or_b32 exec_lo, exec_lo, s30
	v_mul_f64_e32 v[40:41], v[30:31], v[34:35]
	v_mul_f64_e32 v[34:35], v[28:29], v[34:35]
	v_mul_f64_e32 v[42:43], v[22:23], v[26:27]
	v_mul_f64_e32 v[26:27], v[20:21], v[26:27]
	s_barrier_signal -1
	s_barrier_wait -1
	s_delay_alu instid0(VALU_DEP_4) | instskip(NEXT) | instid1(VALU_DEP_4)
	v_fma_f64 v[28:29], v[28:29], v[32:33], -v[40:41]
	v_fmac_f64_e32 v[34:35], v[30:31], v[32:33]
	v_mul_f64_e32 v[30:31], v[10:11], v[18:19]
	v_mul_f64_e32 v[18:19], v[8:9], v[18:19]
	v_fma_f64 v[20:21], v[20:21], v[24:25], -v[42:43]
	v_fmac_f64_e32 v[26:27], v[22:23], v[24:25]
	v_add_f64_e32 v[22:23], 0, v[28:29]
	v_add_f64_e32 v[24:25], 0, v[34:35]
	v_mul_f64_e32 v[28:29], v[6:7], v[14:15]
	v_mul_f64_e32 v[14:15], v[4:5], v[14:15]
	v_fma_f64 v[8:9], v[8:9], v[16:17], -v[30:31]
	v_fmac_f64_e32 v[18:19], v[10:11], v[16:17]
	v_add_f64_e32 v[10:11], v[22:23], v[20:21]
	v_add_f64_e32 v[16:17], v[24:25], v[26:27]
	v_fma_f64 v[4:5], v[4:5], v[12:13], -v[28:29]
	v_fmac_f64_e32 v[14:15], v[6:7], v[12:13]
	s_delay_alu instid0(VALU_DEP_4) | instskip(NEXT) | instid1(VALU_DEP_4)
	v_add_f64_e32 v[6:7], v[10:11], v[8:9]
	v_add_f64_e32 v[8:9], v[16:17], v[18:19]
	s_delay_alu instid0(VALU_DEP_2) | instskip(NEXT) | instid1(VALU_DEP_2)
	v_add_f64_e32 v[4:5], v[6:7], v[4:5]
	v_add_f64_e32 v[6:7], v[8:9], v[14:15]
	ds_store_b128 v179, v[4:7]
	s_wait_dscnt 0x0
	s_barrier_signal -1
	s_barrier_wait -1
	s_and_saveexec_b32 s30, s11
	s_cbranch_execz .LBB194_72
; %bb.71:                               ;   in Loop: Header=BB194_4 Depth=1
	ds_load_b128 v[4:7], v175
	ds_load_b128 v[8:11], v175 offset:16
	s_wait_dscnt 0x1
	v_add_f64_e32 v[0:1], v[0:1], v[4:5]
	v_add_f64_e32 v[2:3], v[2:3], v[6:7]
	s_wait_dscnt 0x0
	s_delay_alu instid0(VALU_DEP_2) | instskip(NEXT) | instid1(VALU_DEP_2)
	v_add_f64_e32 v[8:9], v[0:1], v[8:9]
	v_add_f64_e32 v[10:11], v[2:3], v[10:11]
	ds_load_b128 v[0:3], v175 offset:32
	ds_load_b128 v[4:7], v175 offset:48
	s_wait_dscnt 0x1
	v_add_f64_e32 v[0:1], v[8:9], v[0:1]
	v_add_f64_e32 v[2:3], v[10:11], v[2:3]
	s_wait_dscnt 0x0
	s_delay_alu instid0(VALU_DEP_2) | instskip(NEXT) | instid1(VALU_DEP_2)
	v_add_f64_e32 v[8:9], v[0:1], v[4:5]
	v_add_f64_e32 v[10:11], v[2:3], v[6:7]
	ds_load_b128 v[0:3], v175 offset:64
	ds_load_b128 v[4:7], v175 offset:80
	s_wait_dscnt 0x1
	v_add_f64_e32 v[0:1], v[8:9], v[0:1]
	v_add_f64_e32 v[2:3], v[10:11], v[2:3]
	s_wait_dscnt 0x0
	s_delay_alu instid0(VALU_DEP_2) | instskip(NEXT) | instid1(VALU_DEP_2)
	v_add_f64_e32 v[8:9], v[0:1], v[4:5]
	v_add_f64_e32 v[10:11], v[2:3], v[6:7]
	ds_load_b128 v[0:3], v175 offset:96
	ds_load_b128 v[4:7], v175 offset:112
	s_wait_dscnt 0x1
	v_add_f64_e32 v[0:1], v[8:9], v[0:1]
	v_add_f64_e32 v[2:3], v[10:11], v[2:3]
	s_wait_dscnt 0x0
	s_delay_alu instid0(VALU_DEP_2) | instskip(NEXT) | instid1(VALU_DEP_2)
	v_add_f64_e32 v[0:1], v[0:1], v[4:5]
	v_add_f64_e32 v[2:3], v[2:3], v[6:7]
.LBB194_72:                             ;   in Loop: Header=BB194_4 Depth=1
	s_or_b32 exec_lo, exec_lo, s30
	s_mul_u64 s[70:71], s[36:37], s[28:29]
	s_and_not1_b32 vcc_lo, exec_lo, s75
	s_lshl_b64 s[70:71], s[70:71], 4
	s_delay_alu instid0(SALU_CYCLE_1)
	s_add_nc_u64 s[70:71], s[46:47], s[70:71]
	s_barrier_signal -1
	s_barrier_wait -1
	s_cbranch_vccnz .LBB194_79
; %bb.73:                               ;   in Loop: Header=BB194_4 Depth=1
	v_lshl_add_u64 v[4:5], s[56:57], 4, v[38:39]
	v_dual_mov_b32 v7, v147 :: v_dual_lshlrev_b32 v6, 4, v144
	v_lshl_add_u64 v[160:161], s[54:55], 4, v[36:37]
	s_mov_b32 s30, 0
	s_delay_alu instid0(VALU_DEP_3) | instskip(SKIP_1) | instid1(VALU_DEP_1)
	v_lshl_add_u64 v[4:5], v[156:157], 4, v[4:5]
	s_mov_b32 s29, s33
	v_lshl_add_u64 v[4:5], v[158:159], 4, v[4:5]
	s_delay_alu instid0(VALU_DEP_1) | instskip(SKIP_1) | instid1(VALU_DEP_1)
	v_add_nc_u64_e32 v[6:7], v[4:5], v[6:7]
	v_lshl_add_u64 v[4:5], s[38:39], 4, v[4:5]
	v_add_nc_u64_e32 v[4:5], s[64:65], v[4:5]
	s_delay_alu instid0(VALU_DEP_3) | instskip(NEXT) | instid1(VALU_DEP_1)
	v_add_nc_u64_e32 v[6:7], s[66:67], v[6:7]
	v_dual_cndmask_b32 v5, v7, v5, s1 :: v_dual_cndmask_b32 v4, v6, v4, s1
	s_branch .LBB194_75
.LBB194_74:                             ;   in Loop: Header=BB194_75 Depth=2
	s_wait_xcnt 0x0
	s_or_b32 exec_lo, exec_lo, s77
	v_mul_f64_e32 v[84:85], v[18:19], v[42:43]
	v_mul_f64_e32 v[42:43], v[16:17], v[42:43]
	;; [unrolled: 1-line block ×4, first 2 shown]
	s_add_co_i32 s29, s29, -1
	s_add_co_i32 s30, s30, 64
	s_cmp_eq_u32 s29, 0
	s_wait_storecnt 0x0
	s_barrier_signal -1
	s_barrier_wait -1
	s_delay_alu instid0(VALU_DEP_4) | instskip(NEXT) | instid1(VALU_DEP_4)
	v_fma_f64 v[16:17], v[16:17], v[40:41], -v[84:85]
	v_fmac_f64_e32 v[42:43], v[18:19], v[40:41]
	v_mul_f64_e32 v[18:19], v[10:11], v[46:47]
	v_mul_f64_e32 v[40:41], v[8:9], v[46:47]
	v_fma_f64 v[12:13], v[12:13], v[48:49], -v[86:87]
	v_fmac_f64_e32 v[50:51], v[14:15], v[48:49]
	v_mul_f64_e32 v[14:15], v[6:7], v[38:39]
	v_add_f64_e32 v[0:1], v[0:1], v[16:17]
	v_add_f64_e32 v[2:3], v[2:3], v[42:43]
	v_mul_f64_e32 v[16:17], v[4:5], v[38:39]
	v_fma_f64 v[8:9], v[8:9], v[44:45], -v[18:19]
	v_fmac_f64_e32 v[40:41], v[10:11], v[44:45]
	v_mul_f64_e32 v[10:11], v[34:35], v[74:75]
	v_fma_f64 v[4:5], v[4:5], v[36:37], -v[14:15]
	v_mul_f64_e32 v[14:15], v[24:25], v[78:79]
	v_add_f64_e32 v[0:1], v[0:1], v[12:13]
	v_add_f64_e32 v[2:3], v[2:3], v[50:51]
	v_mul_f64_e32 v[12:13], v[32:33], v[74:75]
	v_fmac_f64_e32 v[16:17], v[6:7], v[36:37]
	v_mul_f64_e32 v[6:7], v[30:31], v[82:83]
	v_fma_f64 v[10:11], v[32:33], v[72:73], -v[10:11]
	v_fmac_f64_e32 v[14:15], v[26:27], v[76:77]
	v_add_f64_e32 v[0:1], v[0:1], v[8:9]
	v_add_f64_e32 v[2:3], v[2:3], v[40:41]
	v_mul_f64_e32 v[8:9], v[28:29], v[82:83]
	v_fmac_f64_e32 v[12:13], v[34:35], v[72:73]
	v_fma_f64 v[6:7], v[28:29], v[80:81], -v[6:7]
	v_add_f64_e32 v[0:1], v[0:1], v[4:5]
	v_add_f64_e32 v[2:3], v[2:3], v[16:17]
	v_mul_f64_e32 v[4:5], v[26:27], v[78:79]
	v_fmac_f64_e32 v[8:9], v[30:31], v[80:81]
	s_delay_alu instid0(VALU_DEP_4) | instskip(NEXT) | instid1(VALU_DEP_4)
	v_add_f64_e32 v[0:1], v[0:1], v[10:11]
	v_add_f64_e32 v[2:3], v[2:3], v[12:13]
	v_mul_f64_e32 v[10:11], v[22:23], v[70:71]
	v_mul_f64_e32 v[12:13], v[20:21], v[70:71]
	v_fma_f64 v[4:5], v[24:25], v[76:77], -v[4:5]
	v_add_f64_e32 v[0:1], v[0:1], v[6:7]
	v_add_f64_e32 v[2:3], v[2:3], v[8:9]
	v_mul_f64_e32 v[6:7], v[66:67], v[118:119]
	v_mul_f64_e32 v[8:9], v[64:65], v[118:119]
	v_fma_f64 v[10:11], v[20:21], v[68:69], -v[10:11]
	v_fmac_f64_e32 v[12:13], v[22:23], v[68:69]
	v_add_f64_e32 v[0:1], v[0:1], v[4:5]
	v_add_f64_e32 v[2:3], v[2:3], v[14:15]
	v_mul_f64_e32 v[4:5], v[62:63], v[126:127]
	v_mul_f64_e32 v[14:15], v[60:61], v[126:127]
	v_fma_f64 v[6:7], v[64:65], v[116:117], -v[6:7]
	v_fmac_f64_e32 v[8:9], v[66:67], v[116:117]
	;; [unrolled: 6-line block ×8, first 2 shown]
	v_add_f64_e32 v[0:1], v[0:1], v[10:11]
	v_add_f64_e32 v[2:3], v[2:3], v[12:13]
	v_fma_f64 v[4:5], v[92:93], v[132:133], -v[4:5]
	v_fmac_f64_e32 v[14:15], v[94:95], v[132:133]
	s_delay_alu instid0(VALU_DEP_4) | instskip(NEXT) | instid1(VALU_DEP_4)
	v_add_f64_e32 v[0:1], v[0:1], v[6:7]
	v_add_f64_e32 v[2:3], v[2:3], v[8:9]
	s_delay_alu instid0(VALU_DEP_2) | instskip(NEXT) | instid1(VALU_DEP_2)
	v_add_f64_e32 v[0:1], v[0:1], v[4:5]
	v_add_f64_e32 v[2:3], v[2:3], v[14:15]
	v_add_nc_u64_e32 v[4:5], s[62:63], v[162:163]
	s_cbranch_scc1 .LBB194_79
.LBB194_75:                             ;   Parent Loop BB194_4 Depth=1
                                        ; =>  This Inner Loop Header: Depth=2
	s_and_saveexec_b32 s77, s0
	s_cbranch_execz .LBB194_77
; %bb.76:                               ;   in Loop: Header=BB194_75 Depth=2
	s_mul_u64 s[78:79], s[34:35], s[30:31]
	s_delay_alu instid0(SALU_CYCLE_1)
	v_lshl_add_u64 v[6:7], s[78:79], 4, v[160:161]
	flat_load_b128 v[6:9], v[6:7]
	s_wait_loadcnt_dscnt 0x0
	ds_store_2addr_b64 v185, v[6:7], v[8:9] offset1:1
.LBB194_77:                             ;   in Loop: Header=BB194_75 Depth=2
	s_wait_xcnt 0x0
	s_or_b32 exec_lo, exec_lo, s77
	s_delay_alu instid0(VALU_DEP_1) | instskip(SKIP_3) | instid1(VALU_DEP_1)
	v_add_nc_u64_e32 v[6:7], s[60:61], v[4:5]
	s_wait_dscnt 0x0
	s_barrier_signal -1
	s_barrier_wait -1
	v_add_nc_u64_e32 v[8:9], s[60:61], v[6:7]
	s_delay_alu instid0(VALU_DEP_1)
	v_add_nc_u64_e32 v[34:35], s[60:61], v[8:9]
	s_clause 0x3
	flat_load_b128 v[16:19], v[4:5]
	flat_load_b128 v[12:15], v[6:7]
	flat_load_b128 v[8:11], v[8:9]
	flat_load_b128 v[4:7], v[34:35]
	ds_load_b128 v[20:23], v164
	ds_load_b128 v[40:43], v186
	s_wait_loadcnt_dscnt 0x301
	v_mul_f64_e32 v[26:27], v[18:19], v[22:23]
	v_mul_f64_e32 v[24:25], v[16:17], v[22:23]
	s_wait_loadcnt 0x2
	v_mul_f64_e32 v[30:31], v[14:15], v[22:23]
	v_mul_f64_e32 v[28:29], v[12:13], v[22:23]
	s_wait_loadcnt 0x1
	;; [unrolled: 3-line block ×3, first 2 shown]
	v_mul_f64_e32 v[38:39], v[6:7], v[22:23]
	v_mul_f64_e32 v[54:55], v[4:5], v[22:23]
	v_fma_f64 v[22:23], v[16:17], v[20:21], -v[26:27]
	v_fmac_f64_e32 v[24:25], v[18:19], v[20:21]
	v_fma_f64 v[26:27], v[12:13], v[20:21], -v[30:31]
	v_fmac_f64_e32 v[28:29], v[14:15], v[20:21]
	;; [unrolled: 2-line block ×4, first 2 shown]
	v_add_nc_u64_e32 v[20:21], s[62:63], v[34:35]
	ds_load_b128 v[48:51], v186 offset:16
	ds_load_b128 v[44:47], v186 offset:32
	;; [unrolled: 1-line block ×3, first 2 shown]
	ds_store_b128 v187, v[22:25]
	ds_store_b128 v187, v[26:29] offset:1072
	ds_store_b128 v187, v[30:33] offset:2144
	;; [unrolled: 1-line block ×3, first 2 shown]
	v_add_nc_u64_e32 v[56:57], s[60:61], v[20:21]
	s_wait_dscnt 0x0
	s_barrier_signal -1
	s_barrier_wait -1
	ds_load_b128 v[196:199], v188
	ds_load_b128 v[108:111], v188 offset:16
	ds_load_b128 v[100:103], v188 offset:32
	;; [unrolled: 1-line block ×3, first 2 shown]
	s_wait_dscnt 0x0
	v_add_nc_u64_e32 v[58:59], s[60:61], v[56:57]
	s_barrier_signal -1
	s_barrier_wait -1
	s_delay_alu instid0(VALU_DEP_1)
	v_add_nc_u64_e32 v[66:67], s[60:61], v[58:59]
	s_clause 0x3
	flat_load_b128 v[32:35], v[20:21]
	flat_load_b128 v[28:31], v[56:57]
	flat_load_b128 v[24:27], v[58:59]
	flat_load_b128 v[20:23], v[66:67]
	ds_load_b128 v[52:55], v164
	ds_load_b128 v[72:75], v186 offset:256
	s_wait_loadcnt_dscnt 0x301
	s_wait_xcnt 0x1
	v_mul_f64_e32 v[58:59], v[34:35], v[54:55]
	v_mul_f64_e32 v[56:57], v[32:33], v[54:55]
	s_wait_loadcnt 0x2
	v_mul_f64_e32 v[62:63], v[30:31], v[54:55]
	v_mul_f64_e32 v[60:61], v[28:29], v[54:55]
	s_wait_loadcnt 0x1
	;; [unrolled: 3-line block ×3, first 2 shown]
	v_mul_f64_e32 v[70:71], v[22:23], v[54:55]
	v_mul_f64_e32 v[90:91], v[20:21], v[54:55]
	v_fma_f64 v[54:55], v[32:33], v[52:53], -v[58:59]
	v_fmac_f64_e32 v[56:57], v[34:35], v[52:53]
	v_fma_f64 v[58:59], v[28:29], v[52:53], -v[62:63]
	v_fmac_f64_e32 v[60:61], v[30:31], v[52:53]
	;; [unrolled: 2-line block ×4, first 2 shown]
	v_add_nc_u64_e32 v[52:53], s[62:63], v[66:67]
	ds_load_b128 v[80:83], v186 offset:272
	ds_load_b128 v[76:79], v186 offset:288
	;; [unrolled: 1-line block ×3, first 2 shown]
	ds_store_b128 v187, v[54:57]
	ds_store_b128 v187, v[58:61] offset:1072
	ds_store_b128 v187, v[62:65] offset:2144
	;; [unrolled: 1-line block ×3, first 2 shown]
	v_add_nc_u64_e32 v[92:93], s[60:61], v[52:53]
	s_wait_dscnt 0x0
	s_barrier_signal -1
	s_barrier_wait -1
	ds_load_b128 v[200:203], v188
	ds_load_b128 v[204:207], v188 offset:16
	ds_load_b128 v[208:211], v188 offset:32
	;; [unrolled: 1-line block ×3, first 2 shown]
	s_wait_dscnt 0x0
	v_add_nc_u64_e32 v[94:95], s[60:61], v[92:93]
	s_barrier_signal -1
	s_barrier_wait -1
	s_delay_alu instid0(VALU_DEP_1)
	v_add_nc_u64_e32 v[98:99], s[60:61], v[94:95]
	s_clause 0x2
	flat_load_b128 v[64:67], v[52:53]
	flat_load_b128 v[60:63], v[92:93]
	;; [unrolled: 1-line block ×4, first 2 shown]
	ds_load_b128 v[88:91], v164
	ds_load_b128 v[116:119], v186 offset:512
	v_add_f64_e32 v[200:201], 0, v[200:201]
	v_add_f64_e32 v[202:203], 0, v[202:203]
	s_delay_alu instid0(VALU_DEP_2) | instskip(NEXT) | instid1(VALU_DEP_2)
	v_add_f64_e32 v[200:201], v[200:201], v[204:205]
	v_add_f64_e32 v[202:203], v[202:203], v[206:207]
	s_delay_alu instid0(VALU_DEP_2) | instskip(NEXT) | instid1(VALU_DEP_2)
	v_add_f64_e32 v[200:201], v[200:201], v[208:209]
	v_add_f64_e32 v[202:203], v[202:203], v[210:211]
	s_wait_loadcnt_dscnt 0x301
	s_wait_xcnt 0x1
	v_mul_f64_e32 v[94:95], v[66:67], v[90:91]
	v_mul_f64_e32 v[92:93], v[64:65], v[90:91]
	s_wait_loadcnt 0x2
	v_mul_f64_e32 v[104:105], v[62:63], v[90:91]
	v_mul_f64_e32 v[96:97], v[60:61], v[90:91]
	s_wait_loadcnt 0x1
	;; [unrolled: 3-line block ×3, first 2 shown]
	v_mul_f64_e32 v[114:115], v[58:59], v[90:91]
	v_mul_f64_e32 v[130:131], v[56:57], v[90:91]
	v_fma_f64 v[90:91], v[64:65], v[88:89], -v[94:95]
	v_fmac_f64_e32 v[92:93], v[66:67], v[88:89]
	v_fma_f64 v[94:95], v[60:61], v[88:89], -v[104:105]
	v_fmac_f64_e32 v[96:97], v[62:63], v[88:89]
	v_fma_f64 v[104:105], v[52:53], v[88:89], -v[112:113]
	v_fmac_f64_e32 v[106:107], v[54:55], v[88:89]
	v_fma_f64 v[128:129], v[56:57], v[88:89], -v[114:115]
	v_fmac_f64_e32 v[130:131], v[58:59], v[88:89]
	v_add_nc_u64_e32 v[88:89], s[62:63], v[98:99]
	ds_load_b128 v[124:127], v186 offset:528
	ds_load_b128 v[120:123], v186 offset:544
	ds_load_b128 v[112:115], v186 offset:560
	ds_store_b128 v187, v[90:93]
	ds_store_b128 v187, v[94:97] offset:1072
	ds_store_b128 v187, v[104:107] offset:2144
	;; [unrolled: 1-line block ×3, first 2 shown]
	s_wait_xcnt 0x0
	v_add_nc_u64_e32 v[98:99], s[60:61], v[88:89]
	s_wait_dscnt 0x0
	s_barrier_signal -1
	s_barrier_wait -1
	ds_load_b128 v[216:219], v188
	ds_load_b128 v[220:223], v188 offset:16
	ds_load_b128 v[224:227], v188 offset:32
	;; [unrolled: 1-line block ×3, first 2 shown]
	s_wait_dscnt 0x0
	v_add_nc_u64_e32 v[132:133], s[60:61], v[98:99]
	s_barrier_signal -1
	s_barrier_wait -1
	s_delay_alu instid0(VALU_DEP_1)
	v_add_nc_u64_e32 v[162:163], s[60:61], v[132:133]
	flat_load_b128 v[104:107], v[88:89]
	flat_load_b128 v[96:99], v[98:99]
	;; [unrolled: 1-line block ×4, first 2 shown]
	s_wait_xcnt 0x1
	ds_load_b128 v[132:135], v164
	ds_load_b128 v[128:131], v186 offset:768
	v_add_f64_e32 v[216:217], 0, v[216:217]
	v_add_f64_e32 v[218:219], 0, v[218:219]
	s_delay_alu instid0(VALU_DEP_2) | instskip(NEXT) | instid1(VALU_DEP_2)
	v_add_f64_e32 v[204:205], v[216:217], v[220:221]
	v_add_f64_e32 v[206:207], v[218:219], v[222:223]
	s_delay_alu instid0(VALU_DEP_2) | instskip(NEXT) | instid1(VALU_DEP_2)
	v_add_f64_e32 v[204:205], v[204:205], v[224:225]
	v_add_f64_e32 v[206:207], v[206:207], v[226:227]
	s_wait_loadcnt_dscnt 0x301
	v_mul_f64_e32 v[136:137], v[106:107], v[134:135]
	v_mul_f64_e32 v[234:235], v[104:105], v[134:135]
	s_wait_loadcnt 0x2
	v_mul_f64_e32 v[138:139], v[98:99], v[134:135]
	v_mul_f64_e32 v[238:239], v[96:97], v[134:135]
	s_wait_loadcnt 0x1
	v_mul_f64_e32 v[140:141], v[90:91], v[134:135]
	v_mul_f64_e32 v[242:243], v[88:89], v[134:135]
	s_wait_loadcnt 0x0
	v_mul_f64_e32 v[142:143], v[94:95], v[134:135]
	v_mul_f64_e32 v[246:247], v[92:93], v[134:135]
	v_fma_f64 v[232:233], v[104:105], v[132:133], -v[136:137]
	v_fmac_f64_e32 v[234:235], v[106:107], v[132:133]
	v_fma_f64 v[236:237], v[96:97], v[132:133], -v[138:139]
	v_fmac_f64_e32 v[238:239], v[98:99], v[132:133]
	;; [unrolled: 2-line block ×4, first 2 shown]
	ds_load_b128 v[140:143], v186 offset:784
	ds_load_b128 v[136:139], v186 offset:800
	;; [unrolled: 1-line block ×3, first 2 shown]
	ds_store_b128 v187, v[232:235]
	ds_store_b128 v187, v[236:239] offset:1072
	ds_store_b128 v187, v[240:243] offset:2144
	;; [unrolled: 1-line block ×3, first 2 shown]
	s_wait_dscnt 0x0
	s_barrier_signal -1
	s_barrier_wait -1
	ds_load_b128 v[232:235], v188
	v_add_f64_e32 v[236:237], 0, v[196:197]
	v_add_f64_e32 v[238:239], 0, v[198:199]
	ds_load_b128 v[196:199], v188 offset:16
	s_wait_dscnt 0x1
	v_add_f64_e32 v[232:233], 0, v[232:233]
	v_add_f64_e32 v[234:235], 0, v[234:235]
	;; [unrolled: 1-line block ×4, first 2 shown]
	ds_load_b128 v[108:111], v188 offset:32
	s_wait_dscnt 0x1
	v_add_f64_e32 v[196:197], v[232:233], v[196:197]
	v_add_f64_e32 v[198:199], v[234:235], v[198:199]
	;; [unrolled: 1-line block ×4, first 2 shown]
	ds_load_b128 v[100:103], v188 offset:48
	s_wait_dscnt 0x0
	s_barrier_signal -1
	s_barrier_wait -1
	v_add_f64_e32 v[208:209], v[196:197], v[108:109]
	v_add_f64_e32 v[210:211], v[198:199], v[110:111]
	;; [unrolled: 1-line block ×10, first 2 shown]
	ds_store_b128 v194, v[84:87]
	ds_store_b128 v194, v[108:111] offset:256
	ds_store_b128 v194, v[196:199] offset:512
	;; [unrolled: 1-line block ×3, first 2 shown]
	s_wait_dscnt 0x0
	s_barrier_signal -1
	s_barrier_wait -1
	s_wait_xcnt 0x0
	s_and_saveexec_b32 s77, s18
	s_cbranch_execz .LBB194_74
; %bb.78:                               ;   in Loop: Header=BB194_75 Depth=2
	ds_load_b128 v[84:87], v189
	ds_load_b128 v[100:103], v189 offset:16
	s_wait_dscnt 0x0
	v_add_f64_e32 v[108:109], v[100:101], v[84:85]
	v_add_f64_e32 v[110:111], v[102:103], v[86:87]
	ds_load_b128 v[84:87], v189 offset:32
	ds_load_b128 v[100:103], v189 offset:48
	s_wait_dscnt 0x1
	v_add_f64_e32 v[84:85], v[108:109], v[84:85]
	v_add_f64_e32 v[86:87], v[110:111], v[86:87]
	s_wait_dscnt 0x0
	s_delay_alu instid0(VALU_DEP_2) | instskip(NEXT) | instid1(VALU_DEP_2)
	v_add_f64_e32 v[108:109], v[84:85], v[100:101]
	v_add_f64_e32 v[110:111], v[86:87], v[102:103]
	ds_load_b128 v[84:87], v189 offset:64
	ds_load_b128 v[100:103], v189 offset:80
	s_wait_dscnt 0x1
	v_add_f64_e32 v[84:85], v[108:109], v[84:85]
	v_add_f64_e32 v[86:87], v[110:111], v[86:87]
	s_wait_dscnt 0x0
	s_delay_alu instid0(VALU_DEP_2) | instskip(NEXT) | instid1(VALU_DEP_2)
	v_add_f64_e32 v[108:109], v[84:85], v[100:101]
	v_add_f64_e32 v[110:111], v[86:87], v[102:103]
	ds_load_b128 v[84:87], v189 offset:96
	ds_load_b128 v[100:103], v189 offset:112
	s_wait_dscnt 0x1
	v_add_f64_e32 v[84:85], v[108:109], v[84:85]
	v_add_f64_e32 v[86:87], v[110:111], v[86:87]
	s_wait_dscnt 0x0
	s_delay_alu instid0(VALU_DEP_2) | instskip(NEXT) | instid1(VALU_DEP_2)
	v_add_f64_e32 v[108:109], v[84:85], v[100:101]
	v_add_f64_e32 v[110:111], v[86:87], v[102:103]
	ds_load_b128 v[84:87], v189 offset:128
	ds_load_b128 v[100:103], v189 offset:144
	s_wait_dscnt 0x1
	v_add_f64_e32 v[84:85], v[108:109], v[84:85]
	v_add_f64_e32 v[86:87], v[110:111], v[86:87]
	s_wait_dscnt 0x0
	s_delay_alu instid0(VALU_DEP_2) | instskip(NEXT) | instid1(VALU_DEP_2)
	v_add_f64_e32 v[108:109], v[84:85], v[100:101]
	v_add_f64_e32 v[110:111], v[86:87], v[102:103]
	ds_load_b128 v[84:87], v189 offset:160
	ds_load_b128 v[100:103], v189 offset:176
	s_wait_dscnt 0x1
	v_add_f64_e32 v[84:85], v[108:109], v[84:85]
	v_add_f64_e32 v[86:87], v[110:111], v[86:87]
	s_wait_dscnt 0x0
	s_delay_alu instid0(VALU_DEP_2) | instskip(NEXT) | instid1(VALU_DEP_2)
	v_add_f64_e32 v[108:109], v[84:85], v[100:101]
	v_add_f64_e32 v[110:111], v[86:87], v[102:103]
	ds_load_b128 v[84:87], v189 offset:192
	ds_load_b128 v[100:103], v189 offset:208
	s_wait_dscnt 0x1
	v_add_f64_e32 v[84:85], v[108:109], v[84:85]
	v_add_f64_e32 v[86:87], v[110:111], v[86:87]
	s_wait_dscnt 0x0
	s_delay_alu instid0(VALU_DEP_2) | instskip(NEXT) | instid1(VALU_DEP_2)
	v_add_f64_e32 v[108:109], v[84:85], v[100:101]
	v_add_f64_e32 v[110:111], v[86:87], v[102:103]
	ds_load_b128 v[84:87], v189 offset:224
	ds_load_b128 v[100:103], v190
	s_wait_dscnt 0x1
	v_add_f64_e32 v[84:85], v[108:109], v[84:85]
	v_add_f64_e32 v[86:87], v[110:111], v[86:87]
	s_wait_dscnt 0x0
	s_delay_alu instid0(VALU_DEP_2) | instskip(NEXT) | instid1(VALU_DEP_2)
	v_add_f64_e32 v[84:85], v[84:85], v[100:101]
	v_dual_add_f64 v[86:87], v[86:87], v[102:103] :: v_dual_add_nc_u32 v100, s30, v144
	global_store_b128 v100, v[84:87], s[70:71] scale_offset
	s_branch .LBB194_74
.LBB194_79:                             ;   in Loop: Header=BB194_4 Depth=1
	ds_store_b128 v191, v[0:3]
	s_wait_dscnt 0x0
	s_barrier_signal -1
	s_barrier_wait -1
	s_and_saveexec_b32 s29, s76
	s_cbranch_execz .LBB194_2
; %bb.80:                               ;   in Loop: Header=BB194_4 Depth=1
	ds_load_b128 v[0:3], v145 offset:1072
	ds_load_b128 v[4:7], v145
	s_wait_dscnt 0x0
	v_add_f64_e32 v[8:9], v[0:1], v[4:5]
	v_add_f64_e32 v[10:11], v[2:3], v[6:7]
	ds_load_b128 v[0:3], v145 offset:2144
	ds_load_b128 v[4:7], v145 offset:3216
	s_wait_dscnt 0x1
	v_add_f64_e32 v[0:1], v[8:9], v[0:1]
	v_add_f64_e32 v[2:3], v[10:11], v[2:3]
	s_wait_dscnt 0x0
	s_delay_alu instid0(VALU_DEP_2) | instskip(NEXT) | instid1(VALU_DEP_2)
	v_add_f64_e32 v[0:1], v[0:1], v[4:5]
	v_add_f64_e32 v[2:3], v[2:3], v[6:7]
	v_lshl_add_u64 v[4:5], v[150:151], 4, s[70:71]
	global_store_b128 v[4:5], v[0:3], off
	s_branch .LBB194_2
.LBB194_81:                             ;   in Loop: Header=BB194_4 Depth=1
	ds_load_b128 v[0:3], v170
	s_wait_dscnt 0x0
	ds_store_b128 v169, v[0:3]
	s_or_b32 exec_lo, exec_lo, s30
	s_and_saveexec_b32 s30, s8
	s_cbranch_execz .LBB194_28
.LBB194_82:                             ;   in Loop: Header=BB194_4 Depth=1
	ds_load_b128 v[0:3], v172
	s_wait_dscnt 0x0
	ds_store_b128 v171, v[0:3]
	s_or_b32 exec_lo, exec_lo, s30
	s_and_saveexec_b32 s30, s9
	s_cbranch_execz .LBB194_29
.LBB194_83:                             ;   in Loop: Header=BB194_4 Depth=1
	ds_load_b128 v[0:3], v174
	s_wait_dscnt 0x0
	ds_store_b128 v173, v[0:3]
	s_or_b32 exec_lo, exec_lo, s30
	s_and_saveexec_b32 s30, s10
	s_cbranch_execnz .LBB194_30
	s_branch .LBB194_31
.LBB194_84:                             ;   in Loop: Header=BB194_4 Depth=1
	ds_load_b128 v[6:9], v170
	s_wait_dscnt 0x0
	ds_store_b128 v180, v[6:9]
	s_or_b32 exec_lo, exec_lo, s30
	s_and_saveexec_b32 s30, s8
	s_cbranch_execz .LBB194_49
.LBB194_85:                             ;   in Loop: Header=BB194_4 Depth=1
	ds_load_b128 v[6:9], v172
	s_wait_dscnt 0x0
	ds_store_b128 v181, v[6:9]
	s_or_b32 exec_lo, exec_lo, s30
	s_and_saveexec_b32 s30, s9
	s_cbranch_execz .LBB194_50
.LBB194_86:                             ;   in Loop: Header=BB194_4 Depth=1
	ds_load_b128 v[6:9], v174
	s_wait_dscnt 0x0
	ds_store_b128 v182, v[6:9]
	s_or_b32 exec_lo, exec_lo, s30
	s_and_saveexec_b32 s30, s10
	s_cbranch_execnz .LBB194_51
	s_branch .LBB194_52
.LBB194_87:                             ;   in Loop: Header=BB194_4 Depth=1
	flat_load_b128 v[6:9], v[0:1]
	s_wait_loadcnt_dscnt 0x0
	ds_store_2addr_b64 v165, v[6:7], v[8:9] offset1:1
	s_wait_xcnt 0x0
	s_or_b32 exec_lo, exec_lo, s29
	s_and_saveexec_b32 s29, s4
	s_delay_alu instid0(SALU_CYCLE_1)
	s_xor_b32 s29, exec_lo, s29
	s_cbranch_execz .LBB194_19
.LBB194_88:                             ;   in Loop: Header=BB194_4 Depth=1
	v_dual_mov_b32 v6, v147 :: v_dual_mov_b32 v7, v147
	v_dual_mov_b32 v8, v147 :: v_dual_mov_b32 v9, v147
	ds_store_b128 v166, v[6:9]
	s_and_not1_saveexec_b32 s29, s29
	s_cbranch_execz .LBB194_20
.LBB194_89:                             ;   in Loop: Header=BB194_4 Depth=1
	v_add_nc_u64_e32 v[2:3], s[40:41], v[0:1]
	flat_load_b128 v[6:9], v[2:3]
	s_wait_loadcnt_dscnt 0x0
	ds_store_2addr_b64 v166, v[6:7], v[8:9] offset1:1
	s_wait_xcnt 0x0
	s_or_b32 exec_lo, exec_lo, s29
	s_and_saveexec_b32 s29, s5
	s_delay_alu instid0(SALU_CYCLE_1)
	s_xor_b32 s29, exec_lo, s29
	s_cbranch_execz .LBB194_21
.LBB194_90:                             ;   in Loop: Header=BB194_4 Depth=1
	v_dual_mov_b32 v6, v147 :: v_dual_mov_b32 v7, v147
	v_dual_mov_b32 v8, v147 :: v_dual_mov_b32 v9, v147
	ds_store_b128 v167, v[6:9]
	s_and_not1_saveexec_b32 s29, s29
	s_cbranch_execz .LBB194_22
.LBB194_91:                             ;   in Loop: Header=BB194_4 Depth=1
	v_add_nc_u64_e32 v[2:3], s[42:43], v[0:1]
	flat_load_b128 v[6:9], v[2:3]
	s_wait_loadcnt_dscnt 0x0
	ds_store_2addr_b64 v167, v[6:7], v[8:9] offset1:1
	s_wait_xcnt 0x0
	s_or_b32 exec_lo, exec_lo, s29
	s_and_saveexec_b32 s29, s6
	s_delay_alu instid0(SALU_CYCLE_1)
	s_xor_b32 s29, exec_lo, s29
	s_cbranch_execz .LBB194_23
.LBB194_92:                             ;   in Loop: Header=BB194_4 Depth=1
	v_dual_mov_b32 v6, v147 :: v_dual_mov_b32 v7, v147
	v_dual_mov_b32 v8, v147 :: v_dual_mov_b32 v9, v147
	ds_store_b128 v168, v[6:9]
	s_and_not1_saveexec_b32 s29, s29
	s_cbranch_execnz .LBB194_24
	s_branch .LBB194_25
.LBB194_93:                             ;   in Loop: Header=BB194_4 Depth=1
	flat_load_b128 v[8:11], v[6:7]
	s_wait_loadcnt_dscnt 0x0
	ds_store_2addr_b64 v165, v[8:9], v[10:11] offset1:1
	s_wait_xcnt 0x0
	s_or_b32 exec_lo, exec_lo, s30
	s_and_saveexec_b32 s30, s14
	s_delay_alu instid0(SALU_CYCLE_1)
	s_xor_b32 s30, exec_lo, s30
	s_cbranch_execz .LBB194_40
.LBB194_94:                             ;   in Loop: Header=BB194_4 Depth=1
	v_dual_mov_b32 v8, v147 :: v_dual_mov_b32 v9, v147
	v_dual_mov_b32 v10, v147 :: v_dual_mov_b32 v11, v147
	ds_store_b128 v166, v[8:11]
	s_and_not1_saveexec_b32 s30, s30
	s_cbranch_execz .LBB194_41
.LBB194_95:                             ;   in Loop: Header=BB194_4 Depth=1
	v_add_nc_u64_e32 v[8:9], s[40:41], v[6:7]
	flat_load_b128 v[8:11], v[8:9]
	s_wait_loadcnt_dscnt 0x0
	ds_store_2addr_b64 v166, v[8:9], v[10:11] offset1:1
	s_wait_xcnt 0x0
	s_or_b32 exec_lo, exec_lo, s30
	s_and_saveexec_b32 s30, s15
	s_delay_alu instid0(SALU_CYCLE_1)
	s_xor_b32 s30, exec_lo, s30
	s_cbranch_execz .LBB194_42
.LBB194_96:                             ;   in Loop: Header=BB194_4 Depth=1
	v_dual_mov_b32 v8, v147 :: v_dual_mov_b32 v9, v147
	v_dual_mov_b32 v10, v147 :: v_dual_mov_b32 v11, v147
	ds_store_b128 v167, v[8:11]
	s_and_not1_saveexec_b32 s30, s30
	s_cbranch_execz .LBB194_43
.LBB194_97:                             ;   in Loop: Header=BB194_4 Depth=1
	v_add_nc_u64_e32 v[8:9], s[42:43], v[6:7]
	flat_load_b128 v[8:11], v[8:9]
	s_wait_loadcnt_dscnt 0x0
	ds_store_2addr_b64 v167, v[8:9], v[10:11] offset1:1
	s_wait_xcnt 0x0
	s_or_b32 exec_lo, exec_lo, s30
	s_and_saveexec_b32 s30, s16
	s_delay_alu instid0(SALU_CYCLE_1)
	s_xor_b32 s30, exec_lo, s30
	s_cbranch_execz .LBB194_44
.LBB194_98:                             ;   in Loop: Header=BB194_4 Depth=1
	v_dual_mov_b32 v8, v147 :: v_dual_mov_b32 v9, v147
	v_dual_mov_b32 v10, v147 :: v_dual_mov_b32 v11, v147
	ds_store_b128 v168, v[8:11]
	s_and_not1_saveexec_b32 s30, s30
	s_cbranch_execnz .LBB194_45
	s_branch .LBB194_46
.LBB194_99:                             ;   in Loop: Header=BB194_4 Depth=1
	flat_load_b128 v[6:9], v[4:5]
	s_wait_loadcnt_dscnt 0x0
	ds_store_2addr_b64 v165, v[6:7], v[8:9] offset1:1
	s_wait_xcnt 0x0
	s_or_b32 exec_lo, exec_lo, s30
	s_and_saveexec_b32 s30, s4
	s_delay_alu instid0(SALU_CYCLE_1)
	s_xor_b32 s30, exec_lo, s30
	s_cbranch_execz .LBB194_61
.LBB194_100:                            ;   in Loop: Header=BB194_4 Depth=1
	v_dual_mov_b32 v6, v147 :: v_dual_mov_b32 v7, v147
	v_dual_mov_b32 v8, v147 :: v_dual_mov_b32 v9, v147
	ds_store_b128 v166, v[6:9]
	s_and_not1_saveexec_b32 s30, s30
	s_cbranch_execz .LBB194_62
.LBB194_101:                            ;   in Loop: Header=BB194_4 Depth=1
	v_add_nc_u64_e32 v[6:7], s[40:41], v[4:5]
	flat_load_b128 v[6:9], v[6:7]
	s_wait_loadcnt_dscnt 0x0
	ds_store_2addr_b64 v166, v[6:7], v[8:9] offset1:1
	s_wait_xcnt 0x0
	s_or_b32 exec_lo, exec_lo, s30
	s_and_saveexec_b32 s30, s5
	s_delay_alu instid0(SALU_CYCLE_1)
	s_xor_b32 s30, exec_lo, s30
	s_cbranch_execz .LBB194_63
.LBB194_102:                            ;   in Loop: Header=BB194_4 Depth=1
	v_dual_mov_b32 v6, v147 :: v_dual_mov_b32 v7, v147
	v_dual_mov_b32 v8, v147 :: v_dual_mov_b32 v9, v147
	ds_store_b128 v167, v[6:9]
	s_and_not1_saveexec_b32 s30, s30
	s_cbranch_execz .LBB194_64
.LBB194_103:                            ;   in Loop: Header=BB194_4 Depth=1
	v_add_nc_u64_e32 v[6:7], s[42:43], v[4:5]
	flat_load_b128 v[6:9], v[6:7]
	s_wait_loadcnt_dscnt 0x0
	ds_store_2addr_b64 v167, v[6:7], v[8:9] offset1:1
	s_wait_xcnt 0x0
	s_or_b32 exec_lo, exec_lo, s30
	s_and_saveexec_b32 s30, s6
	s_delay_alu instid0(SALU_CYCLE_1)
	s_xor_b32 s30, exec_lo, s30
	s_cbranch_execz .LBB194_65
.LBB194_104:                            ;   in Loop: Header=BB194_4 Depth=1
	v_dual_mov_b32 v6, v147 :: v_dual_mov_b32 v7, v147
	v_dual_mov_b32 v8, v147 :: v_dual_mov_b32 v9, v147
	ds_store_b128 v168, v[6:9]
	s_and_not1_saveexec_b32 s30, s30
	s_cbranch_execnz .LBB194_66
	s_branch .LBB194_67
.LBB194_105:
	s_sendmsg sendmsg(MSG_DEALLOC_VGPRS)
	s_endpgm
	.section	.rodata,"a",@progbits
	.p2align	6, 0x0
	.amdhsa_kernel _ZL26rocblas_hemvn_kernel_lowerILb0ELi64ELi4ELi33ELi32ELi16El19rocblas_complex_numIdEPKPKS1_PS1_EviT6_lT7_lT5_lS8_lS9_lS7_lT8_i
		.amdhsa_group_segment_fixed_size 19200
		.amdhsa_private_segment_fixed_size 0
		.amdhsa_kernarg_size 392
		.amdhsa_user_sgpr_count 2
		.amdhsa_user_sgpr_dispatch_ptr 0
		.amdhsa_user_sgpr_queue_ptr 0
		.amdhsa_user_sgpr_kernarg_segment_ptr 1
		.amdhsa_user_sgpr_dispatch_id 0
		.amdhsa_user_sgpr_kernarg_preload_length 0
		.amdhsa_user_sgpr_kernarg_preload_offset 0
		.amdhsa_user_sgpr_private_segment_size 0
		.amdhsa_wavefront_size32 1
		.amdhsa_uses_dynamic_stack 0
		.amdhsa_enable_private_segment 0
		.amdhsa_system_sgpr_workgroup_id_x 1
		.amdhsa_system_sgpr_workgroup_id_y 0
		.amdhsa_system_sgpr_workgroup_id_z 1
		.amdhsa_system_sgpr_workgroup_info 0
		.amdhsa_system_vgpr_workitem_id 1
		.amdhsa_next_free_vgpr 248
		.amdhsa_next_free_sgpr 80
		.amdhsa_named_barrier_count 0
		.amdhsa_reserve_vcc 1
		.amdhsa_float_round_mode_32 0
		.amdhsa_float_round_mode_16_64 0
		.amdhsa_float_denorm_mode_32 3
		.amdhsa_float_denorm_mode_16_64 3
		.amdhsa_fp16_overflow 0
		.amdhsa_memory_ordered 1
		.amdhsa_forward_progress 1
		.amdhsa_inst_pref_size 63
		.amdhsa_round_robin_scheduling 0
		.amdhsa_exception_fp_ieee_invalid_op 0
		.amdhsa_exception_fp_denorm_src 0
		.amdhsa_exception_fp_ieee_div_zero 0
		.amdhsa_exception_fp_ieee_overflow 0
		.amdhsa_exception_fp_ieee_underflow 0
		.amdhsa_exception_fp_ieee_inexact 0
		.amdhsa_exception_int_div_zero 0
	.end_amdhsa_kernel
	.section	.text._ZL26rocblas_hemvn_kernel_lowerILb0ELi64ELi4ELi33ELi32ELi16El19rocblas_complex_numIdEPKPKS1_PS1_EviT6_lT7_lT5_lS8_lS9_lS7_lT8_i,"axG",@progbits,_ZL26rocblas_hemvn_kernel_lowerILb0ELi64ELi4ELi33ELi32ELi16El19rocblas_complex_numIdEPKPKS1_PS1_EviT6_lT7_lT5_lS8_lS9_lS7_lT8_i,comdat
.Lfunc_end194:
	.size	_ZL26rocblas_hemvn_kernel_lowerILb0ELi64ELi4ELi33ELi32ELi16El19rocblas_complex_numIdEPKPKS1_PS1_EviT6_lT7_lT5_lS8_lS9_lS7_lT8_i, .Lfunc_end194-_ZL26rocblas_hemvn_kernel_lowerILb0ELi64ELi4ELi33ELi32ELi16El19rocblas_complex_numIdEPKPKS1_PS1_EviT6_lT7_lT5_lS8_lS9_lS7_lT8_i
                                        ; -- End function
	.set _ZL26rocblas_hemvn_kernel_lowerILb0ELi64ELi4ELi33ELi32ELi16El19rocblas_complex_numIdEPKPKS1_PS1_EviT6_lT7_lT5_lS8_lS9_lS7_lT8_i.num_vgpr, 248
	.set _ZL26rocblas_hemvn_kernel_lowerILb0ELi64ELi4ELi33ELi32ELi16El19rocblas_complex_numIdEPKPKS1_PS1_EviT6_lT7_lT5_lS8_lS9_lS7_lT8_i.num_agpr, 0
	.set _ZL26rocblas_hemvn_kernel_lowerILb0ELi64ELi4ELi33ELi32ELi16El19rocblas_complex_numIdEPKPKS1_PS1_EviT6_lT7_lT5_lS8_lS9_lS7_lT8_i.numbered_sgpr, 80
	.set _ZL26rocblas_hemvn_kernel_lowerILb0ELi64ELi4ELi33ELi32ELi16El19rocblas_complex_numIdEPKPKS1_PS1_EviT6_lT7_lT5_lS8_lS9_lS7_lT8_i.num_named_barrier, 0
	.set _ZL26rocblas_hemvn_kernel_lowerILb0ELi64ELi4ELi33ELi32ELi16El19rocblas_complex_numIdEPKPKS1_PS1_EviT6_lT7_lT5_lS8_lS9_lS7_lT8_i.private_seg_size, 0
	.set _ZL26rocblas_hemvn_kernel_lowerILb0ELi64ELi4ELi33ELi32ELi16El19rocblas_complex_numIdEPKPKS1_PS1_EviT6_lT7_lT5_lS8_lS9_lS7_lT8_i.uses_vcc, 1
	.set _ZL26rocblas_hemvn_kernel_lowerILb0ELi64ELi4ELi33ELi32ELi16El19rocblas_complex_numIdEPKPKS1_PS1_EviT6_lT7_lT5_lS8_lS9_lS7_lT8_i.uses_flat_scratch, 1
	.set _ZL26rocblas_hemvn_kernel_lowerILb0ELi64ELi4ELi33ELi32ELi16El19rocblas_complex_numIdEPKPKS1_PS1_EviT6_lT7_lT5_lS8_lS9_lS7_lT8_i.has_dyn_sized_stack, 0
	.set _ZL26rocblas_hemvn_kernel_lowerILb0ELi64ELi4ELi33ELi32ELi16El19rocblas_complex_numIdEPKPKS1_PS1_EviT6_lT7_lT5_lS8_lS9_lS7_lT8_i.has_recursion, 0
	.set _ZL26rocblas_hemvn_kernel_lowerILb0ELi64ELi4ELi33ELi32ELi16El19rocblas_complex_numIdEPKPKS1_PS1_EviT6_lT7_lT5_lS8_lS9_lS7_lT8_i.has_indirect_call, 0
	.section	.AMDGPU.csdata,"",@progbits
; Kernel info:
; codeLenInByte = 7976
; TotalNumSgprs: 82
; NumVgprs: 248
; ScratchSize: 0
; MemoryBound: 0
; FloatMode: 240
; IeeeMode: 1
; LDSByteSize: 19200 bytes/workgroup (compile time only)
; SGPRBlocks: 0
; VGPRBlocks: 15
; NumSGPRsForWavesPerEU: 82
; NumVGPRsForWavesPerEU: 248
; NamedBarCnt: 0
; Occupancy: 4
; WaveLimiterHint : 1
; COMPUTE_PGM_RSRC2:SCRATCH_EN: 0
; COMPUTE_PGM_RSRC2:USER_SGPR: 2
; COMPUTE_PGM_RSRC2:TRAP_HANDLER: 0
; COMPUTE_PGM_RSRC2:TGID_X_EN: 1
; COMPUTE_PGM_RSRC2:TGID_Y_EN: 0
; COMPUTE_PGM_RSRC2:TGID_Z_EN: 1
; COMPUTE_PGM_RSRC2:TIDIG_COMP_CNT: 1
	.section	.text._ZL26rocblas_hemvn_kernel_lowerILb0ELi64ELi4ELi33ELi32ELi16Ei19rocblas_complex_numIdEPKPKS1_PS1_EviT6_lT7_lT5_lS8_lS9_lS7_lT8_i,"axG",@progbits,_ZL26rocblas_hemvn_kernel_lowerILb0ELi64ELi4ELi33ELi32ELi16Ei19rocblas_complex_numIdEPKPKS1_PS1_EviT6_lT7_lT5_lS8_lS9_lS7_lT8_i,comdat
	.globl	_ZL26rocblas_hemvn_kernel_lowerILb0ELi64ELi4ELi33ELi32ELi16Ei19rocblas_complex_numIdEPKPKS1_PS1_EviT6_lT7_lT5_lS8_lS9_lS7_lT8_i ; -- Begin function _ZL26rocblas_hemvn_kernel_lowerILb0ELi64ELi4ELi33ELi32ELi16Ei19rocblas_complex_numIdEPKPKS1_PS1_EviT6_lT7_lT5_lS8_lS9_lS7_lT8_i
	.p2align	8
	.type	_ZL26rocblas_hemvn_kernel_lowerILb0ELi64ELi4ELi33ELi32ELi16Ei19rocblas_complex_numIdEPKPKS1_PS1_EviT6_lT7_lT5_lS8_lS9_lS7_lT8_i,@function
_ZL26rocblas_hemvn_kernel_lowerILb0ELi64ELi4ELi33ELi32ELi16Ei19rocblas_complex_numIdEPKPKS1_PS1_EviT6_lT7_lT5_lS8_lS9_lS7_lT8_i: ; @_ZL26rocblas_hemvn_kernel_lowerILb0ELi64ELi4ELi33ELi32ELi16Ei19rocblas_complex_numIdEPKPKS1_PS1_EviT6_lT7_lT5_lS8_lS9_lS7_lT8_i
; %bb.0:
	s_clause 0x1
	s_load_b64 s[2:3], s[0:1], 0x94
	s_load_b32 s19, s[0:1], 0x80
	s_bfe_u32 s4, ttmp6, 0x40014
	s_lshr_b32 s5, ttmp7, 16
	s_add_co_i32 s4, s4, 1
	s_bfe_u32 s6, ttmp6, 0x40008
	s_mul_i32 s4, s5, s4
	s_getreg_b32 s8, hwreg(HW_REG_IB_STS2, 6, 4)
	s_add_co_i32 s6, s6, s4
	s_mov_b32 s29, 0
	s_wait_kmcnt 0x0
	s_lshr_b32 s4, s2, 16
	s_and_b32 s2, s2, 0xffff
	s_and_b32 s3, s3, 0xffff
	s_mul_i32 s2, s4, s2
	s_cmp_eq_u32 s8, 0
	s_mul_i32 s2, s2, s3
	s_cselect_b32 s28, s5, s6
	s_cmp_lg_u32 s2, 0x100
	s_cselect_b32 s2, -1, 0
	s_cmp_ge_u32 s28, s19
	s_cselect_b32 s3, -1, 0
	s_delay_alu instid0(SALU_CYCLE_1) | instskip(NEXT) | instid1(SALU_CYCLE_1)
	s_or_b32 s2, s2, s3
	s_and_b32 vcc_lo, exec_lo, s2
	s_cbranch_vccnz .LBB195_105
; %bb.1:
	s_clause 0x7
	s_load_b128 s[4:7], s[0:1], 0x8
	s_load_b128 s[12:15], s[0:1], 0x60
	s_load_b32 s10, s[0:1], 0x0
	s_load_b64 s[2:3], s[0:1], 0x78
	s_load_b128 s[20:23], s[0:1], 0x20
	s_load_b32 s60, s[0:1], 0x30
	s_load_b128 s[24:27], s[0:1], 0x40
	s_load_b32 s18, s[0:1], 0x50
	v_bfe_u32 v1, v0, 10, 10
	s_add_nc_u64 s[16:17], s[0:1], 0x88
	v_and_b32_e32 v144, 0x3ff, v0
	v_and_b32_e32 v146, 31, v0
	s_wait_xcnt 0x0
	s_bfe_u32 s0, ttmp6, 0x4000c
	v_lshlrev_b32_e32 v2, 6, v1
	s_add_co_i32 s0, s0, 1
	s_and_b32 s1, ttmp6, 15
	s_mul_i32 s11, ttmp9, s0
	s_delay_alu instid0(VALU_DEP_1) | instskip(SKIP_3) | instid1(VALU_DEP_3)
	v_dual_lshlrev_b32 v166, 4, v144 :: v_dual_add_nc_u32 v3, v2, v144
	v_lshlrev_b32_e32 v4, 4, v146
	s_add_co_i32 s1, s1, s11
	v_add_nc_u32_e32 v188, 0x4300, v2
	v_or_b32_e32 v2, 0xf0, v166
	s_wait_kmcnt 0x0
	v_cmp_eq_f64_e64 s9, s[4:5], 0
	v_cmp_eq_f64_e64 s6, s[6:7], 0
	v_cmp_neq_f64_e64 s7, s[12:13], 1.0
	v_cmp_neq_f64_e64 s12, s[14:15], 0
	s_load_b32 s4, s[16:17], 0x0
	v_lshrrev_b32_e32 v5, 5, v3
	s_ashr_i32 s11, s10, 31
	s_ashr_i32 s61, s60, 31
	s_cmp_eq_u32 s8, 0
	s_mov_b32 s5, s29
	s_cselect_b32 s33, ttmp9, s1
	s_lshr_b32 s1, s11, 26
	v_dual_add_nc_u32 v8, 24, v5 :: v_dual_lshlrev_b32 v9, 2, v5
	s_lshl_b32 s66, s33, 6
	s_add_co_i32 s1, s10, s1
	v_mad_u32 v148, s60, v5, v146
	v_dual_mov_b32 v147, 0 :: v_dual_add_nc_u32 v150, s66, v144
	s_and_not1_b32 s1, s1, 63
	v_lshl_or_b32 v10, v146, 9, v4
	v_lshlrev_b32_e32 v11, 6, v5
	v_or_b32_e32 v12, 1, v9
	s_sub_co_i32 s1, s10, s1
	s_wait_kmcnt 0x0
	s_mul_u64 s[30:31], s[4:5], s[10:11]
	s_add_co_i32 s5, s4, -1
	v_mul_lo_u32 v152, s18, v150
	v_mad_u32_u24 v168, 0x210, v5, v4
	v_add_nc_u32_e32 v172, v10, v11
	v_mad_u32_u24 v173, 0x840, v5, v4
	v_or_b32_e32 v10, 2, v9
	v_mad_u32_u24 v175, 0x210, v12, v4
	v_or_b32_e32 v4, 3, v9
	s_and_b32 s72, s9, s6
	s_mul_i32 s4, s10, s33
	s_or_b32 s73, s7, s12
	s_cmp_eq_u32 s33, s5
	v_cmp_lt_u32_e64 s7, v9, v146
	s_cselect_b32 s36, s1, 0
	v_mul_u32_u24_e32 v9, 33, v146
	s_cmp_eq_u32 s36, 0
	v_dual_ashrrev_i32 v149, 31, v148 :: v_dual_add_nc_u32 v6, 8, v5
	s_cselect_b32 s74, -1, 0
	s_cmp_lg_u32 s36, 0
	v_lshlrev_b32_e32 v178, 4, v9
	s_cselect_b32 s1, -1, 0
	s_ashr_i32 s5, s4, 31
	v_cmp_lt_u32_e64 s10, v4, v146
	v_dual_lshlrev_b32 v4, 4, v5 :: v_dual_add_nc_u32 v179, 48, v172
	s_lshl_b64 s[4:5], s[4:5], 4
	s_sub_co_i32 s16, s36, 32
	s_add_nc_u64 s[40:41], s[2:3], s[4:5]
	v_cmp_le_i32_e64 s4, s36, v6
	v_cmp_le_i32_e64 s14, s16, v6
	v_mul_lo_u32 v6, v1, s60
	v_dual_ashrrev_i32 v153, 31, v152 :: v_dual_add_nc_u32 v7, 16, v5
	v_dual_add_nc_u32 v182, v178, v4 :: v_dual_bitop2_b32 v9, 32, v146 bitop3:0x54
	v_cmp_le_i32_e64 s3, s36, v5
	v_cmp_le_i32_e64 s13, s16, v5
	s_delay_alu instid0(VALU_DEP_4)
	v_cmp_le_i32_e64 s5, s36, v7
	v_cmp_le_i32_e64 s15, s16, v7
	v_cmp_eq_u32_e64 s17, 1, v5
	v_mul_i32_i24_e32 v7, 0xffffffd0, v5
	v_mad_u32_u24 v187, v5, 48, v182
	v_lshrrev_b32_e32 v5, 4, v3
	v_cmp_le_i32_e32 vcc_lo, s36, v144
	v_cmp_le_i32_e64 s6, s36, v8
	v_dual_add_nc_u32 v174, 16, v172 :: v_dual_add_nc_u32 v183, v178, v11
	v_cmp_le_i32_e64 s16, s16, v8
	v_lshl_add_u32 v156, v6, 2, v144
	v_and_b32_e32 v6, 15, v0
	v_dual_lshlrev_b32 v8, 6, v5 :: v_dual_bitop2_b32 v0, 48, v0 bitop3:0x40
	v_dual_mov_b32 v145, v147 :: v_dual_add_nc_u32 v170, 0x2100, v168
	s_mul_i32 s34, s60, s66
	s_lshl_b32 s38, s60, 3
	s_and_b32 s1, s1, vcc_lo
	s_lshl_b32 s42, s60, 4
	s_mul_i32 s44, s60, 24
	v_add_nc_u32_e32 v181, 0x4700, v11
	s_lshl_b32 s46, s60, 5
	s_mul_i32 s50, s18, s66
	v_lshlrev_b32_e32 v0, 4, v0
	v_mad_u32_u24 v190, 0x430, v6, v8
	v_mul_i32_i24_e32 v5, 0xffffffd0, v5
	s_ashr_i32 s67, s66, 31
	s_ashr_i32 s35, s34, 31
	;; [unrolled: 1-line block ×7, first 2 shown]
	s_xor_b32 s54, s1, -1
	s_ashr_i32 s51, s50, 31
	v_cmp_eq_u32_e64 s0, 0, v1
	v_sub_nc_u64_e32 v[154:155], 0, v[146:147]
	s_cmp_gt_i32 s33, 0
	v_sub_nc_u64_e32 v[158:159], 0, v[148:149]
	v_sub_nc_u64_e32 v[160:161], 0, v[144:145]
	v_add_nc_u32_e32 v167, 0x4700, v166
	v_add_nc_u32_e32 v169, 0x1080, v168
	;; [unrolled: 1-line block ×3, first 2 shown]
	v_cmp_gt_i32_e64 s2, s36, v146
	v_cmp_lt_u32_e64 s8, v12, v146
	v_add_nc_u32_e32 v176, 32, v172
	v_cmp_lt_u32_e64 s9, v10, v146
	v_add_nc_u32_e32 v177, 0x210, v175
	v_add_nc_u32_e32 v180, 0x420, v175
	v_cmp_gt_u32_e64 s11, 32, v3
	v_cmp_gt_i32_e64 s12, s36, v9
	v_dual_add_nc_u32 v184, 16, v183 :: v_dual_add_nc_u32 v185, 32, v183
	v_dual_add_nc_u32 v186, 48, v183 :: v_dual_ashrrev_i32 v157, 31, v156
	s_cselect_b32 s75, -1, 0
	s_lshl_b32 s76, s18, 6
	v_add_nc_u32_e32 v145, 0x4300, v166
	v_mad_u32_u24 v189, 0x10c0, v1, v166
	v_cmp_gt_u32_e64 s18, 64, v3
	v_mad_u32_u24 v191, 0x430, v6, v0
	v_mad_u32_u24 v192, 0x430, v6, v2
	;; [unrolled: 1-line block ×3, first 2 shown]
	v_dual_ashrrev_i32 v151, 31, v150 :: v_dual_add_nc_u32 v195, v181, v7
	v_add_nc_u32_e32 v194, 0x4700, v4
	v_dual_add_nc_u32 v196, v190, v5 :: v_dual_lshlrev_b32 v146, 4, v146
	s_sub_nc_u64 s[48:49], 0, s[46:47]
	s_sub_nc_u64 s[50:51], 0, s[50:51]
	;; [unrolled: 1-line block ×3, first 2 shown]
	s_and_b32 s77, s0, s54
	s_lshl_b64 s[54:55], s[60:61], 7
	s_sub_nc_u64 s[56:57], 0, s[36:37]
	s_lshl_b64 s[58:59], s[60:61], 4
	s_mul_u64 s[60:61], s[60:61], 0xd0
	s_mov_b64 s[62:63], 0xfffffffffffffdf0
	s_mov_b64 s[64:65], 0xfffffffffffffe00
	s_lshl_b64 s[26:27], s[26:27], 4
	s_lshl_b64 s[22:23], s[22:23], 4
	;; [unrolled: 1-line block ×3, first 2 shown]
	s_branch .LBB195_4
.LBB195_2:                              ;   in Loop: Header=BB195_4 Depth=1
	s_wait_xcnt 0x0
	s_or_b32 exec_lo, exec_lo, s70
.LBB195_3:                              ;   in Loop: Header=BB195_4 Depth=1
	s_add_co_i32 s28, s28, 0x10000
	s_delay_alu instid0(SALU_CYCLE_1)
	s_cmp_lt_u32 s28, s19
	s_cbranch_scc0 .LBB195_105
.LBB195_4:                              ; =>This Loop Header: Depth=1
                                        ;     Child Loop BB195_75 Depth 2
	s_and_not1_b32 vcc_lo, exec_lo, s72
	s_mov_b32 s68, -1
	s_cbranch_vccz .LBB195_6
; %bb.5:                                ;   in Loop: Header=BB195_4 Depth=1
	s_and_not1_b32 vcc_lo, exec_lo, s68
	s_cbranch_vccnz .LBB195_3
	s_branch .LBB195_7
.LBB195_6:                              ;   in Loop: Header=BB195_4 Depth=1
	s_and_b32 vcc_lo, exec_lo, s73
	s_cbranch_execnz .LBB195_3
.LBB195_7:                              ;   in Loop: Header=BB195_4 Depth=1
	v_mov_b32_e32 v0, s28
	s_clause 0x1
	global_load_b64 v[2:3], v0, s[24:25] scale_offset
	global_load_b64 v[0:1], v0, s[20:21] scale_offset
	s_wait_loadcnt 0x1
	v_add_nc_u64_e32 v[2:3], s[26:27], v[2:3]
	s_delay_alu instid0(VALU_DEP_1)
	v_lshl_add_u64 v[36:37], v[152:153], 4, v[2:3]
	s_wait_xcnt 0x0
	s_and_saveexec_b32 s68, s0
	s_cbranch_execz .LBB195_12
; %bb.8:                                ;   in Loop: Header=BB195_4 Depth=1
	s_and_saveexec_b32 s69, s1
	s_delay_alu instid0(SALU_CYCLE_1)
	s_xor_b32 s69, exec_lo, s69
; %bb.9:                                ;   in Loop: Header=BB195_4 Depth=1
	v_dual_mov_b32 v2, v147 :: v_dual_mov_b32 v3, v147
	v_dual_mov_b32 v4, v147 :: v_dual_mov_b32 v5, v147
	ds_store_b128 v167, v[2:5]
; %bb.10:                               ;   in Loop: Header=BB195_4 Depth=1
	s_and_not1_saveexec_b32 s69, s69
	s_cbranch_execz .LBB195_12
; %bb.11:                               ;   in Loop: Header=BB195_4 Depth=1
	flat_load_b128 v[2:5], v[36:37]
	s_wait_loadcnt_dscnt 0x0
	ds_store_2addr_b64 v167, v[2:3], v[4:5] offset1:1
.LBB195_12:                             ;   in Loop: Header=BB195_4 Depth=1
	s_wait_xcnt 0x0
	s_or_b32 exec_lo, exec_lo, s68
	s_wait_loadcnt 0x0
	v_add_nc_u64_e32 v[0:1], s[22:23], v[0:1]
	s_and_not1_b32 vcc_lo, exec_lo, s74
	s_mov_b32 s68, -1
	s_delay_alu instid0(VALU_DEP_1) | instskip(NEXT) | instid1(VALU_DEP_1)
	v_add_nc_u64_e32 v[0:1], s[66:67], v[0:1]
	v_lshl_add_u64 v[0:1], v[148:149], 4, v[0:1]
	s_delay_alu instid0(VALU_DEP_1)
	v_lshl_add_u64 v[4:5], s[34:35], 4, v[0:1]
	s_cbranch_vccnz .LBB195_14
; %bb.13:                               ;   in Loop: Header=BB195_4 Depth=1
	flat_load_b128 v[0:3], v[4:5]
	v_lshl_add_u64 v[6:7], s[38:39], 4, v[4:5]
	s_mov_b32 s68, 0
	s_wait_loadcnt_dscnt 0x0
	ds_store_2addr_b64 v168, v[0:1], v[2:3] offset1:1
	flat_load_b128 v[0:3], v[6:7]
	s_wait_xcnt 0x0
	v_add_nc_u64_e32 v[6:7], s[54:55], v[6:7]
	s_wait_loadcnt_dscnt 0x0
	ds_store_2addr_b64 v169, v[0:1], v[2:3] offset1:1
	flat_load_b128 v[0:3], v[6:7]
	s_wait_xcnt 0x0
	v_add_nc_u64_e32 v[6:7], s[54:55], v[6:7]
	s_wait_loadcnt_dscnt 0x0
	ds_store_2addr_b64 v170, v[0:1], v[2:3] offset1:1
	flat_load_b128 v[0:3], v[6:7]
	s_wait_loadcnt_dscnt 0x0
	ds_store_2addr_b64 v171, v[0:1], v[2:3] offset1:1
.LBB195_14:                             ;   in Loop: Header=BB195_4 Depth=1
	s_and_not1_b32 vcc_lo, exec_lo, s68
	s_cbranch_vccnz .LBB195_26
; %bb.15:                               ;   in Loop: Header=BB195_4 Depth=1
	s_wait_xcnt 0x0
	s_and_saveexec_b32 s68, s3
	s_delay_alu instid0(SALU_CYCLE_1)
	s_xor_b32 s68, exec_lo, s68
; %bb.16:                               ;   in Loop: Header=BB195_4 Depth=1
	v_dual_mov_b32 v0, v147 :: v_dual_mov_b32 v1, v147
	v_dual_mov_b32 v2, v147 :: v_dual_mov_b32 v3, v147
	ds_store_b128 v168, v[0:3]
; %bb.17:                               ;   in Loop: Header=BB195_4 Depth=1
	s_or_saveexec_b32 s68, s68
	v_lshl_add_u64 v[0:1], v[154:155], 4, v[4:5]
	s_delay_alu instid0(VALU_DEP_1) | instskip(NEXT) | instid1(VALU_DEP_1)
	v_lshl_add_u64 v[0:1], s[36:37], 4, v[0:1]
	v_add_nc_u64_e32 v[0:1], -16, v[0:1]
	s_delay_alu instid0(VALU_DEP_1)
	v_dual_cndmask_b32 v1, v1, v5, s2 :: v_dual_cndmask_b32 v0, v0, v4, s2
	s_xor_b32 exec_lo, exec_lo, s68
	s_cbranch_execnz .LBB195_87
; %bb.18:                               ;   in Loop: Header=BB195_4 Depth=1
	s_or_b32 exec_lo, exec_lo, s68
	s_and_saveexec_b32 s68, s4
	s_delay_alu instid0(SALU_CYCLE_1)
	s_xor_b32 s68, exec_lo, s68
	s_cbranch_execnz .LBB195_88
.LBB195_19:                             ;   in Loop: Header=BB195_4 Depth=1
	s_and_not1_saveexec_b32 s68, s68
	s_cbranch_execnz .LBB195_89
.LBB195_20:                             ;   in Loop: Header=BB195_4 Depth=1
	s_or_b32 exec_lo, exec_lo, s68
	s_and_saveexec_b32 s68, s5
	s_delay_alu instid0(SALU_CYCLE_1)
	s_xor_b32 s68, exec_lo, s68
	s_cbranch_execnz .LBB195_90
.LBB195_21:                             ;   in Loop: Header=BB195_4 Depth=1
	s_and_not1_saveexec_b32 s68, s68
	s_cbranch_execnz .LBB195_91
.LBB195_22:                             ;   in Loop: Header=BB195_4 Depth=1
	s_or_b32 exec_lo, exec_lo, s68
	s_and_saveexec_b32 s68, s6
	s_delay_alu instid0(SALU_CYCLE_1)
	s_xor_b32 s68, exec_lo, s68
	s_cbranch_execnz .LBB195_92
.LBB195_23:                             ;   in Loop: Header=BB195_4 Depth=1
	s_and_not1_saveexec_b32 s68, s68
	s_cbranch_execz .LBB195_25
.LBB195_24:                             ;   in Loop: Header=BB195_4 Depth=1
	v_lshl_add_u64 v[2:3], s[44:45], 4, v[0:1]
	flat_load_b128 v[6:9], v[2:3]
	s_wait_loadcnt_dscnt 0x0
	ds_store_2addr_b64 v171, v[6:7], v[8:9] offset1:1
.LBB195_25:                             ;   in Loop: Header=BB195_4 Depth=1
	s_wait_xcnt 0x0
	s_or_b32 exec_lo, exec_lo, s68
	v_add_nc_u64_e32 v[0:1], v[0:1], v[146:147]
	s_delay_alu instid0(VALU_DEP_1) | instskip(NEXT) | instid1(VALU_DEP_1)
	v_lshl_add_u64 v[0:1], s[56:57], 4, v[0:1]
	v_add_nc_u64_e32 v[0:1], 16, v[0:1]
	s_delay_alu instid0(VALU_DEP_1)
	v_dual_cndmask_b32 v5, v1, v5, s2 :: v_dual_cndmask_b32 v4, v0, v4, s2
.LBB195_26:                             ;   in Loop: Header=BB195_4 Depth=1
	s_wait_dscnt 0x0
	s_barrier_signal -1
	s_barrier_wait -1
	s_wait_xcnt 0x0
	s_and_saveexec_b32 s68, s7
	s_cbranch_execnz .LBB195_81
; %bb.27:                               ;   in Loop: Header=BB195_4 Depth=1
	s_or_b32 exec_lo, exec_lo, s68
	s_and_saveexec_b32 s68, s8
	s_cbranch_execnz .LBB195_82
.LBB195_28:                             ;   in Loop: Header=BB195_4 Depth=1
	s_or_b32 exec_lo, exec_lo, s68
	s_and_saveexec_b32 s68, s9
	s_cbranch_execnz .LBB195_83
.LBB195_29:                             ;   in Loop: Header=BB195_4 Depth=1
	s_or_b32 exec_lo, exec_lo, s68
	s_and_saveexec_b32 s68, s10
	s_cbranch_execz .LBB195_31
.LBB195_30:                             ;   in Loop: Header=BB195_4 Depth=1
	ds_load_b128 v[0:3], v180
	s_wait_dscnt 0x0
	ds_store_b128 v179, v[0:3]
.LBB195_31:                             ;   in Loop: Header=BB195_4 Depth=1
	s_or_b32 exec_lo, exec_lo, s68
	s_wait_dscnt 0x0
	s_barrier_signal -1
	s_barrier_wait -1
	ds_load_b128 v[0:3], v173
	ds_load_b128 v[6:9], v181
	ds_load_b128 v[10:13], v181 offset:16
	ds_load_b128 v[14:17], v175
	s_wait_dscnt 0x2
	v_mul_f64_e32 v[18:19], v[8:9], v[2:3]
	v_mul_f64_e32 v[24:25], v[6:7], v[2:3]
	s_wait_dscnt 0x0
	v_mul_f64_e32 v[26:27], v[12:13], v[16:17]
	v_mul_f64_e32 v[28:29], v[10:11], v[16:17]
	s_delay_alu instid0(VALU_DEP_4) | instskip(NEXT) | instid1(VALU_DEP_4)
	v_fma_f64 v[30:31], v[6:7], v[0:1], -v[18:19]
	v_fmac_f64_e32 v[24:25], v[8:9], v[0:1]
	ds_load_b128 v[0:3], v177
	ds_load_b128 v[6:9], v181 offset:32
	ds_load_b128 v[16:19], v181 offset:48
	ds_load_b128 v[20:23], v180
	v_fma_f64 v[10:11], v[10:11], v[14:15], -v[26:27]
	v_fmac_f64_e32 v[28:29], v[12:13], v[14:15]
	s_wait_dscnt 0x0
	s_barrier_signal -1
	s_barrier_wait -1
	v_mul_f64_e32 v[32:33], v[8:9], v[2:3]
	v_mul_f64_e32 v[2:3], v[6:7], v[2:3]
	v_add_f64_e32 v[12:13], 0, v[30:31]
	v_add_f64_e32 v[14:15], 0, v[24:25]
	v_mul_f64_e32 v[24:25], v[18:19], v[22:23]
	v_mul_f64_e32 v[22:23], v[16:17], v[22:23]
	v_fma_f64 v[6:7], v[6:7], v[0:1], -v[32:33]
	v_fmac_f64_e32 v[2:3], v[8:9], v[0:1]
	v_add_f64_e32 v[0:1], v[12:13], v[10:11]
	v_add_f64_e32 v[8:9], v[14:15], v[28:29]
	v_fma_f64 v[10:11], v[16:17], v[20:21], -v[24:25]
	v_fmac_f64_e32 v[22:23], v[18:19], v[20:21]
	s_delay_alu instid0(VALU_DEP_4) | instskip(NEXT) | instid1(VALU_DEP_4)
	v_add_f64_e32 v[0:1], v[0:1], v[6:7]
	v_add_f64_e32 v[2:3], v[8:9], v[2:3]
	s_delay_alu instid0(VALU_DEP_2) | instskip(NEXT) | instid1(VALU_DEP_2)
	v_add_f64_e32 v[6:7], v[0:1], v[10:11]
	v_add_f64_e32 v[8:9], v[2:3], v[22:23]
	v_mov_b64_e32 v[0:1], 0
	v_mov_b64_e32 v[2:3], 0
	ds_store_b128 v182, v[6:9]
	s_wait_dscnt 0x0
	s_barrier_signal -1
	s_barrier_wait -1
	s_and_saveexec_b32 s68, s11
	s_cbranch_execz .LBB195_33
; %bb.32:                               ;   in Loop: Header=BB195_4 Depth=1
	ds_load_b128 v[0:3], v178
	ds_load_b128 v[6:9], v178 offset:16
	s_wait_dscnt 0x0
	v_add_f64_e32 v[10:11], v[6:7], v[0:1]
	v_add_f64_e32 v[12:13], v[8:9], v[2:3]
	ds_load_b128 v[0:3], v178 offset:32
	ds_load_b128 v[6:9], v178 offset:48
	s_wait_dscnt 0x1
	v_add_f64_e32 v[0:1], v[10:11], v[0:1]
	v_add_f64_e32 v[2:3], v[12:13], v[2:3]
	s_wait_dscnt 0x0
	s_delay_alu instid0(VALU_DEP_2) | instskip(NEXT) | instid1(VALU_DEP_2)
	v_add_f64_e32 v[10:11], v[0:1], v[6:7]
	v_add_f64_e32 v[12:13], v[2:3], v[8:9]
	ds_load_b128 v[0:3], v178 offset:64
	ds_load_b128 v[6:9], v178 offset:80
	s_wait_dscnt 0x1
	v_add_f64_e32 v[0:1], v[10:11], v[0:1]
	v_add_f64_e32 v[2:3], v[12:13], v[2:3]
	s_wait_dscnt 0x0
	s_delay_alu instid0(VALU_DEP_2) | instskip(NEXT) | instid1(VALU_DEP_2)
	;; [unrolled: 9-line block ×3, first 2 shown]
	v_add_f64_e32 v[0:1], v[0:1], v[6:7]
	v_add_f64_e32 v[2:3], v[2:3], v[8:9]
.LBB195_33:                             ;   in Loop: Header=BB195_4 Depth=1
	s_or_b32 exec_lo, exec_lo, s68
	v_lshl_add_u64 v[6:7], s[46:47], 4, v[4:5]
	s_and_not1_b32 vcc_lo, exec_lo, s74
	s_mov_b32 s68, -1
	s_barrier_signal -1
	s_delay_alu instid0(VALU_DEP_1)
	v_add_nc_u64_e32 v[4:5], 0x200, v[6:7]
	s_barrier_wait -1
	s_cbranch_vccnz .LBB195_35
; %bb.34:                               ;   in Loop: Header=BB195_4 Depth=1
	flat_load_b128 v[8:11], v[4:5]
	v_lshl_add_u64 v[12:13], s[38:39], 4, v[6:7]
	s_mov_b32 s68, 0
	s_wait_loadcnt_dscnt 0x0
	ds_store_2addr_b64 v168, v[8:9], v[10:11] offset1:1
	flat_load_b128 v[8:11], v[12:13] offset:512
	s_wait_xcnt 0x0
	v_add_nc_u64_e32 v[12:13], s[54:55], v[12:13]
	s_wait_loadcnt_dscnt 0x0
	ds_store_2addr_b64 v169, v[8:9], v[10:11] offset1:1
	flat_load_b128 v[8:11], v[12:13] offset:512
	s_wait_xcnt 0x0
	v_add_nc_u64_e32 v[12:13], s[54:55], v[12:13]
	s_wait_loadcnt_dscnt 0x0
	ds_store_2addr_b64 v170, v[8:9], v[10:11] offset1:1
	flat_load_b128 v[8:11], v[12:13] offset:512
	s_wait_loadcnt_dscnt 0x0
	ds_store_2addr_b64 v171, v[8:9], v[10:11] offset1:1
.LBB195_35:                             ;   in Loop: Header=BB195_4 Depth=1
	s_and_not1_b32 vcc_lo, exec_lo, s68
	s_cbranch_vccnz .LBB195_47
; %bb.36:                               ;   in Loop: Header=BB195_4 Depth=1
	s_wait_xcnt 0x0
	s_and_saveexec_b32 s68, s13
	s_delay_alu instid0(SALU_CYCLE_1)
	s_xor_b32 s68, exec_lo, s68
; %bb.37:                               ;   in Loop: Header=BB195_4 Depth=1
	v_dual_mov_b32 v8, v147 :: v_dual_mov_b32 v9, v147
	v_dual_mov_b32 v10, v147 :: v_dual_mov_b32 v11, v147
	ds_store_b128 v168, v[8:11]
; %bb.38:                               ;   in Loop: Header=BB195_4 Depth=1
	s_or_saveexec_b32 s68, s68
	v_lshl_add_u64 v[6:7], v[154:155], 4, v[6:7]
	s_delay_alu instid0(VALU_DEP_1) | instskip(NEXT) | instid1(VALU_DEP_1)
	v_lshl_add_u64 v[6:7], s[36:37], 4, v[6:7]
	v_add_nc_u64_e32 v[6:7], -16, v[6:7]
	s_delay_alu instid0(VALU_DEP_1)
	v_dual_cndmask_b32 v7, v7, v5, s12 :: v_dual_cndmask_b32 v6, v6, v4, s12
	s_xor_b32 exec_lo, exec_lo, s68
	s_cbranch_execnz .LBB195_93
; %bb.39:                               ;   in Loop: Header=BB195_4 Depth=1
	s_or_b32 exec_lo, exec_lo, s68
	s_and_saveexec_b32 s68, s14
	s_delay_alu instid0(SALU_CYCLE_1)
	s_xor_b32 s68, exec_lo, s68
	s_cbranch_execnz .LBB195_94
.LBB195_40:                             ;   in Loop: Header=BB195_4 Depth=1
	s_and_not1_saveexec_b32 s68, s68
	s_cbranch_execnz .LBB195_95
.LBB195_41:                             ;   in Loop: Header=BB195_4 Depth=1
	s_or_b32 exec_lo, exec_lo, s68
	s_and_saveexec_b32 s68, s15
	s_delay_alu instid0(SALU_CYCLE_1)
	s_xor_b32 s68, exec_lo, s68
	s_cbranch_execnz .LBB195_96
.LBB195_42:                             ;   in Loop: Header=BB195_4 Depth=1
	s_and_not1_saveexec_b32 s68, s68
	s_cbranch_execnz .LBB195_97
.LBB195_43:                             ;   in Loop: Header=BB195_4 Depth=1
	s_or_b32 exec_lo, exec_lo, s68
	s_and_saveexec_b32 s68, s16
	s_delay_alu instid0(SALU_CYCLE_1)
	s_xor_b32 s68, exec_lo, s68
	s_cbranch_execnz .LBB195_98
.LBB195_44:                             ;   in Loop: Header=BB195_4 Depth=1
	s_and_not1_saveexec_b32 s68, s68
	s_cbranch_execz .LBB195_46
.LBB195_45:                             ;   in Loop: Header=BB195_4 Depth=1
	v_lshl_add_u64 v[8:9], s[44:45], 4, v[6:7]
	flat_load_b128 v[8:11], v[8:9]
	s_wait_loadcnt_dscnt 0x0
	ds_store_2addr_b64 v171, v[8:9], v[10:11] offset1:1
.LBB195_46:                             ;   in Loop: Header=BB195_4 Depth=1
	s_wait_xcnt 0x0
	s_or_b32 exec_lo, exec_lo, s68
	v_add_nc_u64_e32 v[6:7], v[6:7], v[146:147]
	s_delay_alu instid0(VALU_DEP_1) | instskip(NEXT) | instid1(VALU_DEP_1)
	v_lshl_add_u64 v[6:7], s[56:57], 4, v[6:7]
	v_add_nc_u64_e32 v[6:7], 0x210, v[6:7]
	s_delay_alu instid0(VALU_DEP_1)
	v_dual_cndmask_b32 v5, v7, v5, s12 :: v_dual_cndmask_b32 v4, v6, v4, s12
.LBB195_47:                             ;   in Loop: Header=BB195_4 Depth=1
	s_wait_dscnt 0x0
	s_barrier_signal -1
	s_barrier_wait -1
	s_wait_xcnt 0x0
	s_and_saveexec_b32 s68, s7
	s_cbranch_execnz .LBB195_84
; %bb.48:                               ;   in Loop: Header=BB195_4 Depth=1
	s_or_b32 exec_lo, exec_lo, s68
	s_and_saveexec_b32 s68, s8
	s_cbranch_execnz .LBB195_85
.LBB195_49:                             ;   in Loop: Header=BB195_4 Depth=1
	s_or_b32 exec_lo, exec_lo, s68
	s_and_saveexec_b32 s68, s9
	s_cbranch_execnz .LBB195_86
.LBB195_50:                             ;   in Loop: Header=BB195_4 Depth=1
	s_or_b32 exec_lo, exec_lo, s68
	s_and_saveexec_b32 s68, s10
	s_cbranch_execz .LBB195_52
.LBB195_51:                             ;   in Loop: Header=BB195_4 Depth=1
	ds_load_b128 v[6:9], v180
	s_wait_dscnt 0x0
	ds_store_b128 v186, v[6:9]
.LBB195_52:                             ;   in Loop: Header=BB195_4 Depth=1
	s_or_b32 exec_lo, exec_lo, s68
	s_wait_dscnt 0x0
	s_barrier_signal -1
	s_barrier_wait -1
	ds_load_b128 v[6:9], v173
	ds_load_b128 v[10:13], v181 offset:512
	ds_load_b128 v[14:17], v181 offset:528
	ds_load_b128 v[18:21], v175
	s_wait_dscnt 0x2
	v_mul_f64_e32 v[22:23], v[12:13], v[8:9]
	v_mul_f64_e32 v[28:29], v[10:11], v[8:9]
	s_wait_dscnt 0x0
	v_mul_f64_e32 v[30:31], v[16:17], v[20:21]
	v_mul_f64_e32 v[32:33], v[14:15], v[20:21]
	s_delay_alu instid0(VALU_DEP_4) | instskip(NEXT) | instid1(VALU_DEP_4)
	v_fma_f64 v[34:35], v[10:11], v[6:7], -v[22:23]
	v_fmac_f64_e32 v[28:29], v[12:13], v[6:7]
	ds_load_b128 v[6:9], v177
	ds_load_b128 v[10:13], v181 offset:544
	ds_load_b128 v[20:23], v181 offset:560
	ds_load_b128 v[24:27], v180
	v_fma_f64 v[14:15], v[14:15], v[18:19], -v[30:31]
	v_fmac_f64_e32 v[32:33], v[16:17], v[18:19]
	s_wait_dscnt 0x0
	s_barrier_signal -1
	s_barrier_wait -1
	v_mul_f64_e32 v[38:39], v[12:13], v[8:9]
	v_mul_f64_e32 v[8:9], v[10:11], v[8:9]
	v_add_f64_e32 v[16:17], 0, v[34:35]
	v_add_f64_e32 v[18:19], 0, v[28:29]
	v_mul_f64_e32 v[28:29], v[22:23], v[26:27]
	v_mul_f64_e32 v[26:27], v[20:21], v[26:27]
	v_fma_f64 v[10:11], v[10:11], v[6:7], -v[38:39]
	v_fmac_f64_e32 v[8:9], v[12:13], v[6:7]
	v_add_f64_e32 v[6:7], v[16:17], v[14:15]
	v_add_f64_e32 v[12:13], v[18:19], v[32:33]
	v_fma_f64 v[14:15], v[20:21], v[24:25], -v[28:29]
	v_fmac_f64_e32 v[26:27], v[22:23], v[24:25]
	s_delay_alu instid0(VALU_DEP_4) | instskip(NEXT) | instid1(VALU_DEP_4)
	v_add_f64_e32 v[6:7], v[6:7], v[10:11]
	v_add_f64_e32 v[8:9], v[12:13], v[8:9]
	s_delay_alu instid0(VALU_DEP_2) | instskip(NEXT) | instid1(VALU_DEP_2)
	v_add_f64_e32 v[6:7], v[6:7], v[14:15]
	v_add_f64_e32 v[8:9], v[8:9], v[26:27]
	ds_store_b128 v182, v[6:9]
	s_wait_dscnt 0x0
	s_barrier_signal -1
	s_barrier_wait -1
	s_and_saveexec_b32 s68, s17
	s_cbranch_execz .LBB195_54
; %bb.53:                               ;   in Loop: Header=BB195_4 Depth=1
	ds_load_b128 v[0:3], v178
	ds_load_b128 v[6:9], v178 offset:16
	s_wait_dscnt 0x0
	v_add_f64_e32 v[10:11], v[6:7], v[0:1]
	v_add_f64_e32 v[12:13], v[8:9], v[2:3]
	ds_load_b128 v[0:3], v178 offset:32
	ds_load_b128 v[6:9], v178 offset:48
	s_wait_dscnt 0x1
	v_add_f64_e32 v[0:1], v[10:11], v[0:1]
	v_add_f64_e32 v[2:3], v[12:13], v[2:3]
	s_wait_dscnt 0x0
	s_delay_alu instid0(VALU_DEP_2) | instskip(NEXT) | instid1(VALU_DEP_2)
	v_add_f64_e32 v[10:11], v[0:1], v[6:7]
	v_add_f64_e32 v[12:13], v[2:3], v[8:9]
	ds_load_b128 v[0:3], v178 offset:64
	ds_load_b128 v[6:9], v178 offset:80
	s_wait_dscnt 0x1
	v_add_f64_e32 v[0:1], v[10:11], v[0:1]
	v_add_f64_e32 v[2:3], v[12:13], v[2:3]
	s_wait_dscnt 0x0
	s_delay_alu instid0(VALU_DEP_2) | instskip(NEXT) | instid1(VALU_DEP_2)
	v_add_f64_e32 v[10:11], v[0:1], v[6:7]
	v_add_f64_e32 v[12:13], v[2:3], v[8:9]
	ds_load_b128 v[0:3], v178 offset:96
	ds_load_b128 v[6:9], v178 offset:112
	s_wait_dscnt 0x1
	v_add_f64_e32 v[0:1], v[10:11], v[0:1]
	v_add_f64_e32 v[2:3], v[12:13], v[2:3]
	s_wait_dscnt 0x0
	s_delay_alu instid0(VALU_DEP_2) | instskip(NEXT) | instid1(VALU_DEP_2)
	v_add_f64_e32 v[0:1], v[0:1], v[6:7]
	v_add_f64_e32 v[2:3], v[2:3], v[8:9]
.LBB195_54:                             ;   in Loop: Header=BB195_4 Depth=1
	s_or_b32 exec_lo, exec_lo, s68
	v_lshl_add_u64 v[38:39], s[48:49], 4, v[4:5]
	s_and_not1_b32 vcc_lo, exec_lo, s74
	s_mov_b32 s68, -1
	s_barrier_signal -1
	s_barrier_wait -1
	s_cbranch_vccnz .LBB195_56
; %bb.55:                               ;   in Loop: Header=BB195_4 Depth=1
	flat_load_b128 v[4:7], v[38:39]
	v_lshl_add_u64 v[8:9], s[38:39], 4, v[38:39]
	s_mov_b32 s68, 0
	s_wait_loadcnt_dscnt 0x0
	ds_store_2addr_b64 v168, v[4:5], v[6:7] offset1:1
	flat_load_b128 v[4:7], v[8:9]
	s_wait_xcnt 0x0
	v_add_nc_u64_e32 v[8:9], s[54:55], v[8:9]
	s_wait_loadcnt_dscnt 0x0
	ds_store_2addr_b64 v169, v[4:5], v[6:7] offset1:1
	flat_load_b128 v[4:7], v[8:9]
	s_wait_xcnt 0x0
	v_add_nc_u64_e32 v[8:9], s[54:55], v[8:9]
	s_wait_loadcnt_dscnt 0x0
	ds_store_2addr_b64 v170, v[4:5], v[6:7] offset1:1
	flat_load_b128 v[4:7], v[8:9]
	s_wait_loadcnt_dscnt 0x0
	ds_store_2addr_b64 v171, v[4:5], v[6:7] offset1:1
.LBB195_56:                             ;   in Loop: Header=BB195_4 Depth=1
	s_and_not1_b32 vcc_lo, exec_lo, s68
	s_cbranch_vccnz .LBB195_68
; %bb.57:                               ;   in Loop: Header=BB195_4 Depth=1
	s_wait_xcnt 0x0
	s_and_saveexec_b32 s68, s3
	s_delay_alu instid0(SALU_CYCLE_1)
	s_xor_b32 s68, exec_lo, s68
; %bb.58:                               ;   in Loop: Header=BB195_4 Depth=1
	v_dual_mov_b32 v4, v147 :: v_dual_mov_b32 v5, v147
	v_dual_mov_b32 v6, v147 :: v_dual_mov_b32 v7, v147
	ds_store_b128 v168, v[4:7]
; %bb.59:                               ;   in Loop: Header=BB195_4 Depth=1
	s_or_saveexec_b32 s68, s68
	v_lshl_add_u64 v[4:5], v[154:155], 4, v[38:39]
	s_delay_alu instid0(VALU_DEP_1) | instskip(NEXT) | instid1(VALU_DEP_1)
	v_lshl_add_u64 v[4:5], s[36:37], 4, v[4:5]
	v_add_nc_u64_e32 v[4:5], s[62:63], v[4:5]
	s_delay_alu instid0(VALU_DEP_1)
	v_dual_cndmask_b32 v5, v5, v39, s12 :: v_dual_cndmask_b32 v4, v4, v38, s12
	s_xor_b32 exec_lo, exec_lo, s68
	s_cbranch_execnz .LBB195_99
; %bb.60:                               ;   in Loop: Header=BB195_4 Depth=1
	s_or_b32 exec_lo, exec_lo, s68
	s_and_saveexec_b32 s68, s4
	s_delay_alu instid0(SALU_CYCLE_1)
	s_xor_b32 s68, exec_lo, s68
	s_cbranch_execnz .LBB195_100
.LBB195_61:                             ;   in Loop: Header=BB195_4 Depth=1
	s_and_not1_saveexec_b32 s68, s68
	s_cbranch_execnz .LBB195_101
.LBB195_62:                             ;   in Loop: Header=BB195_4 Depth=1
	s_or_b32 exec_lo, exec_lo, s68
	s_and_saveexec_b32 s68, s5
	s_delay_alu instid0(SALU_CYCLE_1)
	s_xor_b32 s68, exec_lo, s68
	s_cbranch_execnz .LBB195_102
.LBB195_63:                             ;   in Loop: Header=BB195_4 Depth=1
	s_and_not1_saveexec_b32 s68, s68
	s_cbranch_execnz .LBB195_103
.LBB195_64:                             ;   in Loop: Header=BB195_4 Depth=1
	s_or_b32 exec_lo, exec_lo, s68
	s_and_saveexec_b32 s68, s6
	s_delay_alu instid0(SALU_CYCLE_1)
	s_xor_b32 s68, exec_lo, s68
	s_cbranch_execnz .LBB195_104
.LBB195_65:                             ;   in Loop: Header=BB195_4 Depth=1
	s_and_not1_saveexec_b32 s68, s68
	s_cbranch_execz .LBB195_67
.LBB195_66:                             ;   in Loop: Header=BB195_4 Depth=1
	v_lshl_add_u64 v[6:7], s[44:45], 4, v[4:5]
	flat_load_b128 v[6:9], v[6:7]
	s_wait_loadcnt_dscnt 0x0
	ds_store_2addr_b64 v171, v[6:7], v[8:9] offset1:1
.LBB195_67:                             ;   in Loop: Header=BB195_4 Depth=1
	s_wait_xcnt 0x0
	s_or_b32 exec_lo, exec_lo, s68
	v_add_nc_u64_e32 v[4:5], v[4:5], v[146:147]
	s_delay_alu instid0(VALU_DEP_1) | instskip(NEXT) | instid1(VALU_DEP_1)
	v_lshl_add_u64 v[4:5], s[56:57], 4, v[4:5]
	v_add_nc_u64_e32 v[4:5], 0x210, v[4:5]
	s_delay_alu instid0(VALU_DEP_1)
	v_dual_cndmask_b32 v39, v5, v39, s12 :: v_dual_cndmask_b32 v38, v4, v38, s12
.LBB195_68:                             ;   in Loop: Header=BB195_4 Depth=1
	s_wait_dscnt 0x0
	s_barrier_signal -1
	s_barrier_wait -1
	ds_load_b128 v[4:7], v195
	s_wait_xcnt 0x0
	ds_load_b128 v[8:11], v168
	ds_load_b128 v[12:15], v169
	ds_load_b128 v[16:19], v194 offset:384
	ds_load_b128 v[20:23], v194 offset:128
	;; [unrolled: 1-line block ×3, first 2 shown]
	s_wait_dscnt 0x4
	v_mul_f64_e32 v[28:29], v[6:7], v[10:11]
	v_mul_f64_e32 v[30:31], v[4:5], v[10:11]
	s_wait_dscnt 0x1
	v_mul_f64_e32 v[32:33], v[22:23], v[14:15]
	v_mul_f64_e32 v[14:15], v[20:21], v[14:15]
	s_delay_alu instid0(VALU_DEP_4) | instskip(NEXT) | instid1(VALU_DEP_4)
	v_fma_f64 v[28:29], v[4:5], v[8:9], -v[28:29]
	v_fmac_f64_e32 v[30:31], v[6:7], v[8:9]
	ds_load_b128 v[4:7], v170
	ds_load_b128 v[8:11], v171
	v_fma_f64 v[20:21], v[20:21], v[12:13], -v[32:33]
	v_fmac_f64_e32 v[14:15], v[22:23], v[12:13]
	s_wait_dscnt 0x1
	v_mul_f64_e32 v[34:35], v[26:27], v[6:7]
	v_mul_f64_e32 v[6:7], v[24:25], v[6:7]
	v_add_f64_e32 v[12:13], 0, v[28:29]
	v_add_f64_e32 v[22:23], 0, v[30:31]
	s_wait_dscnt 0x0
	v_mul_f64_e32 v[28:29], v[18:19], v[10:11]
	v_mul_f64_e32 v[10:11], v[16:17], v[10:11]
	v_fma_f64 v[24:25], v[24:25], v[4:5], -v[34:35]
	v_fmac_f64_e32 v[6:7], v[26:27], v[4:5]
	v_add_f64_e32 v[4:5], v[12:13], v[20:21]
	v_add_f64_e32 v[12:13], v[22:23], v[14:15]
	v_fma_f64 v[14:15], v[16:17], v[8:9], -v[28:29]
	v_fmac_f64_e32 v[10:11], v[18:19], v[8:9]
	s_delay_alu instid0(VALU_DEP_4) | instskip(NEXT) | instid1(VALU_DEP_4)
	v_add_f64_e32 v[4:5], v[4:5], v[24:25]
	v_add_f64_e32 v[6:7], v[12:13], v[6:7]
	s_delay_alu instid0(VALU_DEP_2) | instskip(NEXT) | instid1(VALU_DEP_2)
	v_add_f64_e32 v[40:41], v[4:5], v[14:15]
	v_add_f64_e32 v[42:43], v[6:7], v[10:11]
	ds_load_b128 v[28:31], v187
	ds_load_b128 v[20:23], v187 offset:16
	ds_load_b128 v[8:11], v187 offset:32
	;; [unrolled: 1-line block ×7, first 2 shown]
	s_wait_dscnt 0x0
	s_barrier_signal -1
	s_barrier_wait -1
	ds_store_b128 v182, v[40:43]
	s_wait_dscnt 0x0
	s_barrier_signal -1
	s_barrier_wait -1
	s_and_saveexec_b32 s68, s17
	s_cbranch_execz .LBB195_70
; %bb.69:                               ;   in Loop: Header=BB195_4 Depth=1
	ds_load_b128 v[40:43], v178
	ds_load_b128 v[44:47], v178 offset:16
	s_wait_dscnt 0x1
	v_add_f64_e32 v[0:1], v[0:1], v[40:41]
	v_add_f64_e32 v[2:3], v[2:3], v[42:43]
	s_wait_dscnt 0x0
	s_delay_alu instid0(VALU_DEP_2) | instskip(NEXT) | instid1(VALU_DEP_2)
	v_add_f64_e32 v[44:45], v[0:1], v[44:45]
	v_add_f64_e32 v[46:47], v[2:3], v[46:47]
	ds_load_b128 v[0:3], v178 offset:32
	ds_load_b128 v[40:43], v178 offset:48
	s_wait_dscnt 0x1
	v_add_f64_e32 v[0:1], v[44:45], v[0:1]
	v_add_f64_e32 v[2:3], v[46:47], v[2:3]
	s_wait_dscnt 0x0
	s_delay_alu instid0(VALU_DEP_2) | instskip(NEXT) | instid1(VALU_DEP_2)
	v_add_f64_e32 v[44:45], v[0:1], v[40:41]
	v_add_f64_e32 v[46:47], v[2:3], v[42:43]
	ds_load_b128 v[0:3], v178 offset:64
	ds_load_b128 v[40:43], v178 offset:80
	s_wait_dscnt 0x1
	v_add_f64_e32 v[0:1], v[44:45], v[0:1]
	v_add_f64_e32 v[2:3], v[46:47], v[2:3]
	s_wait_dscnt 0x0
	s_delay_alu instid0(VALU_DEP_2) | instskip(NEXT) | instid1(VALU_DEP_2)
	v_add_f64_e32 v[44:45], v[0:1], v[40:41]
	v_add_f64_e32 v[46:47], v[2:3], v[42:43]
	ds_load_b128 v[0:3], v178 offset:96
	ds_load_b128 v[40:43], v178 offset:112
	s_wait_dscnt 0x1
	v_add_f64_e32 v[0:1], v[44:45], v[0:1]
	v_add_f64_e32 v[2:3], v[46:47], v[2:3]
	s_wait_dscnt 0x0
	s_delay_alu instid0(VALU_DEP_2) | instskip(NEXT) | instid1(VALU_DEP_2)
	v_add_f64_e32 v[0:1], v[0:1], v[40:41]
	v_add_f64_e32 v[2:3], v[2:3], v[42:43]
.LBB195_70:                             ;   in Loop: Header=BB195_4 Depth=1
	s_or_b32 exec_lo, exec_lo, s68
	v_mul_f64_e32 v[40:41], v[30:31], v[34:35]
	v_mul_f64_e32 v[34:35], v[28:29], v[34:35]
	;; [unrolled: 1-line block ×4, first 2 shown]
	s_barrier_signal -1
	s_barrier_wait -1
	s_delay_alu instid0(VALU_DEP_4) | instskip(NEXT) | instid1(VALU_DEP_4)
	v_fma_f64 v[28:29], v[28:29], v[32:33], -v[40:41]
	v_fmac_f64_e32 v[34:35], v[30:31], v[32:33]
	v_mul_f64_e32 v[30:31], v[10:11], v[18:19]
	v_mul_f64_e32 v[18:19], v[8:9], v[18:19]
	v_fma_f64 v[20:21], v[20:21], v[24:25], -v[42:43]
	v_fmac_f64_e32 v[26:27], v[22:23], v[24:25]
	v_add_f64_e32 v[22:23], 0, v[28:29]
	v_add_f64_e32 v[24:25], 0, v[34:35]
	v_mul_f64_e32 v[28:29], v[6:7], v[14:15]
	v_mul_f64_e32 v[14:15], v[4:5], v[14:15]
	v_fma_f64 v[8:9], v[8:9], v[16:17], -v[30:31]
	v_fmac_f64_e32 v[18:19], v[10:11], v[16:17]
	v_add_f64_e32 v[10:11], v[22:23], v[20:21]
	v_add_f64_e32 v[16:17], v[24:25], v[26:27]
	v_fma_f64 v[4:5], v[4:5], v[12:13], -v[28:29]
	v_fmac_f64_e32 v[14:15], v[6:7], v[12:13]
	s_delay_alu instid0(VALU_DEP_4) | instskip(NEXT) | instid1(VALU_DEP_4)
	v_add_f64_e32 v[6:7], v[10:11], v[8:9]
	v_add_f64_e32 v[8:9], v[16:17], v[18:19]
	s_delay_alu instid0(VALU_DEP_2) | instskip(NEXT) | instid1(VALU_DEP_2)
	v_add_f64_e32 v[4:5], v[6:7], v[4:5]
	v_add_f64_e32 v[6:7], v[8:9], v[14:15]
	ds_store_b128 v182, v[4:7]
	s_wait_dscnt 0x0
	s_barrier_signal -1
	s_barrier_wait -1
	s_and_saveexec_b32 s68, s11
	s_cbranch_execz .LBB195_72
; %bb.71:                               ;   in Loop: Header=BB195_4 Depth=1
	ds_load_b128 v[4:7], v178
	ds_load_b128 v[8:11], v178 offset:16
	s_wait_dscnt 0x1
	v_add_f64_e32 v[0:1], v[0:1], v[4:5]
	v_add_f64_e32 v[2:3], v[2:3], v[6:7]
	s_wait_dscnt 0x0
	s_delay_alu instid0(VALU_DEP_2) | instskip(NEXT) | instid1(VALU_DEP_2)
	v_add_f64_e32 v[8:9], v[0:1], v[8:9]
	v_add_f64_e32 v[10:11], v[2:3], v[10:11]
	ds_load_b128 v[0:3], v178 offset:32
	ds_load_b128 v[4:7], v178 offset:48
	s_wait_dscnt 0x1
	v_add_f64_e32 v[0:1], v[8:9], v[0:1]
	v_add_f64_e32 v[2:3], v[10:11], v[2:3]
	s_wait_dscnt 0x0
	s_delay_alu instid0(VALU_DEP_2) | instskip(NEXT) | instid1(VALU_DEP_2)
	v_add_f64_e32 v[8:9], v[0:1], v[4:5]
	v_add_f64_e32 v[10:11], v[2:3], v[6:7]
	ds_load_b128 v[0:3], v178 offset:64
	;; [unrolled: 9-line block ×3, first 2 shown]
	ds_load_b128 v[4:7], v178 offset:112
	s_wait_dscnt 0x1
	v_add_f64_e32 v[0:1], v[8:9], v[0:1]
	v_add_f64_e32 v[2:3], v[10:11], v[2:3]
	s_wait_dscnt 0x0
	s_delay_alu instid0(VALU_DEP_2) | instskip(NEXT) | instid1(VALU_DEP_2)
	v_add_f64_e32 v[0:1], v[0:1], v[4:5]
	v_add_f64_e32 v[2:3], v[2:3], v[6:7]
.LBB195_72:                             ;   in Loop: Header=BB195_4 Depth=1
	s_or_b32 exec_lo, exec_lo, s68
	s_mul_u64 s[68:69], s[30:31], s[28:29]
	s_and_not1_b32 vcc_lo, exec_lo, s75
	s_lshl_b64 s[68:69], s[68:69], 4
	s_delay_alu instid0(SALU_CYCLE_1)
	s_add_nc_u64 s[68:69], s[40:41], s[68:69]
	s_barrier_signal -1
	s_barrier_wait -1
	s_cbranch_vccnz .LBB195_79
; %bb.73:                               ;   in Loop: Header=BB195_4 Depth=1
	v_lshl_add_u64 v[4:5], s[52:53], 4, v[38:39]
	v_lshl_add_u64 v[162:163], s[50:51], 4, v[36:37]
	v_mov_b32_e32 v197, v144
	s_mov_b32 s70, 0
	s_mov_b32 s78, s33
	v_lshl_add_u64 v[4:5], v[158:159], 4, v[4:5]
	s_delay_alu instid0(VALU_DEP_1) | instskip(NEXT) | instid1(VALU_DEP_1)
	v_lshl_add_u64 v[4:5], v[156:157], 4, v[4:5]
	v_lshl_add_u64 v[6:7], v[160:161], 4, v[4:5]
	v_add_nc_u64_e32 v[4:5], s[64:65], v[4:5]
	s_delay_alu instid0(VALU_DEP_2) | instskip(NEXT) | instid1(VALU_DEP_1)
	v_lshl_add_u64 v[6:7], s[36:37], 4, v[6:7]
	v_add_nc_u64_e32 v[6:7], s[62:63], v[6:7]
	s_delay_alu instid0(VALU_DEP_1)
	v_dual_cndmask_b32 v5, v5, v7, s1 :: v_dual_cndmask_b32 v4, v4, v6, s1
	s_branch .LBB195_75
.LBB195_74:                             ;   in Loop: Header=BB195_75 Depth=2
	s_wait_xcnt 0x0
	s_or_b32 exec_lo, exec_lo, s71
	v_dual_mul_f64 v[84:85], v[18:19], v[42:43] :: v_dual_add_nc_u32 v197, 64, v197
	v_mul_f64_e32 v[42:43], v[16:17], v[42:43]
	v_mul_f64_e32 v[86:87], v[14:15], v[50:51]
	;; [unrolled: 1-line block ×3, first 2 shown]
	s_add_co_i32 s78, s78, -1
	s_add_co_i32 s70, s70, s76
	s_cmp_eq_u32 s78, 0
	s_wait_storecnt 0x0
	s_barrier_signal -1
	s_barrier_wait -1
	s_delay_alu instid0(VALU_DEP_4) | instskip(NEXT) | instid1(VALU_DEP_4)
	v_fma_f64 v[16:17], v[16:17], v[40:41], -v[84:85]
	v_fmac_f64_e32 v[42:43], v[18:19], v[40:41]
	v_mul_f64_e32 v[18:19], v[10:11], v[46:47]
	v_mul_f64_e32 v[40:41], v[8:9], v[46:47]
	v_fma_f64 v[12:13], v[12:13], v[48:49], -v[86:87]
	v_fmac_f64_e32 v[50:51], v[14:15], v[48:49]
	v_mul_f64_e32 v[14:15], v[6:7], v[38:39]
	v_add_f64_e32 v[0:1], v[0:1], v[16:17]
	v_mul_f64_e32 v[16:17], v[4:5], v[38:39]
	v_add_f64_e32 v[2:3], v[2:3], v[42:43]
	v_fma_f64 v[8:9], v[8:9], v[44:45], -v[18:19]
	v_fmac_f64_e32 v[40:41], v[10:11], v[44:45]
	v_mul_f64_e32 v[10:11], v[34:35], v[74:75]
	v_fma_f64 v[4:5], v[4:5], v[36:37], -v[14:15]
	v_mul_f64_e32 v[14:15], v[24:25], v[78:79]
	v_add_f64_e32 v[0:1], v[0:1], v[12:13]
	v_mul_f64_e32 v[12:13], v[32:33], v[74:75]
	v_add_f64_e32 v[2:3], v[2:3], v[50:51]
	v_fmac_f64_e32 v[16:17], v[6:7], v[36:37]
	v_mul_f64_e32 v[6:7], v[30:31], v[82:83]
	v_fma_f64 v[10:11], v[32:33], v[72:73], -v[10:11]
	v_fmac_f64_e32 v[14:15], v[26:27], v[76:77]
	v_add_f64_e32 v[0:1], v[0:1], v[8:9]
	v_mul_f64_e32 v[8:9], v[28:29], v[82:83]
	v_add_f64_e32 v[2:3], v[2:3], v[40:41]
	v_fmac_f64_e32 v[12:13], v[34:35], v[72:73]
	v_fma_f64 v[6:7], v[28:29], v[80:81], -v[6:7]
	v_add_f64_e32 v[0:1], v[0:1], v[4:5]
	v_mul_f64_e32 v[4:5], v[26:27], v[78:79]
	v_add_f64_e32 v[2:3], v[2:3], v[16:17]
	v_fmac_f64_e32 v[8:9], v[30:31], v[80:81]
	s_delay_alu instid0(VALU_DEP_4) | instskip(SKIP_1) | instid1(VALU_DEP_4)
	v_add_f64_e32 v[0:1], v[0:1], v[10:11]
	v_mul_f64_e32 v[10:11], v[22:23], v[70:71]
	v_add_f64_e32 v[2:3], v[2:3], v[12:13]
	v_mul_f64_e32 v[12:13], v[20:21], v[70:71]
	v_fma_f64 v[4:5], v[24:25], v[76:77], -v[4:5]
	v_add_f64_e32 v[0:1], v[0:1], v[6:7]
	v_mul_f64_e32 v[6:7], v[66:67], v[118:119]
	v_add_f64_e32 v[2:3], v[2:3], v[8:9]
	v_mul_f64_e32 v[8:9], v[64:65], v[118:119]
	v_fma_f64 v[10:11], v[20:21], v[68:69], -v[10:11]
	v_fmac_f64_e32 v[12:13], v[22:23], v[68:69]
	v_add_f64_e32 v[0:1], v[0:1], v[4:5]
	v_mul_f64_e32 v[4:5], v[62:63], v[126:127]
	v_add_f64_e32 v[2:3], v[2:3], v[14:15]
	v_mul_f64_e32 v[14:15], v[60:61], v[126:127]
	v_fma_f64 v[6:7], v[64:65], v[116:117], -v[6:7]
	v_fmac_f64_e32 v[8:9], v[66:67], v[116:117]
	v_add_f64_e32 v[0:1], v[0:1], v[10:11]
	v_mul_f64_e32 v[10:11], v[54:55], v[122:123]
	v_add_f64_e32 v[2:3], v[2:3], v[12:13]
	v_mul_f64_e32 v[12:13], v[52:53], v[122:123]
	v_fma_f64 v[4:5], v[60:61], v[124:125], -v[4:5]
	v_fmac_f64_e32 v[14:15], v[62:63], v[124:125]
	v_add_f64_e32 v[0:1], v[0:1], v[6:7]
	v_mul_f64_e32 v[6:7], v[58:59], v[114:115]
	v_add_f64_e32 v[2:3], v[2:3], v[8:9]
	v_mul_f64_e32 v[8:9], v[56:57], v[114:115]
	v_fma_f64 v[10:11], v[52:53], v[120:121], -v[10:11]
	v_fmac_f64_e32 v[12:13], v[54:55], v[120:121]
	v_add_f64_e32 v[0:1], v[0:1], v[4:5]
	v_mul_f64_e32 v[4:5], v[106:107], v[130:131]
	v_add_f64_e32 v[2:3], v[2:3], v[14:15]
	v_mul_f64_e32 v[14:15], v[104:105], v[130:131]
	v_fma_f64 v[6:7], v[56:57], v[112:113], -v[6:7]
	v_fmac_f64_e32 v[8:9], v[58:59], v[112:113]
	v_add_f64_e32 v[0:1], v[0:1], v[10:11]
	v_mul_f64_e32 v[10:11], v[98:99], v[142:143]
	v_add_f64_e32 v[2:3], v[2:3], v[12:13]
	v_mul_f64_e32 v[12:13], v[96:97], v[142:143]
	v_fma_f64 v[4:5], v[104:105], v[128:129], -v[4:5]
	v_fmac_f64_e32 v[14:15], v[106:107], v[128:129]
	v_add_f64_e32 v[0:1], v[0:1], v[6:7]
	v_mul_f64_e32 v[6:7], v[90:91], v[138:139]
	v_add_f64_e32 v[2:3], v[2:3], v[8:9]
	v_mul_f64_e32 v[8:9], v[88:89], v[138:139]
	v_fma_f64 v[10:11], v[96:97], v[140:141], -v[10:11]
	v_fmac_f64_e32 v[12:13], v[98:99], v[140:141]
	v_add_f64_e32 v[0:1], v[0:1], v[4:5]
	v_mul_f64_e32 v[4:5], v[94:95], v[134:135]
	v_add_f64_e32 v[2:3], v[2:3], v[14:15]
	v_mul_f64_e32 v[14:15], v[92:93], v[134:135]
	v_fma_f64 v[6:7], v[88:89], v[136:137], -v[6:7]
	v_fmac_f64_e32 v[8:9], v[90:91], v[136:137]
	v_add_f64_e32 v[0:1], v[0:1], v[10:11]
	v_fma_f64 v[4:5], v[92:93], v[132:133], -v[4:5]
	v_add_f64_e32 v[2:3], v[2:3], v[12:13]
	v_fmac_f64_e32 v[14:15], v[94:95], v[132:133]
	s_delay_alu instid0(VALU_DEP_4) | instskip(NEXT) | instid1(VALU_DEP_3)
	v_add_f64_e32 v[0:1], v[0:1], v[6:7]
	v_add_f64_e32 v[2:3], v[2:3], v[8:9]
	s_delay_alu instid0(VALU_DEP_2) | instskip(SKIP_1) | instid1(VALU_DEP_3)
	v_add_f64_e32 v[0:1], v[0:1], v[4:5]
	v_add_nc_u64_e32 v[4:5], s[60:61], v[164:165]
	v_add_f64_e32 v[2:3], v[2:3], v[14:15]
	s_cbranch_scc1 .LBB195_79
.LBB195_75:                             ;   Parent Loop BB195_4 Depth=1
                                        ; =>  This Inner Loop Header: Depth=2
	s_and_saveexec_b32 s79, s0
	s_cbranch_execz .LBB195_77
; %bb.76:                               ;   in Loop: Header=BB195_75 Depth=2
	s_ashr_i32 s71, s70, 31
	s_delay_alu instid0(SALU_CYCLE_1)
	v_lshl_add_u64 v[6:7], s[70:71], 4, v[162:163]
	flat_load_b128 v[6:9], v[6:7]
	s_wait_loadcnt_dscnt 0x0
	ds_store_2addr_b64 v145, v[6:7], v[8:9] offset1:1
.LBB195_77:                             ;   in Loop: Header=BB195_75 Depth=2
	s_wait_xcnt 0x0
	s_or_b32 exec_lo, exec_lo, s79
	v_add_nc_u64_e32 v[6:7], s[58:59], v[4:5]
	s_wait_dscnt 0x0
	s_barrier_signal -1
	s_barrier_wait -1
	s_delay_alu instid0(VALU_DEP_1) | instskip(NEXT) | instid1(VALU_DEP_1)
	v_add_nc_u64_e32 v[8:9], s[58:59], v[6:7]
	v_add_nc_u64_e32 v[34:35], s[58:59], v[8:9]
	s_clause 0x3
	flat_load_b128 v[16:19], v[4:5]
	flat_load_b128 v[12:15], v[6:7]
	;; [unrolled: 1-line block ×4, first 2 shown]
	ds_load_b128 v[20:23], v167
	ds_load_b128 v[40:43], v188
	s_wait_loadcnt_dscnt 0x301
	v_mul_f64_e32 v[26:27], v[18:19], v[22:23]
	v_mul_f64_e32 v[24:25], v[16:17], v[22:23]
	s_wait_loadcnt 0x2
	v_mul_f64_e32 v[30:31], v[14:15], v[22:23]
	v_mul_f64_e32 v[28:29], v[12:13], v[22:23]
	s_wait_loadcnt 0x1
	;; [unrolled: 3-line block ×3, first 2 shown]
	v_mul_f64_e32 v[38:39], v[6:7], v[22:23]
	v_mul_f64_e32 v[54:55], v[4:5], v[22:23]
	v_fma_f64 v[22:23], v[16:17], v[20:21], -v[26:27]
	v_fmac_f64_e32 v[24:25], v[18:19], v[20:21]
	v_fma_f64 v[26:27], v[12:13], v[20:21], -v[30:31]
	v_fmac_f64_e32 v[28:29], v[14:15], v[20:21]
	;; [unrolled: 2-line block ×4, first 2 shown]
	v_add_nc_u64_e32 v[20:21], s[60:61], v[34:35]
	ds_load_b128 v[48:51], v188 offset:16
	ds_load_b128 v[44:47], v188 offset:32
	;; [unrolled: 1-line block ×3, first 2 shown]
	ds_store_b128 v189, v[22:25]
	ds_store_b128 v189, v[26:29] offset:1072
	ds_store_b128 v189, v[30:33] offset:2144
	;; [unrolled: 1-line block ×3, first 2 shown]
	v_add_nc_u64_e32 v[56:57], s[58:59], v[20:21]
	s_wait_dscnt 0x0
	s_barrier_signal -1
	s_barrier_wait -1
	ds_load_b128 v[198:201], v190
	ds_load_b128 v[108:111], v190 offset:16
	ds_load_b128 v[100:103], v190 offset:32
	;; [unrolled: 1-line block ×3, first 2 shown]
	s_wait_dscnt 0x0
	v_add_nc_u64_e32 v[58:59], s[58:59], v[56:57]
	s_barrier_signal -1
	s_barrier_wait -1
	s_delay_alu instid0(VALU_DEP_1)
	v_add_nc_u64_e32 v[66:67], s[58:59], v[58:59]
	s_clause 0x3
	flat_load_b128 v[32:35], v[20:21]
	flat_load_b128 v[28:31], v[56:57]
	;; [unrolled: 1-line block ×4, first 2 shown]
	ds_load_b128 v[52:55], v167
	ds_load_b128 v[72:75], v188 offset:256
	s_wait_loadcnt_dscnt 0x301
	s_wait_xcnt 0x1
	v_mul_f64_e32 v[58:59], v[34:35], v[54:55]
	v_mul_f64_e32 v[56:57], v[32:33], v[54:55]
	s_wait_loadcnt 0x2
	v_mul_f64_e32 v[62:63], v[30:31], v[54:55]
	v_mul_f64_e32 v[60:61], v[28:29], v[54:55]
	s_wait_loadcnt 0x1
	;; [unrolled: 3-line block ×3, first 2 shown]
	v_mul_f64_e32 v[70:71], v[22:23], v[54:55]
	v_mul_f64_e32 v[90:91], v[20:21], v[54:55]
	v_fma_f64 v[54:55], v[32:33], v[52:53], -v[58:59]
	v_fmac_f64_e32 v[56:57], v[34:35], v[52:53]
	v_fma_f64 v[58:59], v[28:29], v[52:53], -v[62:63]
	v_fmac_f64_e32 v[60:61], v[30:31], v[52:53]
	v_fma_f64 v[62:63], v[24:25], v[52:53], -v[68:69]
	v_fmac_f64_e32 v[64:65], v[26:27], v[52:53]
	v_fma_f64 v[88:89], v[20:21], v[52:53], -v[70:71]
	v_fmac_f64_e32 v[90:91], v[22:23], v[52:53]
	v_add_nc_u64_e32 v[52:53], s[60:61], v[66:67]
	ds_load_b128 v[80:83], v188 offset:272
	ds_load_b128 v[76:79], v188 offset:288
	;; [unrolled: 1-line block ×3, first 2 shown]
	ds_store_b128 v189, v[54:57]
	ds_store_b128 v189, v[58:61] offset:1072
	ds_store_b128 v189, v[62:65] offset:2144
	;; [unrolled: 1-line block ×3, first 2 shown]
	v_add_nc_u64_e32 v[92:93], s[58:59], v[52:53]
	s_wait_dscnt 0x0
	s_barrier_signal -1
	s_barrier_wait -1
	ds_load_b128 v[202:205], v190
	ds_load_b128 v[206:209], v190 offset:16
	ds_load_b128 v[210:213], v190 offset:32
	;; [unrolled: 1-line block ×3, first 2 shown]
	s_wait_dscnt 0x0
	v_add_nc_u64_e32 v[94:95], s[58:59], v[92:93]
	s_barrier_signal -1
	s_barrier_wait -1
	s_delay_alu instid0(VALU_DEP_1)
	v_add_nc_u64_e32 v[98:99], s[58:59], v[94:95]
	s_clause 0x2
	flat_load_b128 v[64:67], v[52:53]
	flat_load_b128 v[60:63], v[92:93]
	;; [unrolled: 1-line block ×4, first 2 shown]
	ds_load_b128 v[88:91], v167
	ds_load_b128 v[116:119], v188 offset:512
	v_add_f64_e32 v[202:203], 0, v[202:203]
	v_add_f64_e32 v[204:205], 0, v[204:205]
	s_delay_alu instid0(VALU_DEP_2) | instskip(NEXT) | instid1(VALU_DEP_2)
	v_add_f64_e32 v[202:203], v[202:203], v[206:207]
	v_add_f64_e32 v[204:205], v[204:205], v[208:209]
	s_delay_alu instid0(VALU_DEP_2) | instskip(NEXT) | instid1(VALU_DEP_2)
	v_add_f64_e32 v[202:203], v[202:203], v[210:211]
	v_add_f64_e32 v[204:205], v[204:205], v[212:213]
	s_wait_loadcnt_dscnt 0x301
	s_wait_xcnt 0x1
	v_mul_f64_e32 v[94:95], v[66:67], v[90:91]
	v_mul_f64_e32 v[92:93], v[64:65], v[90:91]
	s_wait_loadcnt 0x2
	v_mul_f64_e32 v[104:105], v[62:63], v[90:91]
	v_mul_f64_e32 v[96:97], v[60:61], v[90:91]
	s_wait_loadcnt 0x1
	;; [unrolled: 3-line block ×3, first 2 shown]
	v_mul_f64_e32 v[114:115], v[58:59], v[90:91]
	v_mul_f64_e32 v[130:131], v[56:57], v[90:91]
	v_fma_f64 v[90:91], v[64:65], v[88:89], -v[94:95]
	v_fmac_f64_e32 v[92:93], v[66:67], v[88:89]
	v_fma_f64 v[94:95], v[60:61], v[88:89], -v[104:105]
	v_fmac_f64_e32 v[96:97], v[62:63], v[88:89]
	;; [unrolled: 2-line block ×4, first 2 shown]
	v_add_nc_u64_e32 v[88:89], s[60:61], v[98:99]
	ds_load_b128 v[124:127], v188 offset:528
	ds_load_b128 v[120:123], v188 offset:544
	;; [unrolled: 1-line block ×3, first 2 shown]
	ds_store_b128 v189, v[90:93]
	ds_store_b128 v189, v[94:97] offset:1072
	ds_store_b128 v189, v[104:107] offset:2144
	;; [unrolled: 1-line block ×3, first 2 shown]
	s_wait_xcnt 0x0
	v_add_nc_u64_e32 v[98:99], s[58:59], v[88:89]
	s_wait_dscnt 0x0
	s_barrier_signal -1
	s_barrier_wait -1
	ds_load_b128 v[218:221], v190
	ds_load_b128 v[222:225], v190 offset:16
	ds_load_b128 v[226:229], v190 offset:32
	;; [unrolled: 1-line block ×3, first 2 shown]
	s_wait_dscnt 0x0
	v_add_nc_u64_e32 v[132:133], s[58:59], v[98:99]
	s_barrier_signal -1
	s_barrier_wait -1
	s_delay_alu instid0(VALU_DEP_1)
	v_add_nc_u64_e32 v[164:165], s[58:59], v[132:133]
	flat_load_b128 v[104:107], v[88:89]
	flat_load_b128 v[96:99], v[98:99]
	;; [unrolled: 1-line block ×4, first 2 shown]
	s_wait_xcnt 0x1
	ds_load_b128 v[132:135], v167
	ds_load_b128 v[128:131], v188 offset:768
	v_add_f64_e32 v[218:219], 0, v[218:219]
	v_add_f64_e32 v[220:221], 0, v[220:221]
	s_delay_alu instid0(VALU_DEP_2) | instskip(NEXT) | instid1(VALU_DEP_2)
	v_add_f64_e32 v[206:207], v[218:219], v[222:223]
	v_add_f64_e32 v[208:209], v[220:221], v[224:225]
	s_delay_alu instid0(VALU_DEP_2) | instskip(NEXT) | instid1(VALU_DEP_2)
	v_add_f64_e32 v[206:207], v[206:207], v[226:227]
	v_add_f64_e32 v[208:209], v[208:209], v[228:229]
	s_wait_loadcnt_dscnt 0x301
	v_mul_f64_e32 v[136:137], v[106:107], v[134:135]
	v_mul_f64_e32 v[236:237], v[104:105], v[134:135]
	s_wait_loadcnt 0x2
	v_mul_f64_e32 v[138:139], v[98:99], v[134:135]
	v_mul_f64_e32 v[240:241], v[96:97], v[134:135]
	s_wait_loadcnt 0x1
	;; [unrolled: 3-line block ×3, first 2 shown]
	v_mul_f64_e32 v[142:143], v[94:95], v[134:135]
	v_mul_f64_e32 v[248:249], v[92:93], v[134:135]
	v_fma_f64 v[234:235], v[104:105], v[132:133], -v[136:137]
	v_fmac_f64_e32 v[236:237], v[106:107], v[132:133]
	v_fma_f64 v[238:239], v[96:97], v[132:133], -v[138:139]
	v_fmac_f64_e32 v[240:241], v[98:99], v[132:133]
	;; [unrolled: 2-line block ×4, first 2 shown]
	ds_load_b128 v[140:143], v188 offset:784
	ds_load_b128 v[136:139], v188 offset:800
	;; [unrolled: 1-line block ×3, first 2 shown]
	ds_store_b128 v189, v[234:237]
	ds_store_b128 v189, v[238:241] offset:1072
	ds_store_b128 v189, v[242:245] offset:2144
	;; [unrolled: 1-line block ×3, first 2 shown]
	s_wait_dscnt 0x0
	s_barrier_signal -1
	s_barrier_wait -1
	ds_load_b128 v[234:237], v190
	v_add_f64_e32 v[238:239], 0, v[198:199]
	v_add_f64_e32 v[240:241], 0, v[200:201]
	ds_load_b128 v[198:201], v190 offset:16
	s_wait_dscnt 0x1
	v_add_f64_e32 v[234:235], 0, v[234:235]
	v_add_f64_e32 v[236:237], 0, v[236:237]
	;; [unrolled: 1-line block ×4, first 2 shown]
	ds_load_b128 v[108:111], v190 offset:32
	s_wait_dscnt 0x1
	v_add_f64_e32 v[198:199], v[234:235], v[198:199]
	v_add_f64_e32 v[200:201], v[236:237], v[200:201]
	;; [unrolled: 1-line block ×4, first 2 shown]
	ds_load_b128 v[100:103], v190 offset:48
	s_wait_dscnt 0x0
	s_barrier_signal -1
	s_barrier_wait -1
	v_add_f64_e32 v[210:211], v[198:199], v[108:109]
	v_add_f64_e32 v[212:213], v[200:201], v[110:111]
	;; [unrolled: 1-line block ×10, first 2 shown]
	ds_store_b128 v196, v[84:87]
	ds_store_b128 v196, v[108:111] offset:256
	ds_store_b128 v196, v[198:201] offset:512
	;; [unrolled: 1-line block ×3, first 2 shown]
	s_wait_dscnt 0x0
	s_barrier_signal -1
	s_barrier_wait -1
	s_wait_xcnt 0x0
	s_and_saveexec_b32 s71, s18
	s_cbranch_execz .LBB195_74
; %bb.78:                               ;   in Loop: Header=BB195_75 Depth=2
	ds_load_b128 v[84:87], v191
	ds_load_b128 v[100:103], v191 offset:16
	s_wait_dscnt 0x0
	v_add_f64_e32 v[108:109], v[100:101], v[84:85]
	v_add_f64_e32 v[110:111], v[102:103], v[86:87]
	ds_load_b128 v[84:87], v191 offset:32
	ds_load_b128 v[100:103], v191 offset:48
	s_wait_dscnt 0x1
	v_add_f64_e32 v[84:85], v[108:109], v[84:85]
	v_add_f64_e32 v[86:87], v[110:111], v[86:87]
	s_wait_dscnt 0x0
	s_delay_alu instid0(VALU_DEP_2) | instskip(NEXT) | instid1(VALU_DEP_2)
	v_add_f64_e32 v[108:109], v[84:85], v[100:101]
	v_add_f64_e32 v[110:111], v[86:87], v[102:103]
	ds_load_b128 v[84:87], v191 offset:64
	ds_load_b128 v[100:103], v191 offset:80
	s_wait_dscnt 0x1
	v_add_f64_e32 v[84:85], v[108:109], v[84:85]
	v_add_f64_e32 v[86:87], v[110:111], v[86:87]
	s_wait_dscnt 0x0
	s_delay_alu instid0(VALU_DEP_2) | instskip(NEXT) | instid1(VALU_DEP_2)
	;; [unrolled: 9-line block ×6, first 2 shown]
	v_add_f64_e32 v[108:109], v[84:85], v[100:101]
	v_add_f64_e32 v[110:111], v[86:87], v[102:103]
	ds_load_b128 v[84:87], v191 offset:224
	ds_load_b128 v[100:103], v192
	s_wait_dscnt 0x1
	v_add_f64_e32 v[84:85], v[108:109], v[84:85]
	v_add_f64_e32 v[86:87], v[110:111], v[86:87]
	s_wait_dscnt 0x0
	s_delay_alu instid0(VALU_DEP_2) | instskip(NEXT) | instid1(VALU_DEP_2)
	v_add_f64_e32 v[84:85], v[84:85], v[100:101]
	v_add_f64_e32 v[86:87], v[86:87], v[102:103]
	global_store_b128 v197, v[84:87], s[68:69] scale_offset
	s_branch .LBB195_74
.LBB195_79:                             ;   in Loop: Header=BB195_4 Depth=1
	ds_store_b128 v193, v[0:3]
	s_wait_dscnt 0x0
	s_barrier_signal -1
	s_barrier_wait -1
	s_and_saveexec_b32 s70, s77
	s_cbranch_execz .LBB195_2
; %bb.80:                               ;   in Loop: Header=BB195_4 Depth=1
	ds_load_b128 v[0:3], v166 offset:1072
	ds_load_b128 v[4:7], v166
	s_wait_dscnt 0x0
	v_add_f64_e32 v[8:9], v[0:1], v[4:5]
	v_add_f64_e32 v[10:11], v[2:3], v[6:7]
	ds_load_b128 v[0:3], v166 offset:2144
	ds_load_b128 v[4:7], v166 offset:3216
	s_wait_dscnt 0x1
	v_add_f64_e32 v[0:1], v[8:9], v[0:1]
	v_add_f64_e32 v[2:3], v[10:11], v[2:3]
	s_wait_dscnt 0x0
	s_delay_alu instid0(VALU_DEP_2) | instskip(NEXT) | instid1(VALU_DEP_2)
	v_add_f64_e32 v[0:1], v[0:1], v[4:5]
	v_add_f64_e32 v[2:3], v[2:3], v[6:7]
	v_lshl_add_u64 v[4:5], v[150:151], 4, s[68:69]
	global_store_b128 v[4:5], v[0:3], off
	s_branch .LBB195_2
.LBB195_81:                             ;   in Loop: Header=BB195_4 Depth=1
	ds_load_b128 v[0:3], v173
	s_wait_dscnt 0x0
	ds_store_b128 v172, v[0:3]
	s_or_b32 exec_lo, exec_lo, s68
	s_and_saveexec_b32 s68, s8
	s_cbranch_execz .LBB195_28
.LBB195_82:                             ;   in Loop: Header=BB195_4 Depth=1
	ds_load_b128 v[0:3], v175
	s_wait_dscnt 0x0
	ds_store_b128 v174, v[0:3]
	s_or_b32 exec_lo, exec_lo, s68
	s_and_saveexec_b32 s68, s9
	s_cbranch_execz .LBB195_29
.LBB195_83:                             ;   in Loop: Header=BB195_4 Depth=1
	ds_load_b128 v[0:3], v177
	s_wait_dscnt 0x0
	ds_store_b128 v176, v[0:3]
	s_or_b32 exec_lo, exec_lo, s68
	s_and_saveexec_b32 s68, s10
	s_cbranch_execnz .LBB195_30
	s_branch .LBB195_31
.LBB195_84:                             ;   in Loop: Header=BB195_4 Depth=1
	ds_load_b128 v[6:9], v173
	s_wait_dscnt 0x0
	ds_store_b128 v183, v[6:9]
	s_or_b32 exec_lo, exec_lo, s68
	s_and_saveexec_b32 s68, s8
	s_cbranch_execz .LBB195_49
.LBB195_85:                             ;   in Loop: Header=BB195_4 Depth=1
	ds_load_b128 v[6:9], v175
	s_wait_dscnt 0x0
	ds_store_b128 v184, v[6:9]
	s_or_b32 exec_lo, exec_lo, s68
	s_and_saveexec_b32 s68, s9
	s_cbranch_execz .LBB195_50
.LBB195_86:                             ;   in Loop: Header=BB195_4 Depth=1
	ds_load_b128 v[6:9], v177
	s_wait_dscnt 0x0
	ds_store_b128 v185, v[6:9]
	s_or_b32 exec_lo, exec_lo, s68
	s_and_saveexec_b32 s68, s10
	s_cbranch_execnz .LBB195_51
	s_branch .LBB195_52
.LBB195_87:                             ;   in Loop: Header=BB195_4 Depth=1
	flat_load_b128 v[6:9], v[0:1]
	s_wait_loadcnt_dscnt 0x0
	ds_store_2addr_b64 v168, v[6:7], v[8:9] offset1:1
	s_wait_xcnt 0x0
	s_or_b32 exec_lo, exec_lo, s68
	s_and_saveexec_b32 s68, s4
	s_delay_alu instid0(SALU_CYCLE_1)
	s_xor_b32 s68, exec_lo, s68
	s_cbranch_execz .LBB195_19
.LBB195_88:                             ;   in Loop: Header=BB195_4 Depth=1
	v_dual_mov_b32 v6, v147 :: v_dual_mov_b32 v7, v147
	v_dual_mov_b32 v8, v147 :: v_dual_mov_b32 v9, v147
	ds_store_b128 v169, v[6:9]
	s_and_not1_saveexec_b32 s68, s68
	s_cbranch_execz .LBB195_20
.LBB195_89:                             ;   in Loop: Header=BB195_4 Depth=1
	v_lshl_add_u64 v[2:3], s[38:39], 4, v[0:1]
	flat_load_b128 v[6:9], v[2:3]
	s_wait_loadcnt_dscnt 0x0
	ds_store_2addr_b64 v169, v[6:7], v[8:9] offset1:1
	s_wait_xcnt 0x0
	s_or_b32 exec_lo, exec_lo, s68
	s_and_saveexec_b32 s68, s5
	s_delay_alu instid0(SALU_CYCLE_1)
	s_xor_b32 s68, exec_lo, s68
	s_cbranch_execz .LBB195_21
.LBB195_90:                             ;   in Loop: Header=BB195_4 Depth=1
	v_dual_mov_b32 v6, v147 :: v_dual_mov_b32 v7, v147
	v_dual_mov_b32 v8, v147 :: v_dual_mov_b32 v9, v147
	ds_store_b128 v170, v[6:9]
	s_and_not1_saveexec_b32 s68, s68
	s_cbranch_execz .LBB195_22
.LBB195_91:                             ;   in Loop: Header=BB195_4 Depth=1
	v_lshl_add_u64 v[2:3], s[42:43], 4, v[0:1]
	flat_load_b128 v[6:9], v[2:3]
	s_wait_loadcnt_dscnt 0x0
	ds_store_2addr_b64 v170, v[6:7], v[8:9] offset1:1
	s_wait_xcnt 0x0
	s_or_b32 exec_lo, exec_lo, s68
	s_and_saveexec_b32 s68, s6
	s_delay_alu instid0(SALU_CYCLE_1)
	s_xor_b32 s68, exec_lo, s68
	s_cbranch_execz .LBB195_23
.LBB195_92:                             ;   in Loop: Header=BB195_4 Depth=1
	v_dual_mov_b32 v6, v147 :: v_dual_mov_b32 v7, v147
	v_dual_mov_b32 v8, v147 :: v_dual_mov_b32 v9, v147
	ds_store_b128 v171, v[6:9]
	s_and_not1_saveexec_b32 s68, s68
	s_cbranch_execnz .LBB195_24
	s_branch .LBB195_25
.LBB195_93:                             ;   in Loop: Header=BB195_4 Depth=1
	flat_load_b128 v[8:11], v[6:7]
	s_wait_loadcnt_dscnt 0x0
	ds_store_2addr_b64 v168, v[8:9], v[10:11] offset1:1
	s_wait_xcnt 0x0
	s_or_b32 exec_lo, exec_lo, s68
	s_and_saveexec_b32 s68, s14
	s_delay_alu instid0(SALU_CYCLE_1)
	s_xor_b32 s68, exec_lo, s68
	s_cbranch_execz .LBB195_40
.LBB195_94:                             ;   in Loop: Header=BB195_4 Depth=1
	v_dual_mov_b32 v8, v147 :: v_dual_mov_b32 v9, v147
	v_dual_mov_b32 v10, v147 :: v_dual_mov_b32 v11, v147
	ds_store_b128 v169, v[8:11]
	s_and_not1_saveexec_b32 s68, s68
	s_cbranch_execz .LBB195_41
.LBB195_95:                             ;   in Loop: Header=BB195_4 Depth=1
	v_lshl_add_u64 v[8:9], s[38:39], 4, v[6:7]
	flat_load_b128 v[8:11], v[8:9]
	s_wait_loadcnt_dscnt 0x0
	ds_store_2addr_b64 v169, v[8:9], v[10:11] offset1:1
	s_wait_xcnt 0x0
	s_or_b32 exec_lo, exec_lo, s68
	s_and_saveexec_b32 s68, s15
	s_delay_alu instid0(SALU_CYCLE_1)
	s_xor_b32 s68, exec_lo, s68
	s_cbranch_execz .LBB195_42
.LBB195_96:                             ;   in Loop: Header=BB195_4 Depth=1
	v_dual_mov_b32 v8, v147 :: v_dual_mov_b32 v9, v147
	v_dual_mov_b32 v10, v147 :: v_dual_mov_b32 v11, v147
	ds_store_b128 v170, v[8:11]
	s_and_not1_saveexec_b32 s68, s68
	s_cbranch_execz .LBB195_43
.LBB195_97:                             ;   in Loop: Header=BB195_4 Depth=1
	v_lshl_add_u64 v[8:9], s[42:43], 4, v[6:7]
	flat_load_b128 v[8:11], v[8:9]
	s_wait_loadcnt_dscnt 0x0
	ds_store_2addr_b64 v170, v[8:9], v[10:11] offset1:1
	s_wait_xcnt 0x0
	s_or_b32 exec_lo, exec_lo, s68
	s_and_saveexec_b32 s68, s16
	s_delay_alu instid0(SALU_CYCLE_1)
	s_xor_b32 s68, exec_lo, s68
	s_cbranch_execz .LBB195_44
.LBB195_98:                             ;   in Loop: Header=BB195_4 Depth=1
	v_dual_mov_b32 v8, v147 :: v_dual_mov_b32 v9, v147
	v_dual_mov_b32 v10, v147 :: v_dual_mov_b32 v11, v147
	ds_store_b128 v171, v[8:11]
	s_and_not1_saveexec_b32 s68, s68
	s_cbranch_execnz .LBB195_45
	s_branch .LBB195_46
.LBB195_99:                             ;   in Loop: Header=BB195_4 Depth=1
	flat_load_b128 v[6:9], v[4:5]
	s_wait_loadcnt_dscnt 0x0
	ds_store_2addr_b64 v168, v[6:7], v[8:9] offset1:1
	s_wait_xcnt 0x0
	s_or_b32 exec_lo, exec_lo, s68
	s_and_saveexec_b32 s68, s4
	s_delay_alu instid0(SALU_CYCLE_1)
	s_xor_b32 s68, exec_lo, s68
	s_cbranch_execz .LBB195_61
.LBB195_100:                            ;   in Loop: Header=BB195_4 Depth=1
	v_dual_mov_b32 v6, v147 :: v_dual_mov_b32 v7, v147
	v_dual_mov_b32 v8, v147 :: v_dual_mov_b32 v9, v147
	ds_store_b128 v169, v[6:9]
	s_and_not1_saveexec_b32 s68, s68
	s_cbranch_execz .LBB195_62
.LBB195_101:                            ;   in Loop: Header=BB195_4 Depth=1
	v_lshl_add_u64 v[6:7], s[38:39], 4, v[4:5]
	flat_load_b128 v[6:9], v[6:7]
	s_wait_loadcnt_dscnt 0x0
	ds_store_2addr_b64 v169, v[6:7], v[8:9] offset1:1
	s_wait_xcnt 0x0
	s_or_b32 exec_lo, exec_lo, s68
	s_and_saveexec_b32 s68, s5
	s_delay_alu instid0(SALU_CYCLE_1)
	s_xor_b32 s68, exec_lo, s68
	s_cbranch_execz .LBB195_63
.LBB195_102:                            ;   in Loop: Header=BB195_4 Depth=1
	v_dual_mov_b32 v6, v147 :: v_dual_mov_b32 v7, v147
	v_dual_mov_b32 v8, v147 :: v_dual_mov_b32 v9, v147
	ds_store_b128 v170, v[6:9]
	s_and_not1_saveexec_b32 s68, s68
	s_cbranch_execz .LBB195_64
.LBB195_103:                            ;   in Loop: Header=BB195_4 Depth=1
	v_lshl_add_u64 v[6:7], s[42:43], 4, v[4:5]
	flat_load_b128 v[6:9], v[6:7]
	s_wait_loadcnt_dscnt 0x0
	ds_store_2addr_b64 v170, v[6:7], v[8:9] offset1:1
	s_wait_xcnt 0x0
	s_or_b32 exec_lo, exec_lo, s68
	s_and_saveexec_b32 s68, s6
	s_delay_alu instid0(SALU_CYCLE_1)
	s_xor_b32 s68, exec_lo, s68
	s_cbranch_execz .LBB195_65
.LBB195_104:                            ;   in Loop: Header=BB195_4 Depth=1
	v_dual_mov_b32 v6, v147 :: v_dual_mov_b32 v7, v147
	v_dual_mov_b32 v8, v147 :: v_dual_mov_b32 v9, v147
	ds_store_b128 v171, v[6:9]
	s_and_not1_saveexec_b32 s68, s68
	s_cbranch_execnz .LBB195_66
	s_branch .LBB195_67
.LBB195_105:
	s_sendmsg sendmsg(MSG_DEALLOC_VGPRS)
	s_endpgm
	.section	.rodata,"a",@progbits
	.p2align	6, 0x0
	.amdhsa_kernel _ZL26rocblas_hemvn_kernel_lowerILb0ELi64ELi4ELi33ELi32ELi16Ei19rocblas_complex_numIdEPKPKS1_PS1_EviT6_lT7_lT5_lS8_lS9_lS7_lT8_i
		.amdhsa_group_segment_fixed_size 19200
		.amdhsa_private_segment_fixed_size 0
		.amdhsa_kernarg_size 392
		.amdhsa_user_sgpr_count 2
		.amdhsa_user_sgpr_dispatch_ptr 0
		.amdhsa_user_sgpr_queue_ptr 0
		.amdhsa_user_sgpr_kernarg_segment_ptr 1
		.amdhsa_user_sgpr_dispatch_id 0
		.amdhsa_user_sgpr_kernarg_preload_length 0
		.amdhsa_user_sgpr_kernarg_preload_offset 0
		.amdhsa_user_sgpr_private_segment_size 0
		.amdhsa_wavefront_size32 1
		.amdhsa_uses_dynamic_stack 0
		.amdhsa_enable_private_segment 0
		.amdhsa_system_sgpr_workgroup_id_x 1
		.amdhsa_system_sgpr_workgroup_id_y 0
		.amdhsa_system_sgpr_workgroup_id_z 1
		.amdhsa_system_sgpr_workgroup_info 0
		.amdhsa_system_vgpr_workitem_id 1
		.amdhsa_next_free_vgpr 250
		.amdhsa_next_free_sgpr 80
		.amdhsa_named_barrier_count 0
		.amdhsa_reserve_vcc 1
		.amdhsa_float_round_mode_32 0
		.amdhsa_float_round_mode_16_64 0
		.amdhsa_float_denorm_mode_32 3
		.amdhsa_float_denorm_mode_16_64 3
		.amdhsa_fp16_overflow 0
		.amdhsa_memory_ordered 1
		.amdhsa_forward_progress 1
		.amdhsa_inst_pref_size 64
		.amdhsa_round_robin_scheduling 0
		.amdhsa_exception_fp_ieee_invalid_op 0
		.amdhsa_exception_fp_denorm_src 0
		.amdhsa_exception_fp_ieee_div_zero 0
		.amdhsa_exception_fp_ieee_overflow 0
		.amdhsa_exception_fp_ieee_underflow 0
		.amdhsa_exception_fp_ieee_inexact 0
		.amdhsa_exception_int_div_zero 0
	.end_amdhsa_kernel
	.section	.text._ZL26rocblas_hemvn_kernel_lowerILb0ELi64ELi4ELi33ELi32ELi16Ei19rocblas_complex_numIdEPKPKS1_PS1_EviT6_lT7_lT5_lS8_lS9_lS7_lT8_i,"axG",@progbits,_ZL26rocblas_hemvn_kernel_lowerILb0ELi64ELi4ELi33ELi32ELi16Ei19rocblas_complex_numIdEPKPKS1_PS1_EviT6_lT7_lT5_lS8_lS9_lS7_lT8_i,comdat
.Lfunc_end195:
	.size	_ZL26rocblas_hemvn_kernel_lowerILb0ELi64ELi4ELi33ELi32ELi16Ei19rocblas_complex_numIdEPKPKS1_PS1_EviT6_lT7_lT5_lS8_lS9_lS7_lT8_i, .Lfunc_end195-_ZL26rocblas_hemvn_kernel_lowerILb0ELi64ELi4ELi33ELi32ELi16Ei19rocblas_complex_numIdEPKPKS1_PS1_EviT6_lT7_lT5_lS8_lS9_lS7_lT8_i
                                        ; -- End function
	.set _ZL26rocblas_hemvn_kernel_lowerILb0ELi64ELi4ELi33ELi32ELi16Ei19rocblas_complex_numIdEPKPKS1_PS1_EviT6_lT7_lT5_lS8_lS9_lS7_lT8_i.num_vgpr, 250
	.set _ZL26rocblas_hemvn_kernel_lowerILb0ELi64ELi4ELi33ELi32ELi16Ei19rocblas_complex_numIdEPKPKS1_PS1_EviT6_lT7_lT5_lS8_lS9_lS7_lT8_i.num_agpr, 0
	.set _ZL26rocblas_hemvn_kernel_lowerILb0ELi64ELi4ELi33ELi32ELi16Ei19rocblas_complex_numIdEPKPKS1_PS1_EviT6_lT7_lT5_lS8_lS9_lS7_lT8_i.numbered_sgpr, 80
	.set _ZL26rocblas_hemvn_kernel_lowerILb0ELi64ELi4ELi33ELi32ELi16Ei19rocblas_complex_numIdEPKPKS1_PS1_EviT6_lT7_lT5_lS8_lS9_lS7_lT8_i.num_named_barrier, 0
	.set _ZL26rocblas_hemvn_kernel_lowerILb0ELi64ELi4ELi33ELi32ELi16Ei19rocblas_complex_numIdEPKPKS1_PS1_EviT6_lT7_lT5_lS8_lS9_lS7_lT8_i.private_seg_size, 0
	.set _ZL26rocblas_hemvn_kernel_lowerILb0ELi64ELi4ELi33ELi32ELi16Ei19rocblas_complex_numIdEPKPKS1_PS1_EviT6_lT7_lT5_lS8_lS9_lS7_lT8_i.uses_vcc, 1
	.set _ZL26rocblas_hemvn_kernel_lowerILb0ELi64ELi4ELi33ELi32ELi16Ei19rocblas_complex_numIdEPKPKS1_PS1_EviT6_lT7_lT5_lS8_lS9_lS7_lT8_i.uses_flat_scratch, 1
	.set _ZL26rocblas_hemvn_kernel_lowerILb0ELi64ELi4ELi33ELi32ELi16Ei19rocblas_complex_numIdEPKPKS1_PS1_EviT6_lT7_lT5_lS8_lS9_lS7_lT8_i.has_dyn_sized_stack, 0
	.set _ZL26rocblas_hemvn_kernel_lowerILb0ELi64ELi4ELi33ELi32ELi16Ei19rocblas_complex_numIdEPKPKS1_PS1_EviT6_lT7_lT5_lS8_lS9_lS7_lT8_i.has_recursion, 0
	.set _ZL26rocblas_hemvn_kernel_lowerILb0ELi64ELi4ELi33ELi32ELi16Ei19rocblas_complex_numIdEPKPKS1_PS1_EviT6_lT7_lT5_lS8_lS9_lS7_lT8_i.has_indirect_call, 0
	.section	.AMDGPU.csdata,"",@progbits
; Kernel info:
; codeLenInByte = 8072
; TotalNumSgprs: 82
; NumVgprs: 250
; ScratchSize: 0
; MemoryBound: 0
; FloatMode: 240
; IeeeMode: 1
; LDSByteSize: 19200 bytes/workgroup (compile time only)
; SGPRBlocks: 0
; VGPRBlocks: 15
; NumSGPRsForWavesPerEU: 82
; NumVGPRsForWavesPerEU: 250
; NamedBarCnt: 0
; Occupancy: 4
; WaveLimiterHint : 1
; COMPUTE_PGM_RSRC2:SCRATCH_EN: 0
; COMPUTE_PGM_RSRC2:USER_SGPR: 2
; COMPUTE_PGM_RSRC2:TRAP_HANDLER: 0
; COMPUTE_PGM_RSRC2:TGID_X_EN: 1
; COMPUTE_PGM_RSRC2:TGID_Y_EN: 0
; COMPUTE_PGM_RSRC2:TGID_Z_EN: 1
; COMPUTE_PGM_RSRC2:TIDIG_COMP_CNT: 1
	.section	.AMDGPU.gpr_maximums,"",@progbits
	.set amdgpu.max_num_vgpr, 0
	.set amdgpu.max_num_agpr, 0
	.set amdgpu.max_num_sgpr, 0
	.section	.AMDGPU.csdata,"",@progbits
	.type	__hip_cuid_7b4031e382be1a71,@object ; @__hip_cuid_7b4031e382be1a71
	.section	.bss,"aw",@nobits
	.globl	__hip_cuid_7b4031e382be1a71
__hip_cuid_7b4031e382be1a71:
	.byte	0                               ; 0x0
	.size	__hip_cuid_7b4031e382be1a71, 1

	.ident	"AMD clang version 22.0.0git (https://github.com/RadeonOpenCompute/llvm-project roc-7.2.4 26084 f58b06dce1f9c15707c5f808fd002e18c2accf7e)"
	.section	".note.GNU-stack","",@progbits
	.addrsig
	.addrsig_sym __hip_cuid_7b4031e382be1a71
	.amdgpu_metadata
---
amdhsa.kernels:
  - .args:
      - .offset:         0
        .size:           4
        .value_kind:     by_value
      - .address_space:  global
        .offset:         8
        .size:           8
        .value_kind:     global_buffer
      - .offset:         16
        .size:           8
        .value_kind:     by_value
      - .address_space:  global
        .offset:         24
        .size:           8
        .value_kind:     global_buffer
      - .offset:         32
        .size:           8
        .value_kind:     by_value
      - .offset:         40
        .size:           8
        .value_kind:     by_value
      - .offset:         48
        .size:           8
        .value_kind:     by_value
      - .address_space:  global
        .offset:         56
        .size:           8
        .value_kind:     global_buffer
      - .offset:         64
        .size:           8
        .value_kind:     by_value
      - .offset:         72
        .size:           8
        .value_kind:     by_value
      - .offset:         80
        .size:           8
        .value_kind:     by_value
      - .address_space:  global
        .offset:         88
        .size:           8
        .value_kind:     global_buffer
      - .offset:         96
        .size:           8
        .value_kind:     by_value
      - .address_space:  global
        .offset:         104
        .size:           8
        .value_kind:     global_buffer
      - .offset:         112
        .size:           4
        .value_kind:     by_value
      - .offset:         120
        .size:           4
        .value_kind:     hidden_block_count_x
      - .offset:         124
        .size:           4
        .value_kind:     hidden_block_count_y
      - .offset:         128
        .size:           4
        .value_kind:     hidden_block_count_z
      - .offset:         132
        .size:           2
        .value_kind:     hidden_group_size_x
      - .offset:         134
        .size:           2
        .value_kind:     hidden_group_size_y
      - .offset:         136
        .size:           2
        .value_kind:     hidden_group_size_z
      - .offset:         138
        .size:           2
        .value_kind:     hidden_remainder_x
      - .offset:         140
        .size:           2
        .value_kind:     hidden_remainder_y
      - .offset:         142
        .size:           2
        .value_kind:     hidden_remainder_z
      - .offset:         160
        .size:           8
        .value_kind:     hidden_global_offset_x
      - .offset:         168
        .size:           8
        .value_kind:     hidden_global_offset_y
      - .offset:         176
        .size:           8
        .value_kind:     hidden_global_offset_z
      - .offset:         184
        .size:           2
        .value_kind:     hidden_grid_dims
    .group_segment_fixed_size: 9600
    .kernarg_segment_align: 8
    .kernarg_segment_size: 376
    .language:       OpenCL C
    .language_version:
      - 2
      - 0
    .max_flat_workgroup_size: 256
    .name:           _ZL26rocblas_hemvn_kernel_upperILb1ELi64ELi4ELi33ELi32ELi16ElPK19rocblas_complex_numIfES3_PS1_EviT6_lT7_lT5_lS6_lS7_lS5_lT8_i
    .private_segment_fixed_size: 0
    .sgpr_count:     84
    .sgpr_spill_count: 0
    .symbol:         _ZL26rocblas_hemvn_kernel_upperILb1ELi64ELi4ELi33ELi32ELi16ElPK19rocblas_complex_numIfES3_PS1_EviT6_lT7_lT5_lS6_lS7_lS5_lT8_i.kd
    .uniform_work_group_size: 1
    .uses_dynamic_stack: false
    .vgpr_count:     230
    .vgpr_spill_count: 0
    .wavefront_size: 32
  - .args:
      - .offset:         0
        .size:           4
        .value_kind:     by_value
      - .address_space:  global
        .offset:         8
        .size:           8
        .value_kind:     global_buffer
      - .offset:         16
        .size:           8
        .value_kind:     by_value
      - .address_space:  global
        .offset:         24
        .size:           8
        .value_kind:     global_buffer
      - .offset:         32
        .size:           8
        .value_kind:     by_value
      - .address_space:  global
        .offset:         40
        .size:           8
        .value_kind:     global_buffer
      - .offset:         48
        .size:           8
        .value_kind:     by_value
      - .offset:         56
        .size:           8
        .value_kind:     by_value
      - .offset:         64
        .size:           8
        .value_kind:     by_value
      - .address_space:  global
        .offset:         72
        .size:           8
        .value_kind:     global_buffer
      - .offset:         80
        .size:           4
        .value_kind:     by_value
      - .offset:         88
        .size:           4
        .value_kind:     hidden_block_count_x
      - .offset:         92
        .size:           4
        .value_kind:     hidden_block_count_y
      - .offset:         96
        .size:           4
        .value_kind:     hidden_block_count_z
      - .offset:         100
        .size:           2
        .value_kind:     hidden_group_size_x
      - .offset:         102
        .size:           2
        .value_kind:     hidden_group_size_y
      - .offset:         104
        .size:           2
        .value_kind:     hidden_group_size_z
      - .offset:         106
        .size:           2
        .value_kind:     hidden_remainder_x
      - .offset:         108
        .size:           2
        .value_kind:     hidden_remainder_y
      - .offset:         110
        .size:           2
        .value_kind:     hidden_remainder_z
      - .offset:         128
        .size:           8
        .value_kind:     hidden_global_offset_x
      - .offset:         136
        .size:           8
        .value_kind:     hidden_global_offset_y
      - .offset:         144
        .size:           8
        .value_kind:     hidden_global_offset_z
      - .offset:         152
        .size:           2
        .value_kind:     hidden_grid_dims
    .group_segment_fixed_size: 0
    .kernarg_segment_align: 8
    .kernarg_segment_size: 344
    .language:       OpenCL C
    .language_version:
      - 2
      - 0
    .max_flat_workgroup_size: 64
    .name:           _ZL36rocblas_hemvn_kernel_upper_block_sumILi64ElPK19rocblas_complex_numIfEPS1_S1_EviT1_lS5_lT2_lT0_lPT3_i
    .private_segment_fixed_size: 0
    .sgpr_count:     34
    .sgpr_spill_count: 0
    .symbol:         _ZL36rocblas_hemvn_kernel_upper_block_sumILi64ElPK19rocblas_complex_numIfEPS1_S1_EviT1_lS5_lT2_lT0_lPT3_i.kd
    .uniform_work_group_size: 1
    .uses_dynamic_stack: false
    .vgpr_count:     22
    .vgpr_spill_count: 0
    .wavefront_size: 32
  - .args:
      - .offset:         0
        .size:           4
        .value_kind:     by_value
      - .address_space:  global
        .offset:         8
        .size:           8
        .value_kind:     global_buffer
      - .offset:         16
        .size:           8
        .value_kind:     by_value
      - .address_space:  global
        .offset:         24
        .size:           8
        .value_kind:     global_buffer
      - .offset:         32
        .size:           8
        .value_kind:     by_value
      - .offset:         40
        .size:           4
        .value_kind:     by_value
      - .offset:         48
        .size:           8
        .value_kind:     by_value
      - .address_space:  global
        .offset:         56
        .size:           8
        .value_kind:     global_buffer
      - .offset:         64
        .size:           8
        .value_kind:     by_value
      - .offset:         72
        .size:           4
        .value_kind:     by_value
      - .offset:         80
        .size:           8
        .value_kind:     by_value
      - .address_space:  global
        .offset:         88
        .size:           8
        .value_kind:     global_buffer
      - .offset:         96
        .size:           8
        .value_kind:     by_value
      - .address_space:  global
        .offset:         104
        .size:           8
        .value_kind:     global_buffer
      - .offset:         112
        .size:           4
        .value_kind:     by_value
      - .offset:         120
        .size:           4
        .value_kind:     hidden_block_count_x
      - .offset:         124
        .size:           4
        .value_kind:     hidden_block_count_y
      - .offset:         128
        .size:           4
        .value_kind:     hidden_block_count_z
      - .offset:         132
        .size:           2
        .value_kind:     hidden_group_size_x
      - .offset:         134
        .size:           2
        .value_kind:     hidden_group_size_y
      - .offset:         136
        .size:           2
        .value_kind:     hidden_group_size_z
      - .offset:         138
        .size:           2
        .value_kind:     hidden_remainder_x
      - .offset:         140
        .size:           2
        .value_kind:     hidden_remainder_y
      - .offset:         142
        .size:           2
        .value_kind:     hidden_remainder_z
      - .offset:         160
        .size:           8
        .value_kind:     hidden_global_offset_x
      - .offset:         168
        .size:           8
        .value_kind:     hidden_global_offset_y
      - .offset:         176
        .size:           8
        .value_kind:     hidden_global_offset_z
      - .offset:         184
        .size:           2
        .value_kind:     hidden_grid_dims
    .group_segment_fixed_size: 9600
    .kernarg_segment_align: 8
    .kernarg_segment_size: 376
    .language:       OpenCL C
    .language_version:
      - 2
      - 0
    .max_flat_workgroup_size: 256
    .name:           _ZL26rocblas_hemvn_kernel_upperILb1ELi64ELi4ELi33ELi32ELi16EiPK19rocblas_complex_numIfES3_PS1_EviT6_lT7_lT5_lS6_lS7_lS5_lT8_i
    .private_segment_fixed_size: 0
    .sgpr_count:     88
    .sgpr_spill_count: 0
    .symbol:         _ZL26rocblas_hemvn_kernel_upperILb1ELi64ELi4ELi33ELi32ELi16EiPK19rocblas_complex_numIfES3_PS1_EviT6_lT7_lT5_lS6_lS7_lS5_lT8_i.kd
    .uniform_work_group_size: 1
    .uses_dynamic_stack: false
    .vgpr_count:     250
    .vgpr_spill_count: 0
    .wavefront_size: 32
  - .args:
      - .offset:         0
        .size:           4
        .value_kind:     by_value
      - .address_space:  global
        .offset:         8
        .size:           8
        .value_kind:     global_buffer
      - .offset:         16
        .size:           8
        .value_kind:     by_value
      - .address_space:  global
        .offset:         24
        .size:           8
        .value_kind:     global_buffer
      - .offset:         32
        .size:           8
        .value_kind:     by_value
      - .address_space:  global
        .offset:         40
        .size:           8
        .value_kind:     global_buffer
      - .offset:         48
        .size:           8
        .value_kind:     by_value
      - .offset:         56
        .size:           4
        .value_kind:     by_value
      - .offset:         64
        .size:           8
        .value_kind:     by_value
      - .address_space:  global
        .offset:         72
        .size:           8
        .value_kind:     global_buffer
      - .offset:         80
        .size:           4
        .value_kind:     by_value
      - .offset:         88
        .size:           4
        .value_kind:     hidden_block_count_x
      - .offset:         92
        .size:           4
        .value_kind:     hidden_block_count_y
      - .offset:         96
        .size:           4
        .value_kind:     hidden_block_count_z
      - .offset:         100
        .size:           2
        .value_kind:     hidden_group_size_x
      - .offset:         102
        .size:           2
        .value_kind:     hidden_group_size_y
      - .offset:         104
        .size:           2
        .value_kind:     hidden_group_size_z
      - .offset:         106
        .size:           2
        .value_kind:     hidden_remainder_x
      - .offset:         108
        .size:           2
        .value_kind:     hidden_remainder_y
      - .offset:         110
        .size:           2
        .value_kind:     hidden_remainder_z
      - .offset:         128
        .size:           8
        .value_kind:     hidden_global_offset_x
      - .offset:         136
        .size:           8
        .value_kind:     hidden_global_offset_y
      - .offset:         144
        .size:           8
        .value_kind:     hidden_global_offset_z
      - .offset:         152
        .size:           2
        .value_kind:     hidden_grid_dims
    .group_segment_fixed_size: 0
    .kernarg_segment_align: 8
    .kernarg_segment_size: 344
    .language:       OpenCL C
    .language_version:
      - 2
      - 0
    .max_flat_workgroup_size: 64
    .name:           _ZL36rocblas_hemvn_kernel_upper_block_sumILi64EiPK19rocblas_complex_numIfEPS1_S1_EviT1_lS5_lT2_lT0_lPT3_i
    .private_segment_fixed_size: 0
    .sgpr_count:     34
    .sgpr_spill_count: 0
    .symbol:         _ZL36rocblas_hemvn_kernel_upper_block_sumILi64EiPK19rocblas_complex_numIfEPS1_S1_EviT1_lS5_lT2_lT0_lPT3_i.kd
    .uniform_work_group_size: 1
    .uses_dynamic_stack: false
    .vgpr_count:     22
    .vgpr_spill_count: 0
    .wavefront_size: 32
  - .args:
      - .offset:         0
        .size:           4
        .value_kind:     by_value
      - .offset:         4
        .size:           8
        .value_kind:     by_value
      - .offset:         16
        .size:           8
        .value_kind:     by_value
      - .address_space:  global
        .offset:         24
        .size:           8
        .value_kind:     global_buffer
      - .offset:         32
        .size:           8
        .value_kind:     by_value
      - .offset:         40
        .size:           8
        .value_kind:     by_value
      - .offset:         48
        .size:           8
        .value_kind:     by_value
      - .address_space:  global
        .offset:         56
        .size:           8
        .value_kind:     global_buffer
      - .offset:         64
        .size:           8
        .value_kind:     by_value
      - .offset:         72
        .size:           8
        .value_kind:     by_value
      - .offset:         80
        .size:           8
        .value_kind:     by_value
      - .offset:         88
        .size:           8
        .value_kind:     by_value
      - .offset:         96
        .size:           8
        .value_kind:     by_value
      - .address_space:  global
        .offset:         104
        .size:           8
        .value_kind:     global_buffer
      - .offset:         112
        .size:           4
        .value_kind:     by_value
      - .offset:         120
        .size:           4
        .value_kind:     hidden_block_count_x
      - .offset:         124
        .size:           4
        .value_kind:     hidden_block_count_y
      - .offset:         128
        .size:           4
        .value_kind:     hidden_block_count_z
      - .offset:         132
        .size:           2
        .value_kind:     hidden_group_size_x
      - .offset:         134
        .size:           2
        .value_kind:     hidden_group_size_y
      - .offset:         136
        .size:           2
        .value_kind:     hidden_group_size_z
      - .offset:         138
        .size:           2
        .value_kind:     hidden_remainder_x
      - .offset:         140
        .size:           2
        .value_kind:     hidden_remainder_y
      - .offset:         142
        .size:           2
        .value_kind:     hidden_remainder_z
      - .offset:         160
        .size:           8
        .value_kind:     hidden_global_offset_x
      - .offset:         168
        .size:           8
        .value_kind:     hidden_global_offset_y
      - .offset:         176
        .size:           8
        .value_kind:     hidden_global_offset_z
      - .offset:         184
        .size:           2
        .value_kind:     hidden_grid_dims
    .group_segment_fixed_size: 9600
    .kernarg_segment_align: 8
    .kernarg_segment_size: 376
    .language:       OpenCL C
    .language_version:
      - 2
      - 0
    .max_flat_workgroup_size: 256
    .name:           _ZL26rocblas_hemvn_kernel_upperILb1ELi64ELi4ELi33ELi32ELi16El19rocblas_complex_numIfEPKS1_PS1_EviT6_lT7_lT5_lS6_lS7_lS5_lT8_i
    .private_segment_fixed_size: 0
    .sgpr_count:     78
    .sgpr_spill_count: 0
    .symbol:         _ZL26rocblas_hemvn_kernel_upperILb1ELi64ELi4ELi33ELi32ELi16El19rocblas_complex_numIfEPKS1_PS1_EviT6_lT7_lT5_lS6_lS7_lS5_lT8_i.kd
    .uniform_work_group_size: 1
    .uses_dynamic_stack: false
    .vgpr_count:     232
    .vgpr_spill_count: 0
    .wavefront_size: 32
  - .args:
      - .offset:         0
        .size:           4
        .value_kind:     by_value
      - .offset:         4
        .size:           8
        .value_kind:     by_value
      - .offset:         16
        .size:           8
        .value_kind:     by_value
      - .offset:         24
        .size:           8
        .value_kind:     by_value
      - .offset:         32
        .size:           8
        .value_kind:     by_value
      - .address_space:  global
        .offset:         40
        .size:           8
        .value_kind:     global_buffer
      - .offset:         48
        .size:           8
        .value_kind:     by_value
      - .offset:         56
        .size:           8
        .value_kind:     by_value
      - .offset:         64
        .size:           8
        .value_kind:     by_value
      - .address_space:  global
        .offset:         72
        .size:           8
        .value_kind:     global_buffer
      - .offset:         80
        .size:           4
        .value_kind:     by_value
      - .offset:         88
        .size:           4
        .value_kind:     hidden_block_count_x
      - .offset:         92
        .size:           4
        .value_kind:     hidden_block_count_y
      - .offset:         96
        .size:           4
        .value_kind:     hidden_block_count_z
      - .offset:         100
        .size:           2
        .value_kind:     hidden_group_size_x
      - .offset:         102
        .size:           2
        .value_kind:     hidden_group_size_y
      - .offset:         104
        .size:           2
        .value_kind:     hidden_group_size_z
      - .offset:         106
        .size:           2
        .value_kind:     hidden_remainder_x
      - .offset:         108
        .size:           2
        .value_kind:     hidden_remainder_y
      - .offset:         110
        .size:           2
        .value_kind:     hidden_remainder_z
      - .offset:         128
        .size:           8
        .value_kind:     hidden_global_offset_x
      - .offset:         136
        .size:           8
        .value_kind:     hidden_global_offset_y
      - .offset:         144
        .size:           8
        .value_kind:     hidden_global_offset_z
      - .offset:         152
        .size:           2
        .value_kind:     hidden_grid_dims
    .group_segment_fixed_size: 0
    .kernarg_segment_align: 8
    .kernarg_segment_size: 344
    .language:       OpenCL C
    .language_version:
      - 2
      - 0
    .max_flat_workgroup_size: 64
    .name:           _ZL36rocblas_hemvn_kernel_upper_block_sumILi64El19rocblas_complex_numIfEPS1_S1_EviT1_lS3_lT2_lT0_lPT3_i
    .private_segment_fixed_size: 0
    .sgpr_count:     32
    .sgpr_spill_count: 0
    .symbol:         _ZL36rocblas_hemvn_kernel_upper_block_sumILi64El19rocblas_complex_numIfEPS1_S1_EviT1_lS3_lT2_lT0_lPT3_i.kd
    .uniform_work_group_size: 1
    .uses_dynamic_stack: false
    .vgpr_count:     24
    .vgpr_spill_count: 0
    .wavefront_size: 32
  - .args:
      - .offset:         0
        .size:           4
        .value_kind:     by_value
      - .offset:         4
        .size:           8
        .value_kind:     by_value
      - .offset:         16
        .size:           8
        .value_kind:     by_value
      - .address_space:  global
        .offset:         24
        .size:           8
        .value_kind:     global_buffer
      - .offset:         32
        .size:           8
        .value_kind:     by_value
      - .offset:         40
        .size:           4
        .value_kind:     by_value
      - .offset:         48
        .size:           8
        .value_kind:     by_value
      - .address_space:  global
        .offset:         56
        .size:           8
        .value_kind:     global_buffer
      - .offset:         64
        .size:           8
        .value_kind:     by_value
      - .offset:         72
        .size:           4
        .value_kind:     by_value
      - .offset:         80
        .size:           8
        .value_kind:     by_value
      - .offset:         88
        .size:           8
        .value_kind:     by_value
      - .offset:         96
        .size:           8
        .value_kind:     by_value
      - .address_space:  global
        .offset:         104
        .size:           8
        .value_kind:     global_buffer
      - .offset:         112
        .size:           4
        .value_kind:     by_value
      - .offset:         120
        .size:           4
        .value_kind:     hidden_block_count_x
      - .offset:         124
        .size:           4
        .value_kind:     hidden_block_count_y
      - .offset:         128
        .size:           4
        .value_kind:     hidden_block_count_z
      - .offset:         132
        .size:           2
        .value_kind:     hidden_group_size_x
      - .offset:         134
        .size:           2
        .value_kind:     hidden_group_size_y
      - .offset:         136
        .size:           2
        .value_kind:     hidden_group_size_z
      - .offset:         138
        .size:           2
        .value_kind:     hidden_remainder_x
      - .offset:         140
        .size:           2
        .value_kind:     hidden_remainder_y
      - .offset:         142
        .size:           2
        .value_kind:     hidden_remainder_z
      - .offset:         160
        .size:           8
        .value_kind:     hidden_global_offset_x
      - .offset:         168
        .size:           8
        .value_kind:     hidden_global_offset_y
      - .offset:         176
        .size:           8
        .value_kind:     hidden_global_offset_z
      - .offset:         184
        .size:           2
        .value_kind:     hidden_grid_dims
    .group_segment_fixed_size: 9600
    .kernarg_segment_align: 8
    .kernarg_segment_size: 376
    .language:       OpenCL C
    .language_version:
      - 2
      - 0
    .max_flat_workgroup_size: 256
    .name:           _ZL26rocblas_hemvn_kernel_upperILb1ELi64ELi4ELi33ELi32ELi16Ei19rocblas_complex_numIfEPKS1_PS1_EviT6_lT7_lT5_lS6_lS7_lS5_lT8_i
    .private_segment_fixed_size: 0
    .sgpr_count:     82
    .sgpr_spill_count: 0
    .symbol:         _ZL26rocblas_hemvn_kernel_upperILb1ELi64ELi4ELi33ELi32ELi16Ei19rocblas_complex_numIfEPKS1_PS1_EviT6_lT7_lT5_lS6_lS7_lS5_lT8_i.kd
    .uniform_work_group_size: 1
    .uses_dynamic_stack: false
    .vgpr_count:     250
    .vgpr_spill_count: 0
    .wavefront_size: 32
  - .args:
      - .offset:         0
        .size:           4
        .value_kind:     by_value
      - .offset:         4
        .size:           8
        .value_kind:     by_value
      - .offset:         16
        .size:           8
        .value_kind:     by_value
      - .offset:         24
        .size:           8
        .value_kind:     by_value
      - .offset:         32
        .size:           8
        .value_kind:     by_value
      - .address_space:  global
        .offset:         40
        .size:           8
        .value_kind:     global_buffer
      - .offset:         48
        .size:           8
        .value_kind:     by_value
      - .offset:         56
        .size:           4
        .value_kind:     by_value
      - .offset:         64
        .size:           8
        .value_kind:     by_value
      - .address_space:  global
        .offset:         72
        .size:           8
        .value_kind:     global_buffer
      - .offset:         80
        .size:           4
        .value_kind:     by_value
      - .offset:         88
        .size:           4
        .value_kind:     hidden_block_count_x
      - .offset:         92
        .size:           4
        .value_kind:     hidden_block_count_y
      - .offset:         96
        .size:           4
        .value_kind:     hidden_block_count_z
      - .offset:         100
        .size:           2
        .value_kind:     hidden_group_size_x
      - .offset:         102
        .size:           2
        .value_kind:     hidden_group_size_y
      - .offset:         104
        .size:           2
        .value_kind:     hidden_group_size_z
      - .offset:         106
        .size:           2
        .value_kind:     hidden_remainder_x
      - .offset:         108
        .size:           2
        .value_kind:     hidden_remainder_y
      - .offset:         110
        .size:           2
        .value_kind:     hidden_remainder_z
      - .offset:         128
        .size:           8
        .value_kind:     hidden_global_offset_x
      - .offset:         136
        .size:           8
        .value_kind:     hidden_global_offset_y
      - .offset:         144
        .size:           8
        .value_kind:     hidden_global_offset_z
      - .offset:         152
        .size:           2
        .value_kind:     hidden_grid_dims
    .group_segment_fixed_size: 0
    .kernarg_segment_align: 8
    .kernarg_segment_size: 344
    .language:       OpenCL C
    .language_version:
      - 2
      - 0
    .max_flat_workgroup_size: 64
    .name:           _ZL36rocblas_hemvn_kernel_upper_block_sumILi64Ei19rocblas_complex_numIfEPS1_S1_EviT1_lS3_lT2_lT0_lPT3_i
    .private_segment_fixed_size: 0
    .sgpr_count:     33
    .sgpr_spill_count: 0
    .symbol:         _ZL36rocblas_hemvn_kernel_upper_block_sumILi64Ei19rocblas_complex_numIfEPS1_S1_EviT1_lS3_lT2_lT0_lPT3_i.kd
    .uniform_work_group_size: 1
    .uses_dynamic_stack: false
    .vgpr_count:     24
    .vgpr_spill_count: 0
    .wavefront_size: 32
  - .args:
      - .offset:         0
        .size:           4
        .value_kind:     by_value
      - .address_space:  global
        .offset:         8
        .size:           8
        .value_kind:     global_buffer
      - .offset:         16
        .size:           8
        .value_kind:     by_value
      - .address_space:  global
        .offset:         24
        .size:           8
        .value_kind:     global_buffer
      - .offset:         32
        .size:           8
        .value_kind:     by_value
      - .offset:         40
        .size:           8
        .value_kind:     by_value
      - .offset:         48
        .size:           8
        .value_kind:     by_value
      - .address_space:  global
        .offset:         56
        .size:           8
        .value_kind:     global_buffer
      - .offset:         64
        .size:           8
        .value_kind:     by_value
      - .offset:         72
        .size:           8
        .value_kind:     by_value
      - .offset:         80
        .size:           8
        .value_kind:     by_value
      - .address_space:  global
        .offset:         88
        .size:           8
        .value_kind:     global_buffer
      - .offset:         96
        .size:           8
        .value_kind:     by_value
      - .address_space:  global
        .offset:         104
        .size:           8
        .value_kind:     global_buffer
      - .offset:         112
        .size:           4
        .value_kind:     by_value
      - .offset:         120
        .size:           4
        .value_kind:     hidden_block_count_x
      - .offset:         124
        .size:           4
        .value_kind:     hidden_block_count_y
      - .offset:         128
        .size:           4
        .value_kind:     hidden_block_count_z
      - .offset:         132
        .size:           2
        .value_kind:     hidden_group_size_x
      - .offset:         134
        .size:           2
        .value_kind:     hidden_group_size_y
      - .offset:         136
        .size:           2
        .value_kind:     hidden_group_size_z
      - .offset:         138
        .size:           2
        .value_kind:     hidden_remainder_x
      - .offset:         140
        .size:           2
        .value_kind:     hidden_remainder_y
      - .offset:         142
        .size:           2
        .value_kind:     hidden_remainder_z
      - .offset:         160
        .size:           8
        .value_kind:     hidden_global_offset_x
      - .offset:         168
        .size:           8
        .value_kind:     hidden_global_offset_y
      - .offset:         176
        .size:           8
        .value_kind:     hidden_global_offset_z
      - .offset:         184
        .size:           2
        .value_kind:     hidden_grid_dims
    .group_segment_fixed_size: 9600
    .kernarg_segment_align: 8
    .kernarg_segment_size: 376
    .language:       OpenCL C
    .language_version:
      - 2
      - 0
    .max_flat_workgroup_size: 256
    .name:           _ZL26rocblas_hemvn_kernel_lowerILb1ELi64ELi4ELi33ELi32ELi16ElPK19rocblas_complex_numIfES3_PS1_EviT6_lT7_lT5_lS6_lS7_lS5_lT8_i
    .private_segment_fixed_size: 0
    .sgpr_count:     107
    .sgpr_spill_count: 0
    .symbol:         _ZL26rocblas_hemvn_kernel_lowerILb1ELi64ELi4ELi33ELi32ELi16ElPK19rocblas_complex_numIfES3_PS1_EviT6_lT7_lT5_lS6_lS7_lS5_lT8_i.kd
    .uniform_work_group_size: 1
    .uses_dynamic_stack: false
    .vgpr_count:     126
    .vgpr_spill_count: 0
    .wavefront_size: 32
  - .args:
      - .offset:         0
        .size:           4
        .value_kind:     by_value
      - .address_space:  global
        .offset:         8
        .size:           8
        .value_kind:     global_buffer
      - .offset:         16
        .size:           8
        .value_kind:     by_value
      - .address_space:  global
        .offset:         24
        .size:           8
        .value_kind:     global_buffer
      - .offset:         32
        .size:           8
        .value_kind:     by_value
      - .address_space:  global
        .offset:         40
        .size:           8
        .value_kind:     global_buffer
      - .offset:         48
        .size:           8
        .value_kind:     by_value
      - .offset:         56
        .size:           8
        .value_kind:     by_value
      - .offset:         64
        .size:           8
        .value_kind:     by_value
      - .actual_access:  read_only
        .address_space:  global
        .offset:         72
        .size:           8
        .value_kind:     global_buffer
      - .offset:         80
        .size:           4
        .value_kind:     by_value
      - .offset:         88
        .size:           4
        .value_kind:     hidden_block_count_x
      - .offset:         92
        .size:           4
        .value_kind:     hidden_block_count_y
      - .offset:         96
        .size:           4
        .value_kind:     hidden_block_count_z
      - .offset:         100
        .size:           2
        .value_kind:     hidden_group_size_x
      - .offset:         102
        .size:           2
        .value_kind:     hidden_group_size_y
      - .offset:         104
        .size:           2
        .value_kind:     hidden_group_size_z
      - .offset:         106
        .size:           2
        .value_kind:     hidden_remainder_x
      - .offset:         108
        .size:           2
        .value_kind:     hidden_remainder_y
      - .offset:         110
        .size:           2
        .value_kind:     hidden_remainder_z
      - .offset:         128
        .size:           8
        .value_kind:     hidden_global_offset_x
      - .offset:         136
        .size:           8
        .value_kind:     hidden_global_offset_y
      - .offset:         144
        .size:           8
        .value_kind:     hidden_global_offset_z
      - .offset:         152
        .size:           2
        .value_kind:     hidden_grid_dims
    .group_segment_fixed_size: 0
    .kernarg_segment_align: 8
    .kernarg_segment_size: 344
    .language:       OpenCL C
    .language_version:
      - 2
      - 0
    .max_flat_workgroup_size: 64
    .name:           _ZL36rocblas_hemvn_kernel_lower_block_sumILi64ElPK19rocblas_complex_numIfEPS1_S1_EviT1_lS5_lT2_lT0_lPT3_i
    .private_segment_fixed_size: 0
    .sgpr_count:     34
    .sgpr_spill_count: 0
    .symbol:         _ZL36rocblas_hemvn_kernel_lower_block_sumILi64ElPK19rocblas_complex_numIfEPS1_S1_EviT1_lS5_lT2_lT0_lPT3_i.kd
    .uniform_work_group_size: 1
    .uses_dynamic_stack: false
    .vgpr_count:     22
    .vgpr_spill_count: 0
    .wavefront_size: 32
  - .args:
      - .offset:         0
        .size:           4
        .value_kind:     by_value
      - .address_space:  global
        .offset:         8
        .size:           8
        .value_kind:     global_buffer
      - .offset:         16
        .size:           8
        .value_kind:     by_value
      - .address_space:  global
        .offset:         24
        .size:           8
        .value_kind:     global_buffer
      - .offset:         32
        .size:           8
        .value_kind:     by_value
      - .offset:         40
        .size:           4
        .value_kind:     by_value
      - .offset:         48
        .size:           8
        .value_kind:     by_value
      - .address_space:  global
        .offset:         56
        .size:           8
        .value_kind:     global_buffer
      - .offset:         64
        .size:           8
        .value_kind:     by_value
      - .offset:         72
        .size:           4
        .value_kind:     by_value
      - .offset:         80
        .size:           8
        .value_kind:     by_value
      - .address_space:  global
        .offset:         88
        .size:           8
        .value_kind:     global_buffer
      - .offset:         96
        .size:           8
        .value_kind:     by_value
      - .address_space:  global
        .offset:         104
        .size:           8
        .value_kind:     global_buffer
      - .offset:         112
        .size:           4
        .value_kind:     by_value
      - .offset:         120
        .size:           4
        .value_kind:     hidden_block_count_x
      - .offset:         124
        .size:           4
        .value_kind:     hidden_block_count_y
      - .offset:         128
        .size:           4
        .value_kind:     hidden_block_count_z
      - .offset:         132
        .size:           2
        .value_kind:     hidden_group_size_x
      - .offset:         134
        .size:           2
        .value_kind:     hidden_group_size_y
      - .offset:         136
        .size:           2
        .value_kind:     hidden_group_size_z
      - .offset:         138
        .size:           2
        .value_kind:     hidden_remainder_x
      - .offset:         140
        .size:           2
        .value_kind:     hidden_remainder_y
      - .offset:         142
        .size:           2
        .value_kind:     hidden_remainder_z
      - .offset:         160
        .size:           8
        .value_kind:     hidden_global_offset_x
      - .offset:         168
        .size:           8
        .value_kind:     hidden_global_offset_y
      - .offset:         176
        .size:           8
        .value_kind:     hidden_global_offset_z
      - .offset:         184
        .size:           2
        .value_kind:     hidden_grid_dims
    .group_segment_fixed_size: 9600
    .kernarg_segment_align: 8
    .kernarg_segment_size: 376
    .language:       OpenCL C
    .language_version:
      - 2
      - 0
    .max_flat_workgroup_size: 256
    .name:           _ZL26rocblas_hemvn_kernel_lowerILb1ELi64ELi4ELi33ELi32ELi16EiPK19rocblas_complex_numIfES3_PS1_EviT6_lT7_lT5_lS6_lS7_lS5_lT8_i
    .private_segment_fixed_size: 0
    .sgpr_count:     107
    .sgpr_spill_count: 1
    .symbol:         _ZL26rocblas_hemvn_kernel_lowerILb1ELi64ELi4ELi33ELi32ELi16EiPK19rocblas_complex_numIfES3_PS1_EviT6_lT7_lT5_lS6_lS7_lS5_lT8_i.kd
    .uniform_work_group_size: 1
    .uses_dynamic_stack: false
    .vgpr_count:     141
    .vgpr_spill_count: 0
    .wavefront_size: 32
  - .args:
      - .offset:         0
        .size:           4
        .value_kind:     by_value
      - .address_space:  global
        .offset:         8
        .size:           8
        .value_kind:     global_buffer
      - .offset:         16
        .size:           8
        .value_kind:     by_value
      - .address_space:  global
        .offset:         24
        .size:           8
        .value_kind:     global_buffer
      - .offset:         32
        .size:           8
        .value_kind:     by_value
      - .address_space:  global
        .offset:         40
        .size:           8
        .value_kind:     global_buffer
      - .offset:         48
        .size:           8
        .value_kind:     by_value
      - .offset:         56
        .size:           4
        .value_kind:     by_value
      - .offset:         64
        .size:           8
        .value_kind:     by_value
      - .actual_access:  read_only
        .address_space:  global
        .offset:         72
        .size:           8
        .value_kind:     global_buffer
      - .offset:         80
        .size:           4
        .value_kind:     by_value
      - .offset:         88
        .size:           4
        .value_kind:     hidden_block_count_x
      - .offset:         92
        .size:           4
        .value_kind:     hidden_block_count_y
      - .offset:         96
        .size:           4
        .value_kind:     hidden_block_count_z
      - .offset:         100
        .size:           2
        .value_kind:     hidden_group_size_x
      - .offset:         102
        .size:           2
        .value_kind:     hidden_group_size_y
      - .offset:         104
        .size:           2
        .value_kind:     hidden_group_size_z
      - .offset:         106
        .size:           2
        .value_kind:     hidden_remainder_x
      - .offset:         108
        .size:           2
        .value_kind:     hidden_remainder_y
      - .offset:         110
        .size:           2
        .value_kind:     hidden_remainder_z
      - .offset:         128
        .size:           8
        .value_kind:     hidden_global_offset_x
      - .offset:         136
        .size:           8
        .value_kind:     hidden_global_offset_y
      - .offset:         144
        .size:           8
        .value_kind:     hidden_global_offset_z
      - .offset:         152
        .size:           2
        .value_kind:     hidden_grid_dims
    .group_segment_fixed_size: 0
    .kernarg_segment_align: 8
    .kernarg_segment_size: 344
    .language:       OpenCL C
    .language_version:
      - 2
      - 0
    .max_flat_workgroup_size: 64
    .name:           _ZL36rocblas_hemvn_kernel_lower_block_sumILi64EiPK19rocblas_complex_numIfEPS1_S1_EviT1_lS5_lT2_lT0_lPT3_i
    .private_segment_fixed_size: 0
    .sgpr_count:     34
    .sgpr_spill_count: 0
    .symbol:         _ZL36rocblas_hemvn_kernel_lower_block_sumILi64EiPK19rocblas_complex_numIfEPS1_S1_EviT1_lS5_lT2_lT0_lPT3_i.kd
    .uniform_work_group_size: 1
    .uses_dynamic_stack: false
    .vgpr_count:     22
    .vgpr_spill_count: 0
    .wavefront_size: 32
  - .args:
      - .offset:         0
        .size:           4
        .value_kind:     by_value
      - .offset:         4
        .size:           8
        .value_kind:     by_value
      - .offset:         16
        .size:           8
        .value_kind:     by_value
      - .address_space:  global
        .offset:         24
        .size:           8
        .value_kind:     global_buffer
      - .offset:         32
        .size:           8
        .value_kind:     by_value
      - .offset:         40
        .size:           8
        .value_kind:     by_value
      - .offset:         48
        .size:           8
        .value_kind:     by_value
      - .address_space:  global
        .offset:         56
        .size:           8
        .value_kind:     global_buffer
      - .offset:         64
        .size:           8
        .value_kind:     by_value
      - .offset:         72
        .size:           8
        .value_kind:     by_value
      - .offset:         80
        .size:           8
        .value_kind:     by_value
      - .offset:         88
        .size:           8
        .value_kind:     by_value
      - .offset:         96
        .size:           8
        .value_kind:     by_value
      - .address_space:  global
        .offset:         104
        .size:           8
        .value_kind:     global_buffer
      - .offset:         112
        .size:           4
        .value_kind:     by_value
      - .offset:         120
        .size:           4
        .value_kind:     hidden_block_count_x
      - .offset:         124
        .size:           4
        .value_kind:     hidden_block_count_y
      - .offset:         128
        .size:           4
        .value_kind:     hidden_block_count_z
      - .offset:         132
        .size:           2
        .value_kind:     hidden_group_size_x
      - .offset:         134
        .size:           2
        .value_kind:     hidden_group_size_y
      - .offset:         136
        .size:           2
        .value_kind:     hidden_group_size_z
      - .offset:         138
        .size:           2
        .value_kind:     hidden_remainder_x
      - .offset:         140
        .size:           2
        .value_kind:     hidden_remainder_y
      - .offset:         142
        .size:           2
        .value_kind:     hidden_remainder_z
      - .offset:         160
        .size:           8
        .value_kind:     hidden_global_offset_x
      - .offset:         168
        .size:           8
        .value_kind:     hidden_global_offset_y
      - .offset:         176
        .size:           8
        .value_kind:     hidden_global_offset_z
      - .offset:         184
        .size:           2
        .value_kind:     hidden_grid_dims
    .group_segment_fixed_size: 9600
    .kernarg_segment_align: 8
    .kernarg_segment_size: 376
    .language:       OpenCL C
    .language_version:
      - 2
      - 0
    .max_flat_workgroup_size: 256
    .name:           _ZL26rocblas_hemvn_kernel_lowerILb1ELi64ELi4ELi33ELi32ELi16El19rocblas_complex_numIfEPKS1_PS1_EviT6_lT7_lT5_lS6_lS7_lS5_lT8_i
    .private_segment_fixed_size: 0
    .sgpr_count:     104
    .sgpr_spill_count: 0
    .symbol:         _ZL26rocblas_hemvn_kernel_lowerILb1ELi64ELi4ELi33ELi32ELi16El19rocblas_complex_numIfEPKS1_PS1_EviT6_lT7_lT5_lS6_lS7_lS5_lT8_i.kd
    .uniform_work_group_size: 1
    .uses_dynamic_stack: false
    .vgpr_count:     144
    .vgpr_spill_count: 0
    .wavefront_size: 32
  - .args:
      - .offset:         0
        .size:           4
        .value_kind:     by_value
      - .offset:         4
        .size:           8
        .value_kind:     by_value
      - .offset:         16
        .size:           8
        .value_kind:     by_value
      - .offset:         24
        .size:           8
        .value_kind:     by_value
      - .offset:         32
        .size:           8
        .value_kind:     by_value
      - .address_space:  global
        .offset:         40
        .size:           8
        .value_kind:     global_buffer
      - .offset:         48
        .size:           8
        .value_kind:     by_value
      - .offset:         56
        .size:           8
        .value_kind:     by_value
      - .offset:         64
        .size:           8
        .value_kind:     by_value
      - .actual_access:  read_only
        .address_space:  global
        .offset:         72
        .size:           8
        .value_kind:     global_buffer
      - .offset:         80
        .size:           4
        .value_kind:     by_value
      - .offset:         88
        .size:           4
        .value_kind:     hidden_block_count_x
      - .offset:         92
        .size:           4
        .value_kind:     hidden_block_count_y
      - .offset:         96
        .size:           4
        .value_kind:     hidden_block_count_z
      - .offset:         100
        .size:           2
        .value_kind:     hidden_group_size_x
      - .offset:         102
        .size:           2
        .value_kind:     hidden_group_size_y
      - .offset:         104
        .size:           2
        .value_kind:     hidden_group_size_z
      - .offset:         106
        .size:           2
        .value_kind:     hidden_remainder_x
      - .offset:         108
        .size:           2
        .value_kind:     hidden_remainder_y
      - .offset:         110
        .size:           2
        .value_kind:     hidden_remainder_z
      - .offset:         128
        .size:           8
        .value_kind:     hidden_global_offset_x
      - .offset:         136
        .size:           8
        .value_kind:     hidden_global_offset_y
      - .offset:         144
        .size:           8
        .value_kind:     hidden_global_offset_z
      - .offset:         152
        .size:           2
        .value_kind:     hidden_grid_dims
    .group_segment_fixed_size: 0
    .kernarg_segment_align: 8
    .kernarg_segment_size: 344
    .language:       OpenCL C
    .language_version:
      - 2
      - 0
    .max_flat_workgroup_size: 64
    .name:           _ZL36rocblas_hemvn_kernel_lower_block_sumILi64El19rocblas_complex_numIfEPS1_S1_EviT1_lS3_lT2_lT0_lPT3_i
    .private_segment_fixed_size: 0
    .sgpr_count:     34
    .sgpr_spill_count: 0
    .symbol:         _ZL36rocblas_hemvn_kernel_lower_block_sumILi64El19rocblas_complex_numIfEPS1_S1_EviT1_lS3_lT2_lT0_lPT3_i.kd
    .uniform_work_group_size: 1
    .uses_dynamic_stack: false
    .vgpr_count:     24
    .vgpr_spill_count: 0
    .wavefront_size: 32
  - .args:
      - .offset:         0
        .size:           4
        .value_kind:     by_value
      - .offset:         4
        .size:           8
        .value_kind:     by_value
      - .offset:         16
        .size:           8
        .value_kind:     by_value
      - .address_space:  global
        .offset:         24
        .size:           8
        .value_kind:     global_buffer
      - .offset:         32
        .size:           8
        .value_kind:     by_value
      - .offset:         40
        .size:           4
        .value_kind:     by_value
      - .offset:         48
        .size:           8
        .value_kind:     by_value
      - .address_space:  global
        .offset:         56
        .size:           8
        .value_kind:     global_buffer
      - .offset:         64
        .size:           8
        .value_kind:     by_value
      - .offset:         72
        .size:           4
        .value_kind:     by_value
      - .offset:         80
        .size:           8
        .value_kind:     by_value
      - .offset:         88
        .size:           8
        .value_kind:     by_value
      - .offset:         96
        .size:           8
        .value_kind:     by_value
      - .address_space:  global
        .offset:         104
        .size:           8
        .value_kind:     global_buffer
      - .offset:         112
        .size:           4
        .value_kind:     by_value
      - .offset:         120
        .size:           4
        .value_kind:     hidden_block_count_x
      - .offset:         124
        .size:           4
        .value_kind:     hidden_block_count_y
      - .offset:         128
        .size:           4
        .value_kind:     hidden_block_count_z
      - .offset:         132
        .size:           2
        .value_kind:     hidden_group_size_x
      - .offset:         134
        .size:           2
        .value_kind:     hidden_group_size_y
      - .offset:         136
        .size:           2
        .value_kind:     hidden_group_size_z
      - .offset:         138
        .size:           2
        .value_kind:     hidden_remainder_x
      - .offset:         140
        .size:           2
        .value_kind:     hidden_remainder_y
      - .offset:         142
        .size:           2
        .value_kind:     hidden_remainder_z
      - .offset:         160
        .size:           8
        .value_kind:     hidden_global_offset_x
      - .offset:         168
        .size:           8
        .value_kind:     hidden_global_offset_y
      - .offset:         176
        .size:           8
        .value_kind:     hidden_global_offset_z
      - .offset:         184
        .size:           2
        .value_kind:     hidden_grid_dims
    .group_segment_fixed_size: 9600
    .kernarg_segment_align: 8
    .kernarg_segment_size: 376
    .language:       OpenCL C
    .language_version:
      - 2
      - 0
    .max_flat_workgroup_size: 256
    .name:           _ZL26rocblas_hemvn_kernel_lowerILb1ELi64ELi4ELi33ELi32ELi16Ei19rocblas_complex_numIfEPKS1_PS1_EviT6_lT7_lT5_lS6_lS7_lS5_lT8_i
    .private_segment_fixed_size: 0
    .sgpr_count:     105
    .sgpr_spill_count: 0
    .symbol:         _ZL26rocblas_hemvn_kernel_lowerILb1ELi64ELi4ELi33ELi32ELi16Ei19rocblas_complex_numIfEPKS1_PS1_EviT6_lT7_lT5_lS6_lS7_lS5_lT8_i.kd
    .uniform_work_group_size: 1
    .uses_dynamic_stack: false
    .vgpr_count:     148
    .vgpr_spill_count: 0
    .wavefront_size: 32
  - .args:
      - .offset:         0
        .size:           4
        .value_kind:     by_value
      - .offset:         4
        .size:           8
        .value_kind:     by_value
      - .offset:         16
        .size:           8
        .value_kind:     by_value
      - .offset:         24
        .size:           8
        .value_kind:     by_value
      - .offset:         32
        .size:           8
        .value_kind:     by_value
      - .address_space:  global
        .offset:         40
        .size:           8
        .value_kind:     global_buffer
      - .offset:         48
        .size:           8
        .value_kind:     by_value
      - .offset:         56
        .size:           4
        .value_kind:     by_value
      - .offset:         64
        .size:           8
        .value_kind:     by_value
      - .actual_access:  read_only
        .address_space:  global
        .offset:         72
        .size:           8
        .value_kind:     global_buffer
      - .offset:         80
        .size:           4
        .value_kind:     by_value
      - .offset:         88
        .size:           4
        .value_kind:     hidden_block_count_x
      - .offset:         92
        .size:           4
        .value_kind:     hidden_block_count_y
      - .offset:         96
        .size:           4
        .value_kind:     hidden_block_count_z
      - .offset:         100
        .size:           2
        .value_kind:     hidden_group_size_x
      - .offset:         102
        .size:           2
        .value_kind:     hidden_group_size_y
      - .offset:         104
        .size:           2
        .value_kind:     hidden_group_size_z
      - .offset:         106
        .size:           2
        .value_kind:     hidden_remainder_x
      - .offset:         108
        .size:           2
        .value_kind:     hidden_remainder_y
      - .offset:         110
        .size:           2
        .value_kind:     hidden_remainder_z
      - .offset:         128
        .size:           8
        .value_kind:     hidden_global_offset_x
      - .offset:         136
        .size:           8
        .value_kind:     hidden_global_offset_y
      - .offset:         144
        .size:           8
        .value_kind:     hidden_global_offset_z
      - .offset:         152
        .size:           2
        .value_kind:     hidden_grid_dims
    .group_segment_fixed_size: 0
    .kernarg_segment_align: 8
    .kernarg_segment_size: 344
    .language:       OpenCL C
    .language_version:
      - 2
      - 0
    .max_flat_workgroup_size: 64
    .name:           _ZL36rocblas_hemvn_kernel_lower_block_sumILi64Ei19rocblas_complex_numIfEPS1_S1_EviT1_lS3_lT2_lT0_lPT3_i
    .private_segment_fixed_size: 0
    .sgpr_count:     34
    .sgpr_spill_count: 0
    .symbol:         _ZL36rocblas_hemvn_kernel_lower_block_sumILi64Ei19rocblas_complex_numIfEPS1_S1_EviT1_lS3_lT2_lT0_lPT3_i.kd
    .uniform_work_group_size: 1
    .uses_dynamic_stack: false
    .vgpr_count:     24
    .vgpr_spill_count: 0
    .wavefront_size: 32
  - .args:
      - .offset:         0
        .size:           4
        .value_kind:     by_value
      - .address_space:  global
        .offset:         8
        .size:           8
        .value_kind:     global_buffer
      - .offset:         16
        .size:           8
        .value_kind:     by_value
      - .address_space:  global
        .offset:         24
        .size:           8
        .value_kind:     global_buffer
      - .offset:         32
        .size:           8
        .value_kind:     by_value
      - .offset:         40
        .size:           8
        .value_kind:     by_value
      - .offset:         48
        .size:           8
        .value_kind:     by_value
      - .address_space:  global
        .offset:         56
        .size:           8
        .value_kind:     global_buffer
      - .offset:         64
        .size:           8
        .value_kind:     by_value
      - .offset:         72
        .size:           8
        .value_kind:     by_value
      - .offset:         80
        .size:           8
        .value_kind:     by_value
      - .address_space:  global
        .offset:         88
        .size:           8
        .value_kind:     global_buffer
      - .offset:         96
        .size:           8
        .value_kind:     by_value
      - .address_space:  global
        .offset:         104
        .size:           8
        .value_kind:     global_buffer
      - .offset:         112
        .size:           4
        .value_kind:     by_value
      - .offset:         120
        .size:           4
        .value_kind:     hidden_block_count_x
      - .offset:         124
        .size:           4
        .value_kind:     hidden_block_count_y
      - .offset:         128
        .size:           4
        .value_kind:     hidden_block_count_z
      - .offset:         132
        .size:           2
        .value_kind:     hidden_group_size_x
      - .offset:         134
        .size:           2
        .value_kind:     hidden_group_size_y
      - .offset:         136
        .size:           2
        .value_kind:     hidden_group_size_z
      - .offset:         138
        .size:           2
        .value_kind:     hidden_remainder_x
      - .offset:         140
        .size:           2
        .value_kind:     hidden_remainder_y
      - .offset:         142
        .size:           2
        .value_kind:     hidden_remainder_z
      - .offset:         160
        .size:           8
        .value_kind:     hidden_global_offset_x
      - .offset:         168
        .size:           8
        .value_kind:     hidden_global_offset_y
      - .offset:         176
        .size:           8
        .value_kind:     hidden_global_offset_z
      - .offset:         184
        .size:           2
        .value_kind:     hidden_grid_dims
    .group_segment_fixed_size: 19200
    .kernarg_segment_align: 8
    .kernarg_segment_size: 376
    .language:       OpenCL C
    .language_version:
      - 2
      - 0
    .max_flat_workgroup_size: 256
    .name:           _ZL26rocblas_hemvn_kernel_upperILb1ELi64ELi4ELi33ELi32ELi16ElPK19rocblas_complex_numIdES3_PS1_EviT6_lT7_lT5_lS6_lS7_lS5_lT8_i
    .private_segment_fixed_size: 0
    .sgpr_count:     84
    .sgpr_spill_count: 0
    .symbol:         _ZL26rocblas_hemvn_kernel_upperILb1ELi64ELi4ELi33ELi32ELi16ElPK19rocblas_complex_numIdES3_PS1_EviT6_lT7_lT5_lS6_lS7_lS5_lT8_i.kd
    .uniform_work_group_size: 1
    .uses_dynamic_stack: false
    .vgpr_count:     320
    .vgpr_spill_count: 0
    .wavefront_size: 32
  - .args:
      - .offset:         0
        .size:           4
        .value_kind:     by_value
      - .address_space:  global
        .offset:         8
        .size:           8
        .value_kind:     global_buffer
      - .offset:         16
        .size:           8
        .value_kind:     by_value
      - .address_space:  global
        .offset:         24
        .size:           8
        .value_kind:     global_buffer
      - .offset:         32
        .size:           8
        .value_kind:     by_value
      - .address_space:  global
        .offset:         40
        .size:           8
        .value_kind:     global_buffer
      - .offset:         48
        .size:           8
        .value_kind:     by_value
      - .offset:         56
        .size:           8
        .value_kind:     by_value
      - .offset:         64
        .size:           8
        .value_kind:     by_value
      - .address_space:  global
        .offset:         72
        .size:           8
        .value_kind:     global_buffer
      - .offset:         80
        .size:           4
        .value_kind:     by_value
      - .offset:         88
        .size:           4
        .value_kind:     hidden_block_count_x
      - .offset:         92
        .size:           4
        .value_kind:     hidden_block_count_y
      - .offset:         96
        .size:           4
        .value_kind:     hidden_block_count_z
      - .offset:         100
        .size:           2
        .value_kind:     hidden_group_size_x
      - .offset:         102
        .size:           2
        .value_kind:     hidden_group_size_y
      - .offset:         104
        .size:           2
        .value_kind:     hidden_group_size_z
      - .offset:         106
        .size:           2
        .value_kind:     hidden_remainder_x
      - .offset:         108
        .size:           2
        .value_kind:     hidden_remainder_y
      - .offset:         110
        .size:           2
        .value_kind:     hidden_remainder_z
      - .offset:         128
        .size:           8
        .value_kind:     hidden_global_offset_x
      - .offset:         136
        .size:           8
        .value_kind:     hidden_global_offset_y
      - .offset:         144
        .size:           8
        .value_kind:     hidden_global_offset_z
      - .offset:         152
        .size:           2
        .value_kind:     hidden_grid_dims
    .group_segment_fixed_size: 0
    .kernarg_segment_align: 8
    .kernarg_segment_size: 344
    .language:       OpenCL C
    .language_version:
      - 2
      - 0
    .max_flat_workgroup_size: 64
    .name:           _ZL36rocblas_hemvn_kernel_upper_block_sumILi64ElPK19rocblas_complex_numIdEPS1_S1_EviT1_lS5_lT2_lT0_lPT3_i
    .private_segment_fixed_size: 0
    .sgpr_count:     40
    .sgpr_spill_count: 0
    .symbol:         _ZL36rocblas_hemvn_kernel_upper_block_sumILi64ElPK19rocblas_complex_numIdEPS1_S1_EviT1_lS5_lT2_lT0_lPT3_i.kd
    .uniform_work_group_size: 1
    .uses_dynamic_stack: false
    .vgpr_count:     14
    .vgpr_spill_count: 0
    .wavefront_size: 32
  - .args:
      - .offset:         0
        .size:           4
        .value_kind:     by_value
      - .address_space:  global
        .offset:         8
        .size:           8
        .value_kind:     global_buffer
      - .offset:         16
        .size:           8
        .value_kind:     by_value
      - .address_space:  global
        .offset:         24
        .size:           8
        .value_kind:     global_buffer
      - .offset:         32
        .size:           8
        .value_kind:     by_value
      - .offset:         40
        .size:           4
        .value_kind:     by_value
      - .offset:         48
        .size:           8
        .value_kind:     by_value
      - .address_space:  global
        .offset:         56
        .size:           8
        .value_kind:     global_buffer
      - .offset:         64
        .size:           8
        .value_kind:     by_value
      - .offset:         72
        .size:           4
        .value_kind:     by_value
      - .offset:         80
        .size:           8
        .value_kind:     by_value
      - .address_space:  global
        .offset:         88
        .size:           8
        .value_kind:     global_buffer
      - .offset:         96
        .size:           8
        .value_kind:     by_value
      - .address_space:  global
        .offset:         104
        .size:           8
        .value_kind:     global_buffer
      - .offset:         112
        .size:           4
        .value_kind:     by_value
      - .offset:         120
        .size:           4
        .value_kind:     hidden_block_count_x
      - .offset:         124
        .size:           4
        .value_kind:     hidden_block_count_y
      - .offset:         128
        .size:           4
        .value_kind:     hidden_block_count_z
      - .offset:         132
        .size:           2
        .value_kind:     hidden_group_size_x
      - .offset:         134
        .size:           2
        .value_kind:     hidden_group_size_y
      - .offset:         136
        .size:           2
        .value_kind:     hidden_group_size_z
      - .offset:         138
        .size:           2
        .value_kind:     hidden_remainder_x
      - .offset:         140
        .size:           2
        .value_kind:     hidden_remainder_y
      - .offset:         142
        .size:           2
        .value_kind:     hidden_remainder_z
      - .offset:         160
        .size:           8
        .value_kind:     hidden_global_offset_x
      - .offset:         168
        .size:           8
        .value_kind:     hidden_global_offset_y
      - .offset:         176
        .size:           8
        .value_kind:     hidden_global_offset_z
      - .offset:         184
        .size:           2
        .value_kind:     hidden_grid_dims
    .group_segment_fixed_size: 19200
    .kernarg_segment_align: 8
    .kernarg_segment_size: 376
    .language:       OpenCL C
    .language_version:
      - 2
      - 0
    .max_flat_workgroup_size: 256
    .name:           _ZL26rocblas_hemvn_kernel_upperILb1ELi64ELi4ELi33ELi32ELi16EiPK19rocblas_complex_numIdES3_PS1_EviT6_lT7_lT5_lS6_lS7_lS5_lT8_i
    .private_segment_fixed_size: 0
    .sgpr_count:     90
    .sgpr_spill_count: 0
    .symbol:         _ZL26rocblas_hemvn_kernel_upperILb1ELi64ELi4ELi33ELi32ELi16EiPK19rocblas_complex_numIdES3_PS1_EviT6_lT7_lT5_lS6_lS7_lS5_lT8_i.kd
    .uniform_work_group_size: 1
    .uses_dynamic_stack: false
    .vgpr_count:     338
    .vgpr_spill_count: 0
    .wavefront_size: 32
  - .args:
      - .offset:         0
        .size:           4
        .value_kind:     by_value
      - .address_space:  global
        .offset:         8
        .size:           8
        .value_kind:     global_buffer
      - .offset:         16
        .size:           8
        .value_kind:     by_value
      - .address_space:  global
        .offset:         24
        .size:           8
        .value_kind:     global_buffer
      - .offset:         32
        .size:           8
        .value_kind:     by_value
      - .address_space:  global
        .offset:         40
        .size:           8
        .value_kind:     global_buffer
      - .offset:         48
        .size:           8
        .value_kind:     by_value
      - .offset:         56
        .size:           4
        .value_kind:     by_value
      - .offset:         64
        .size:           8
        .value_kind:     by_value
      - .address_space:  global
        .offset:         72
        .size:           8
        .value_kind:     global_buffer
      - .offset:         80
        .size:           4
        .value_kind:     by_value
      - .offset:         88
        .size:           4
        .value_kind:     hidden_block_count_x
      - .offset:         92
        .size:           4
        .value_kind:     hidden_block_count_y
      - .offset:         96
        .size:           4
        .value_kind:     hidden_block_count_z
      - .offset:         100
        .size:           2
        .value_kind:     hidden_group_size_x
      - .offset:         102
        .size:           2
        .value_kind:     hidden_group_size_y
      - .offset:         104
        .size:           2
        .value_kind:     hidden_group_size_z
      - .offset:         106
        .size:           2
        .value_kind:     hidden_remainder_x
      - .offset:         108
        .size:           2
        .value_kind:     hidden_remainder_y
      - .offset:         110
        .size:           2
        .value_kind:     hidden_remainder_z
      - .offset:         128
        .size:           8
        .value_kind:     hidden_global_offset_x
      - .offset:         136
        .size:           8
        .value_kind:     hidden_global_offset_y
      - .offset:         144
        .size:           8
        .value_kind:     hidden_global_offset_z
      - .offset:         152
        .size:           2
        .value_kind:     hidden_grid_dims
    .group_segment_fixed_size: 0
    .kernarg_segment_align: 8
    .kernarg_segment_size: 344
    .language:       OpenCL C
    .language_version:
      - 2
      - 0
    .max_flat_workgroup_size: 64
    .name:           _ZL36rocblas_hemvn_kernel_upper_block_sumILi64EiPK19rocblas_complex_numIdEPS1_S1_EviT1_lS5_lT2_lT0_lPT3_i
    .private_segment_fixed_size: 0
    .sgpr_count:     40
    .sgpr_spill_count: 0
    .symbol:         _ZL36rocblas_hemvn_kernel_upper_block_sumILi64EiPK19rocblas_complex_numIdEPS1_S1_EviT1_lS5_lT2_lT0_lPT3_i.kd
    .uniform_work_group_size: 1
    .uses_dynamic_stack: false
    .vgpr_count:     14
    .vgpr_spill_count: 0
    .wavefront_size: 32
  - .args:
      - .offset:         0
        .size:           4
        .value_kind:     by_value
      - .offset:         8
        .size:           16
        .value_kind:     by_value
      - .offset:         24
        .size:           8
        .value_kind:     by_value
      - .address_space:  global
        .offset:         32
        .size:           8
        .value_kind:     global_buffer
      - .offset:         40
        .size:           8
        .value_kind:     by_value
      - .offset:         48
        .size:           8
        .value_kind:     by_value
      - .offset:         56
        .size:           8
        .value_kind:     by_value
      - .address_space:  global
        .offset:         64
        .size:           8
        .value_kind:     global_buffer
      - .offset:         72
        .size:           8
        .value_kind:     by_value
      - .offset:         80
        .size:           8
        .value_kind:     by_value
      - .offset:         88
        .size:           8
        .value_kind:     by_value
      - .offset:         96
        .size:           16
        .value_kind:     by_value
      - .offset:         112
        .size:           8
        .value_kind:     by_value
      - .address_space:  global
        .offset:         120
        .size:           8
        .value_kind:     global_buffer
      - .offset:         128
        .size:           4
        .value_kind:     by_value
      - .offset:         136
        .size:           4
        .value_kind:     hidden_block_count_x
      - .offset:         140
        .size:           4
        .value_kind:     hidden_block_count_y
      - .offset:         144
        .size:           4
        .value_kind:     hidden_block_count_z
      - .offset:         148
        .size:           2
        .value_kind:     hidden_group_size_x
      - .offset:         150
        .size:           2
        .value_kind:     hidden_group_size_y
      - .offset:         152
        .size:           2
        .value_kind:     hidden_group_size_z
      - .offset:         154
        .size:           2
        .value_kind:     hidden_remainder_x
      - .offset:         156
        .size:           2
        .value_kind:     hidden_remainder_y
      - .offset:         158
        .size:           2
        .value_kind:     hidden_remainder_z
      - .offset:         176
        .size:           8
        .value_kind:     hidden_global_offset_x
      - .offset:         184
        .size:           8
        .value_kind:     hidden_global_offset_y
      - .offset:         192
        .size:           8
        .value_kind:     hidden_global_offset_z
      - .offset:         200
        .size:           2
        .value_kind:     hidden_grid_dims
    .group_segment_fixed_size: 19200
    .kernarg_segment_align: 8
    .kernarg_segment_size: 392
    .language:       OpenCL C
    .language_version:
      - 2
      - 0
    .max_flat_workgroup_size: 256
    .name:           _ZL26rocblas_hemvn_kernel_upperILb1ELi64ELi4ELi33ELi32ELi16El19rocblas_complex_numIdEPKS1_PS1_EviT6_lT7_lT5_lS6_lS7_lS5_lT8_i
    .private_segment_fixed_size: 0
    .sgpr_count:     78
    .sgpr_spill_count: 0
    .symbol:         _ZL26rocblas_hemvn_kernel_upperILb1ELi64ELi4ELi33ELi32ELi16El19rocblas_complex_numIdEPKS1_PS1_EviT6_lT7_lT5_lS6_lS7_lS5_lT8_i.kd
    .uniform_work_group_size: 1
    .uses_dynamic_stack: false
    .vgpr_count:     322
    .vgpr_spill_count: 0
    .wavefront_size: 32
  - .args:
      - .offset:         0
        .size:           4
        .value_kind:     by_value
      - .offset:         8
        .size:           16
        .value_kind:     by_value
      - .offset:         24
        .size:           8
        .value_kind:     by_value
      - .offset:         32
        .size:           16
        .value_kind:     by_value
      - .offset:         48
        .size:           8
        .value_kind:     by_value
      - .address_space:  global
        .offset:         56
        .size:           8
        .value_kind:     global_buffer
      - .offset:         64
        .size:           8
        .value_kind:     by_value
      - .offset:         72
        .size:           8
        .value_kind:     by_value
      - .offset:         80
        .size:           8
        .value_kind:     by_value
      - .address_space:  global
        .offset:         88
        .size:           8
        .value_kind:     global_buffer
      - .offset:         96
        .size:           4
        .value_kind:     by_value
      - .offset:         104
        .size:           4
        .value_kind:     hidden_block_count_x
      - .offset:         108
        .size:           4
        .value_kind:     hidden_block_count_y
      - .offset:         112
        .size:           4
        .value_kind:     hidden_block_count_z
      - .offset:         116
        .size:           2
        .value_kind:     hidden_group_size_x
      - .offset:         118
        .size:           2
        .value_kind:     hidden_group_size_y
      - .offset:         120
        .size:           2
        .value_kind:     hidden_group_size_z
      - .offset:         122
        .size:           2
        .value_kind:     hidden_remainder_x
      - .offset:         124
        .size:           2
        .value_kind:     hidden_remainder_y
      - .offset:         126
        .size:           2
        .value_kind:     hidden_remainder_z
      - .offset:         144
        .size:           8
        .value_kind:     hidden_global_offset_x
      - .offset:         152
        .size:           8
        .value_kind:     hidden_global_offset_y
      - .offset:         160
        .size:           8
        .value_kind:     hidden_global_offset_z
      - .offset:         168
        .size:           2
        .value_kind:     hidden_grid_dims
    .group_segment_fixed_size: 0
    .kernarg_segment_align: 8
    .kernarg_segment_size: 360
    .language:       OpenCL C
    .language_version:
      - 2
      - 0
    .max_flat_workgroup_size: 64
    .name:           _ZL36rocblas_hemvn_kernel_upper_block_sumILi64El19rocblas_complex_numIdEPS1_S1_EviT1_lS3_lT2_lT0_lPT3_i
    .private_segment_fixed_size: 0
    .sgpr_count:     36
    .sgpr_spill_count: 0
    .symbol:         _ZL36rocblas_hemvn_kernel_upper_block_sumILi64El19rocblas_complex_numIdEPS1_S1_EviT1_lS3_lT2_lT0_lPT3_i.kd
    .uniform_work_group_size: 1
    .uses_dynamic_stack: false
    .vgpr_count:     16
    .vgpr_spill_count: 0
    .wavefront_size: 32
  - .args:
      - .offset:         0
        .size:           4
        .value_kind:     by_value
      - .offset:         8
        .size:           16
        .value_kind:     by_value
      - .offset:         24
        .size:           8
        .value_kind:     by_value
      - .address_space:  global
        .offset:         32
        .size:           8
        .value_kind:     global_buffer
      - .offset:         40
        .size:           8
        .value_kind:     by_value
      - .offset:         48
        .size:           4
        .value_kind:     by_value
      - .offset:         56
        .size:           8
        .value_kind:     by_value
      - .address_space:  global
        .offset:         64
        .size:           8
        .value_kind:     global_buffer
      - .offset:         72
        .size:           8
        .value_kind:     by_value
      - .offset:         80
        .size:           4
        .value_kind:     by_value
      - .offset:         88
        .size:           8
        .value_kind:     by_value
      - .offset:         96
        .size:           16
        .value_kind:     by_value
      - .offset:         112
        .size:           8
        .value_kind:     by_value
      - .address_space:  global
        .offset:         120
        .size:           8
        .value_kind:     global_buffer
      - .offset:         128
        .size:           4
        .value_kind:     by_value
      - .offset:         136
        .size:           4
        .value_kind:     hidden_block_count_x
      - .offset:         140
        .size:           4
        .value_kind:     hidden_block_count_y
      - .offset:         144
        .size:           4
        .value_kind:     hidden_block_count_z
      - .offset:         148
        .size:           2
        .value_kind:     hidden_group_size_x
      - .offset:         150
        .size:           2
        .value_kind:     hidden_group_size_y
      - .offset:         152
        .size:           2
        .value_kind:     hidden_group_size_z
      - .offset:         154
        .size:           2
        .value_kind:     hidden_remainder_x
      - .offset:         156
        .size:           2
        .value_kind:     hidden_remainder_y
      - .offset:         158
        .size:           2
        .value_kind:     hidden_remainder_z
      - .offset:         176
        .size:           8
        .value_kind:     hidden_global_offset_x
      - .offset:         184
        .size:           8
        .value_kind:     hidden_global_offset_y
      - .offset:         192
        .size:           8
        .value_kind:     hidden_global_offset_z
      - .offset:         200
        .size:           2
        .value_kind:     hidden_grid_dims
    .group_segment_fixed_size: 19200
    .kernarg_segment_align: 8
    .kernarg_segment_size: 392
    .language:       OpenCL C
    .language_version:
      - 2
      - 0
    .max_flat_workgroup_size: 256
    .name:           _ZL26rocblas_hemvn_kernel_upperILb1ELi64ELi4ELi33ELi32ELi16Ei19rocblas_complex_numIdEPKS1_PS1_EviT6_lT7_lT5_lS6_lS7_lS5_lT8_i
    .private_segment_fixed_size: 0
    .sgpr_count:     84
    .sgpr_spill_count: 0
    .symbol:         _ZL26rocblas_hemvn_kernel_upperILb1ELi64ELi4ELi33ELi32ELi16Ei19rocblas_complex_numIdEPKS1_PS1_EviT6_lT7_lT5_lS6_lS7_lS5_lT8_i.kd
    .uniform_work_group_size: 1
    .uses_dynamic_stack: false
    .vgpr_count:     307
    .vgpr_spill_count: 0
    .wavefront_size: 32
  - .args:
      - .offset:         0
        .size:           4
        .value_kind:     by_value
      - .offset:         8
        .size:           16
        .value_kind:     by_value
      - .offset:         24
        .size:           8
        .value_kind:     by_value
      - .offset:         32
        .size:           16
        .value_kind:     by_value
      - .offset:         48
        .size:           8
        .value_kind:     by_value
      - .address_space:  global
        .offset:         56
        .size:           8
        .value_kind:     global_buffer
      - .offset:         64
        .size:           8
        .value_kind:     by_value
      - .offset:         72
        .size:           4
        .value_kind:     by_value
      - .offset:         80
        .size:           8
        .value_kind:     by_value
      - .address_space:  global
        .offset:         88
        .size:           8
        .value_kind:     global_buffer
      - .offset:         96
        .size:           4
        .value_kind:     by_value
      - .offset:         104
        .size:           4
        .value_kind:     hidden_block_count_x
      - .offset:         108
        .size:           4
        .value_kind:     hidden_block_count_y
      - .offset:         112
        .size:           4
        .value_kind:     hidden_block_count_z
      - .offset:         116
        .size:           2
        .value_kind:     hidden_group_size_x
      - .offset:         118
        .size:           2
        .value_kind:     hidden_group_size_y
      - .offset:         120
        .size:           2
        .value_kind:     hidden_group_size_z
      - .offset:         122
        .size:           2
        .value_kind:     hidden_remainder_x
      - .offset:         124
        .size:           2
        .value_kind:     hidden_remainder_y
      - .offset:         126
        .size:           2
        .value_kind:     hidden_remainder_z
      - .offset:         144
        .size:           8
        .value_kind:     hidden_global_offset_x
      - .offset:         152
        .size:           8
        .value_kind:     hidden_global_offset_y
      - .offset:         160
        .size:           8
        .value_kind:     hidden_global_offset_z
      - .offset:         168
        .size:           2
        .value_kind:     hidden_grid_dims
    .group_segment_fixed_size: 0
    .kernarg_segment_align: 8
    .kernarg_segment_size: 360
    .language:       OpenCL C
    .language_version:
      - 2
      - 0
    .max_flat_workgroup_size: 64
    .name:           _ZL36rocblas_hemvn_kernel_upper_block_sumILi64Ei19rocblas_complex_numIdEPS1_S1_EviT1_lS3_lT2_lT0_lPT3_i
    .private_segment_fixed_size: 0
    .sgpr_count:     34
    .sgpr_spill_count: 0
    .symbol:         _ZL36rocblas_hemvn_kernel_upper_block_sumILi64Ei19rocblas_complex_numIdEPS1_S1_EviT1_lS3_lT2_lT0_lPT3_i.kd
    .uniform_work_group_size: 1
    .uses_dynamic_stack: false
    .vgpr_count:     16
    .vgpr_spill_count: 0
    .wavefront_size: 32
  - .args:
      - .offset:         0
        .size:           4
        .value_kind:     by_value
      - .address_space:  global
        .offset:         8
        .size:           8
        .value_kind:     global_buffer
      - .offset:         16
        .size:           8
        .value_kind:     by_value
      - .address_space:  global
        .offset:         24
        .size:           8
        .value_kind:     global_buffer
      - .offset:         32
        .size:           8
        .value_kind:     by_value
      - .offset:         40
        .size:           8
        .value_kind:     by_value
      - .offset:         48
        .size:           8
        .value_kind:     by_value
      - .address_space:  global
        .offset:         56
        .size:           8
        .value_kind:     global_buffer
      - .offset:         64
        .size:           8
        .value_kind:     by_value
      - .offset:         72
        .size:           8
        .value_kind:     by_value
      - .offset:         80
        .size:           8
        .value_kind:     by_value
      - .address_space:  global
        .offset:         88
        .size:           8
        .value_kind:     global_buffer
      - .offset:         96
        .size:           8
        .value_kind:     by_value
      - .address_space:  global
        .offset:         104
        .size:           8
        .value_kind:     global_buffer
      - .offset:         112
        .size:           4
        .value_kind:     by_value
      - .offset:         120
        .size:           4
        .value_kind:     hidden_block_count_x
      - .offset:         124
        .size:           4
        .value_kind:     hidden_block_count_y
      - .offset:         128
        .size:           4
        .value_kind:     hidden_block_count_z
      - .offset:         132
        .size:           2
        .value_kind:     hidden_group_size_x
      - .offset:         134
        .size:           2
        .value_kind:     hidden_group_size_y
      - .offset:         136
        .size:           2
        .value_kind:     hidden_group_size_z
      - .offset:         138
        .size:           2
        .value_kind:     hidden_remainder_x
      - .offset:         140
        .size:           2
        .value_kind:     hidden_remainder_y
      - .offset:         142
        .size:           2
        .value_kind:     hidden_remainder_z
      - .offset:         160
        .size:           8
        .value_kind:     hidden_global_offset_x
      - .offset:         168
        .size:           8
        .value_kind:     hidden_global_offset_y
      - .offset:         176
        .size:           8
        .value_kind:     hidden_global_offset_z
      - .offset:         184
        .size:           2
        .value_kind:     hidden_grid_dims
    .group_segment_fixed_size: 19200
    .kernarg_segment_align: 8
    .kernarg_segment_size: 376
    .language:       OpenCL C
    .language_version:
      - 2
      - 0
    .max_flat_workgroup_size: 256
    .name:           _ZL26rocblas_hemvn_kernel_lowerILb1ELi64ELi4ELi33ELi32ELi16ElPK19rocblas_complex_numIdES3_PS1_EviT6_lT7_lT5_lS6_lS7_lS5_lT8_i
    .private_segment_fixed_size: 0
    .sgpr_count:     84
    .sgpr_spill_count: 0
    .symbol:         _ZL26rocblas_hemvn_kernel_lowerILb1ELi64ELi4ELi33ELi32ELi16ElPK19rocblas_complex_numIdES3_PS1_EviT6_lT7_lT5_lS6_lS7_lS5_lT8_i.kd
    .uniform_work_group_size: 1
    .uses_dynamic_stack: false
    .vgpr_count:     242
    .vgpr_spill_count: 0
    .wavefront_size: 32
  - .args:
      - .offset:         0
        .size:           4
        .value_kind:     by_value
      - .address_space:  global
        .offset:         8
        .size:           8
        .value_kind:     global_buffer
      - .offset:         16
        .size:           8
        .value_kind:     by_value
      - .address_space:  global
        .offset:         24
        .size:           8
        .value_kind:     global_buffer
      - .offset:         32
        .size:           8
        .value_kind:     by_value
      - .address_space:  global
        .offset:         40
        .size:           8
        .value_kind:     global_buffer
      - .offset:         48
        .size:           8
        .value_kind:     by_value
      - .offset:         56
        .size:           8
        .value_kind:     by_value
      - .offset:         64
        .size:           8
        .value_kind:     by_value
      - .actual_access:  read_only
        .address_space:  global
        .offset:         72
        .size:           8
        .value_kind:     global_buffer
      - .offset:         80
        .size:           4
        .value_kind:     by_value
      - .offset:         88
        .size:           4
        .value_kind:     hidden_block_count_x
      - .offset:         92
        .size:           4
        .value_kind:     hidden_block_count_y
      - .offset:         96
        .size:           4
        .value_kind:     hidden_block_count_z
      - .offset:         100
        .size:           2
        .value_kind:     hidden_group_size_x
      - .offset:         102
        .size:           2
        .value_kind:     hidden_group_size_y
      - .offset:         104
        .size:           2
        .value_kind:     hidden_group_size_z
      - .offset:         106
        .size:           2
        .value_kind:     hidden_remainder_x
      - .offset:         108
        .size:           2
        .value_kind:     hidden_remainder_y
      - .offset:         110
        .size:           2
        .value_kind:     hidden_remainder_z
      - .offset:         128
        .size:           8
        .value_kind:     hidden_global_offset_x
      - .offset:         136
        .size:           8
        .value_kind:     hidden_global_offset_y
      - .offset:         144
        .size:           8
        .value_kind:     hidden_global_offset_z
      - .offset:         152
        .size:           2
        .value_kind:     hidden_grid_dims
    .group_segment_fixed_size: 0
    .kernarg_segment_align: 8
    .kernarg_segment_size: 344
    .language:       OpenCL C
    .language_version:
      - 2
      - 0
    .max_flat_workgroup_size: 64
    .name:           _ZL36rocblas_hemvn_kernel_lower_block_sumILi64ElPK19rocblas_complex_numIdEPS1_S1_EviT1_lS5_lT2_lT0_lPT3_i
    .private_segment_fixed_size: 0
    .sgpr_count:     40
    .sgpr_spill_count: 0
    .symbol:         _ZL36rocblas_hemvn_kernel_lower_block_sumILi64ElPK19rocblas_complex_numIdEPS1_S1_EviT1_lS5_lT2_lT0_lPT3_i.kd
    .uniform_work_group_size: 1
    .uses_dynamic_stack: false
    .vgpr_count:     14
    .vgpr_spill_count: 0
    .wavefront_size: 32
  - .args:
      - .offset:         0
        .size:           4
        .value_kind:     by_value
      - .address_space:  global
        .offset:         8
        .size:           8
        .value_kind:     global_buffer
      - .offset:         16
        .size:           8
        .value_kind:     by_value
      - .address_space:  global
        .offset:         24
        .size:           8
        .value_kind:     global_buffer
      - .offset:         32
        .size:           8
        .value_kind:     by_value
      - .offset:         40
        .size:           4
        .value_kind:     by_value
      - .offset:         48
        .size:           8
        .value_kind:     by_value
      - .address_space:  global
        .offset:         56
        .size:           8
        .value_kind:     global_buffer
      - .offset:         64
        .size:           8
        .value_kind:     by_value
      - .offset:         72
        .size:           4
        .value_kind:     by_value
      - .offset:         80
        .size:           8
        .value_kind:     by_value
      - .address_space:  global
        .offset:         88
        .size:           8
        .value_kind:     global_buffer
      - .offset:         96
        .size:           8
        .value_kind:     by_value
      - .address_space:  global
        .offset:         104
        .size:           8
        .value_kind:     global_buffer
      - .offset:         112
        .size:           4
        .value_kind:     by_value
      - .offset:         120
        .size:           4
        .value_kind:     hidden_block_count_x
      - .offset:         124
        .size:           4
        .value_kind:     hidden_block_count_y
      - .offset:         128
        .size:           4
        .value_kind:     hidden_block_count_z
      - .offset:         132
        .size:           2
        .value_kind:     hidden_group_size_x
      - .offset:         134
        .size:           2
        .value_kind:     hidden_group_size_y
      - .offset:         136
        .size:           2
        .value_kind:     hidden_group_size_z
      - .offset:         138
        .size:           2
        .value_kind:     hidden_remainder_x
      - .offset:         140
        .size:           2
        .value_kind:     hidden_remainder_y
      - .offset:         142
        .size:           2
        .value_kind:     hidden_remainder_z
      - .offset:         160
        .size:           8
        .value_kind:     hidden_global_offset_x
      - .offset:         168
        .size:           8
        .value_kind:     hidden_global_offset_y
      - .offset:         176
        .size:           8
        .value_kind:     hidden_global_offset_z
      - .offset:         184
        .size:           2
        .value_kind:     hidden_grid_dims
    .group_segment_fixed_size: 19200
    .kernarg_segment_align: 8
    .kernarg_segment_size: 376
    .language:       OpenCL C
    .language_version:
      - 2
      - 0
    .max_flat_workgroup_size: 256
    .name:           _ZL26rocblas_hemvn_kernel_lowerILb1ELi64ELi4ELi33ELi32ELi16EiPK19rocblas_complex_numIdES3_PS1_EviT6_lT7_lT5_lS6_lS7_lS5_lT8_i
    .private_segment_fixed_size: 0
    .sgpr_count:     84
    .sgpr_spill_count: 0
    .symbol:         _ZL26rocblas_hemvn_kernel_lowerILb1ELi64ELi4ELi33ELi32ELi16EiPK19rocblas_complex_numIdES3_PS1_EviT6_lT7_lT5_lS6_lS7_lS5_lT8_i.kd
    .uniform_work_group_size: 1
    .uses_dynamic_stack: false
    .vgpr_count:     246
    .vgpr_spill_count: 0
    .wavefront_size: 32
  - .args:
      - .offset:         0
        .size:           4
        .value_kind:     by_value
      - .address_space:  global
        .offset:         8
        .size:           8
        .value_kind:     global_buffer
      - .offset:         16
        .size:           8
        .value_kind:     by_value
      - .address_space:  global
        .offset:         24
        .size:           8
        .value_kind:     global_buffer
      - .offset:         32
        .size:           8
        .value_kind:     by_value
      - .address_space:  global
        .offset:         40
        .size:           8
        .value_kind:     global_buffer
      - .offset:         48
        .size:           8
        .value_kind:     by_value
      - .offset:         56
        .size:           4
        .value_kind:     by_value
      - .offset:         64
        .size:           8
        .value_kind:     by_value
      - .actual_access:  read_only
        .address_space:  global
        .offset:         72
        .size:           8
        .value_kind:     global_buffer
      - .offset:         80
        .size:           4
        .value_kind:     by_value
      - .offset:         88
        .size:           4
        .value_kind:     hidden_block_count_x
      - .offset:         92
        .size:           4
        .value_kind:     hidden_block_count_y
      - .offset:         96
        .size:           4
        .value_kind:     hidden_block_count_z
      - .offset:         100
        .size:           2
        .value_kind:     hidden_group_size_x
      - .offset:         102
        .size:           2
        .value_kind:     hidden_group_size_y
      - .offset:         104
        .size:           2
        .value_kind:     hidden_group_size_z
      - .offset:         106
        .size:           2
        .value_kind:     hidden_remainder_x
      - .offset:         108
        .size:           2
        .value_kind:     hidden_remainder_y
      - .offset:         110
        .size:           2
        .value_kind:     hidden_remainder_z
      - .offset:         128
        .size:           8
        .value_kind:     hidden_global_offset_x
      - .offset:         136
        .size:           8
        .value_kind:     hidden_global_offset_y
      - .offset:         144
        .size:           8
        .value_kind:     hidden_global_offset_z
      - .offset:         152
        .size:           2
        .value_kind:     hidden_grid_dims
    .group_segment_fixed_size: 0
    .kernarg_segment_align: 8
    .kernarg_segment_size: 344
    .language:       OpenCL C
    .language_version:
      - 2
      - 0
    .max_flat_workgroup_size: 64
    .name:           _ZL36rocblas_hemvn_kernel_lower_block_sumILi64EiPK19rocblas_complex_numIdEPS1_S1_EviT1_lS5_lT2_lT0_lPT3_i
    .private_segment_fixed_size: 0
    .sgpr_count:     40
    .sgpr_spill_count: 0
    .symbol:         _ZL36rocblas_hemvn_kernel_lower_block_sumILi64EiPK19rocblas_complex_numIdEPS1_S1_EviT1_lS5_lT2_lT0_lPT3_i.kd
    .uniform_work_group_size: 1
    .uses_dynamic_stack: false
    .vgpr_count:     14
    .vgpr_spill_count: 0
    .wavefront_size: 32
  - .args:
      - .offset:         0
        .size:           4
        .value_kind:     by_value
      - .offset:         8
        .size:           16
        .value_kind:     by_value
      - .offset:         24
        .size:           8
        .value_kind:     by_value
      - .address_space:  global
        .offset:         32
        .size:           8
        .value_kind:     global_buffer
      - .offset:         40
        .size:           8
        .value_kind:     by_value
      - .offset:         48
        .size:           8
        .value_kind:     by_value
      - .offset:         56
        .size:           8
        .value_kind:     by_value
      - .address_space:  global
        .offset:         64
        .size:           8
        .value_kind:     global_buffer
      - .offset:         72
        .size:           8
        .value_kind:     by_value
      - .offset:         80
        .size:           8
        .value_kind:     by_value
      - .offset:         88
        .size:           8
        .value_kind:     by_value
      - .offset:         96
        .size:           16
        .value_kind:     by_value
      - .offset:         112
        .size:           8
        .value_kind:     by_value
      - .address_space:  global
        .offset:         120
        .size:           8
        .value_kind:     global_buffer
      - .offset:         128
        .size:           4
        .value_kind:     by_value
      - .offset:         136
        .size:           4
        .value_kind:     hidden_block_count_x
      - .offset:         140
        .size:           4
        .value_kind:     hidden_block_count_y
      - .offset:         144
        .size:           4
        .value_kind:     hidden_block_count_z
      - .offset:         148
        .size:           2
        .value_kind:     hidden_group_size_x
      - .offset:         150
        .size:           2
        .value_kind:     hidden_group_size_y
      - .offset:         152
        .size:           2
        .value_kind:     hidden_group_size_z
      - .offset:         154
        .size:           2
        .value_kind:     hidden_remainder_x
      - .offset:         156
        .size:           2
        .value_kind:     hidden_remainder_y
      - .offset:         158
        .size:           2
        .value_kind:     hidden_remainder_z
      - .offset:         176
        .size:           8
        .value_kind:     hidden_global_offset_x
      - .offset:         184
        .size:           8
        .value_kind:     hidden_global_offset_y
      - .offset:         192
        .size:           8
        .value_kind:     hidden_global_offset_z
      - .offset:         200
        .size:           2
        .value_kind:     hidden_grid_dims
    .group_segment_fixed_size: 19200
    .kernarg_segment_align: 8
    .kernarg_segment_size: 392
    .language:       OpenCL C
    .language_version:
      - 2
      - 0
    .max_flat_workgroup_size: 256
    .name:           _ZL26rocblas_hemvn_kernel_lowerILb1ELi64ELi4ELi33ELi32ELi16El19rocblas_complex_numIdEPKS1_PS1_EviT6_lT7_lT5_lS6_lS7_lS5_lT8_i
    .private_segment_fixed_size: 0
    .sgpr_count:     78
    .sgpr_spill_count: 0
    .symbol:         _ZL26rocblas_hemvn_kernel_lowerILb1ELi64ELi4ELi33ELi32ELi16El19rocblas_complex_numIdEPKS1_PS1_EviT6_lT7_lT5_lS6_lS7_lS5_lT8_i.kd
    .uniform_work_group_size: 1
    .uses_dynamic_stack: false
    .vgpr_count:     244
    .vgpr_spill_count: 0
    .wavefront_size: 32
  - .args:
      - .offset:         0
        .size:           4
        .value_kind:     by_value
      - .offset:         8
        .size:           16
        .value_kind:     by_value
      - .offset:         24
        .size:           8
        .value_kind:     by_value
      - .offset:         32
        .size:           16
        .value_kind:     by_value
      - .offset:         48
        .size:           8
        .value_kind:     by_value
      - .address_space:  global
        .offset:         56
        .size:           8
        .value_kind:     global_buffer
      - .offset:         64
        .size:           8
        .value_kind:     by_value
      - .offset:         72
        .size:           8
        .value_kind:     by_value
      - .offset:         80
        .size:           8
        .value_kind:     by_value
      - .actual_access:  read_only
        .address_space:  global
        .offset:         88
        .size:           8
        .value_kind:     global_buffer
      - .offset:         96
        .size:           4
        .value_kind:     by_value
      - .offset:         104
        .size:           4
        .value_kind:     hidden_block_count_x
      - .offset:         108
        .size:           4
        .value_kind:     hidden_block_count_y
      - .offset:         112
        .size:           4
        .value_kind:     hidden_block_count_z
      - .offset:         116
        .size:           2
        .value_kind:     hidden_group_size_x
      - .offset:         118
        .size:           2
        .value_kind:     hidden_group_size_y
      - .offset:         120
        .size:           2
        .value_kind:     hidden_group_size_z
      - .offset:         122
        .size:           2
        .value_kind:     hidden_remainder_x
      - .offset:         124
        .size:           2
        .value_kind:     hidden_remainder_y
      - .offset:         126
        .size:           2
        .value_kind:     hidden_remainder_z
      - .offset:         144
        .size:           8
        .value_kind:     hidden_global_offset_x
      - .offset:         152
        .size:           8
        .value_kind:     hidden_global_offset_y
      - .offset:         160
        .size:           8
        .value_kind:     hidden_global_offset_z
      - .offset:         168
        .size:           2
        .value_kind:     hidden_grid_dims
    .group_segment_fixed_size: 0
    .kernarg_segment_align: 8
    .kernarg_segment_size: 360
    .language:       OpenCL C
    .language_version:
      - 2
      - 0
    .max_flat_workgroup_size: 64
    .name:           _ZL36rocblas_hemvn_kernel_lower_block_sumILi64El19rocblas_complex_numIdEPS1_S1_EviT1_lS3_lT2_lT0_lPT3_i
    .private_segment_fixed_size: 0
    .sgpr_count:     34
    .sgpr_spill_count: 0
    .symbol:         _ZL36rocblas_hemvn_kernel_lower_block_sumILi64El19rocblas_complex_numIdEPS1_S1_EviT1_lS3_lT2_lT0_lPT3_i.kd
    .uniform_work_group_size: 1
    .uses_dynamic_stack: false
    .vgpr_count:     16
    .vgpr_spill_count: 0
    .wavefront_size: 32
  - .args:
      - .offset:         0
        .size:           4
        .value_kind:     by_value
      - .offset:         8
        .size:           16
        .value_kind:     by_value
      - .offset:         24
        .size:           8
        .value_kind:     by_value
      - .address_space:  global
        .offset:         32
        .size:           8
        .value_kind:     global_buffer
      - .offset:         40
        .size:           8
        .value_kind:     by_value
      - .offset:         48
        .size:           4
        .value_kind:     by_value
      - .offset:         56
        .size:           8
        .value_kind:     by_value
      - .address_space:  global
        .offset:         64
        .size:           8
        .value_kind:     global_buffer
      - .offset:         72
        .size:           8
        .value_kind:     by_value
      - .offset:         80
        .size:           4
        .value_kind:     by_value
      - .offset:         88
        .size:           8
        .value_kind:     by_value
      - .offset:         96
        .size:           16
        .value_kind:     by_value
      - .offset:         112
        .size:           8
        .value_kind:     by_value
      - .address_space:  global
        .offset:         120
        .size:           8
        .value_kind:     global_buffer
      - .offset:         128
        .size:           4
        .value_kind:     by_value
      - .offset:         136
        .size:           4
        .value_kind:     hidden_block_count_x
      - .offset:         140
        .size:           4
        .value_kind:     hidden_block_count_y
      - .offset:         144
        .size:           4
        .value_kind:     hidden_block_count_z
      - .offset:         148
        .size:           2
        .value_kind:     hidden_group_size_x
      - .offset:         150
        .size:           2
        .value_kind:     hidden_group_size_y
      - .offset:         152
        .size:           2
        .value_kind:     hidden_group_size_z
      - .offset:         154
        .size:           2
        .value_kind:     hidden_remainder_x
      - .offset:         156
        .size:           2
        .value_kind:     hidden_remainder_y
      - .offset:         158
        .size:           2
        .value_kind:     hidden_remainder_z
      - .offset:         176
        .size:           8
        .value_kind:     hidden_global_offset_x
      - .offset:         184
        .size:           8
        .value_kind:     hidden_global_offset_y
      - .offset:         192
        .size:           8
        .value_kind:     hidden_global_offset_z
      - .offset:         200
        .size:           2
        .value_kind:     hidden_grid_dims
    .group_segment_fixed_size: 19200
    .kernarg_segment_align: 8
    .kernarg_segment_size: 392
    .language:       OpenCL C
    .language_version:
      - 2
      - 0
    .max_flat_workgroup_size: 256
    .name:           _ZL26rocblas_hemvn_kernel_lowerILb1ELi64ELi4ELi33ELi32ELi16Ei19rocblas_complex_numIdEPKS1_PS1_EviT6_lT7_lT5_lS6_lS7_lS5_lT8_i
    .private_segment_fixed_size: 0
    .sgpr_count:     77
    .sgpr_spill_count: 0
    .symbol:         _ZL26rocblas_hemvn_kernel_lowerILb1ELi64ELi4ELi33ELi32ELi16Ei19rocblas_complex_numIdEPKS1_PS1_EviT6_lT7_lT5_lS6_lS7_lS5_lT8_i.kd
    .uniform_work_group_size: 1
    .uses_dynamic_stack: false
    .vgpr_count:     246
    .vgpr_spill_count: 0
    .wavefront_size: 32
  - .args:
      - .offset:         0
        .size:           4
        .value_kind:     by_value
      - .offset:         8
        .size:           16
        .value_kind:     by_value
      - .offset:         24
        .size:           8
        .value_kind:     by_value
      - .offset:         32
        .size:           16
        .value_kind:     by_value
      - .offset:         48
        .size:           8
        .value_kind:     by_value
      - .address_space:  global
        .offset:         56
        .size:           8
        .value_kind:     global_buffer
      - .offset:         64
        .size:           8
        .value_kind:     by_value
      - .offset:         72
        .size:           4
        .value_kind:     by_value
      - .offset:         80
        .size:           8
        .value_kind:     by_value
      - .actual_access:  read_only
        .address_space:  global
        .offset:         88
        .size:           8
        .value_kind:     global_buffer
      - .offset:         96
        .size:           4
        .value_kind:     by_value
      - .offset:         104
        .size:           4
        .value_kind:     hidden_block_count_x
      - .offset:         108
        .size:           4
        .value_kind:     hidden_block_count_y
      - .offset:         112
        .size:           4
        .value_kind:     hidden_block_count_z
      - .offset:         116
        .size:           2
        .value_kind:     hidden_group_size_x
      - .offset:         118
        .size:           2
        .value_kind:     hidden_group_size_y
      - .offset:         120
        .size:           2
        .value_kind:     hidden_group_size_z
      - .offset:         122
        .size:           2
        .value_kind:     hidden_remainder_x
      - .offset:         124
        .size:           2
        .value_kind:     hidden_remainder_y
      - .offset:         126
        .size:           2
        .value_kind:     hidden_remainder_z
      - .offset:         144
        .size:           8
        .value_kind:     hidden_global_offset_x
      - .offset:         152
        .size:           8
        .value_kind:     hidden_global_offset_y
      - .offset:         160
        .size:           8
        .value_kind:     hidden_global_offset_z
      - .offset:         168
        .size:           2
        .value_kind:     hidden_grid_dims
    .group_segment_fixed_size: 0
    .kernarg_segment_align: 8
    .kernarg_segment_size: 360
    .language:       OpenCL C
    .language_version:
      - 2
      - 0
    .max_flat_workgroup_size: 64
    .name:           _ZL36rocblas_hemvn_kernel_lower_block_sumILi64Ei19rocblas_complex_numIdEPS1_S1_EviT1_lS3_lT2_lT0_lPT3_i
    .private_segment_fixed_size: 0
    .sgpr_count:     34
    .sgpr_spill_count: 0
    .symbol:         _ZL36rocblas_hemvn_kernel_lower_block_sumILi64Ei19rocblas_complex_numIdEPS1_S1_EviT1_lS3_lT2_lT0_lPT3_i.kd
    .uniform_work_group_size: 1
    .uses_dynamic_stack: false
    .vgpr_count:     16
    .vgpr_spill_count: 0
    .wavefront_size: 32
  - .args:
      - .offset:         0
        .size:           4
        .value_kind:     by_value
      - .address_space:  global
        .offset:         8
        .size:           8
        .value_kind:     global_buffer
      - .offset:         16
        .size:           8
        .value_kind:     by_value
      - .address_space:  global
        .offset:         24
        .size:           8
        .value_kind:     global_buffer
      - .offset:         32
        .size:           8
        .value_kind:     by_value
      - .offset:         40
        .size:           8
        .value_kind:     by_value
      - .offset:         48
        .size:           8
        .value_kind:     by_value
      - .address_space:  global
        .offset:         56
        .size:           8
        .value_kind:     global_buffer
      - .offset:         64
        .size:           8
        .value_kind:     by_value
      - .offset:         72
        .size:           8
        .value_kind:     by_value
      - .offset:         80
        .size:           8
        .value_kind:     by_value
      - .address_space:  global
        .offset:         88
        .size:           8
        .value_kind:     global_buffer
      - .offset:         96
        .size:           8
        .value_kind:     by_value
      - .address_space:  global
        .offset:         104
        .size:           8
        .value_kind:     global_buffer
      - .offset:         112
        .size:           4
        .value_kind:     by_value
      - .offset:         120
        .size:           4
        .value_kind:     hidden_block_count_x
      - .offset:         124
        .size:           4
        .value_kind:     hidden_block_count_y
      - .offset:         128
        .size:           4
        .value_kind:     hidden_block_count_z
      - .offset:         132
        .size:           2
        .value_kind:     hidden_group_size_x
      - .offset:         134
        .size:           2
        .value_kind:     hidden_group_size_y
      - .offset:         136
        .size:           2
        .value_kind:     hidden_group_size_z
      - .offset:         138
        .size:           2
        .value_kind:     hidden_remainder_x
      - .offset:         140
        .size:           2
        .value_kind:     hidden_remainder_y
      - .offset:         142
        .size:           2
        .value_kind:     hidden_remainder_z
      - .offset:         160
        .size:           8
        .value_kind:     hidden_global_offset_x
      - .offset:         168
        .size:           8
        .value_kind:     hidden_global_offset_y
      - .offset:         176
        .size:           8
        .value_kind:     hidden_global_offset_z
      - .offset:         184
        .size:           2
        .value_kind:     hidden_grid_dims
    .group_segment_fixed_size: 9600
    .kernarg_segment_align: 8
    .kernarg_segment_size: 376
    .language:       OpenCL C
    .language_version:
      - 2
      - 0
    .max_flat_workgroup_size: 256
    .name:           _ZL26rocblas_hemvn_kernel_upperILb1ELi64ELi4ELi33ELi32ELi16ElPK19rocblas_complex_numIfEPKS3_PS1_EviT6_lT7_lT5_lS8_lS9_lS7_lT8_i
    .private_segment_fixed_size: 0
    .sgpr_count:     92
    .sgpr_spill_count: 0
    .symbol:         _ZL26rocblas_hemvn_kernel_upperILb1ELi64ELi4ELi33ELi32ELi16ElPK19rocblas_complex_numIfEPKS3_PS1_EviT6_lT7_lT5_lS8_lS9_lS7_lT8_i.kd
    .uniform_work_group_size: 1
    .uses_dynamic_stack: false
    .vgpr_count:     232
    .vgpr_spill_count: 0
    .wavefront_size: 32
  - .args:
      - .offset:         0
        .size:           4
        .value_kind:     by_value
      - .address_space:  global
        .offset:         8
        .size:           8
        .value_kind:     global_buffer
      - .offset:         16
        .size:           8
        .value_kind:     by_value
      - .address_space:  global
        .offset:         24
        .size:           8
        .value_kind:     global_buffer
      - .offset:         32
        .size:           8
        .value_kind:     by_value
      - .actual_access:  read_only
        .address_space:  global
        .offset:         40
        .size:           8
        .value_kind:     global_buffer
      - .offset:         48
        .size:           8
        .value_kind:     by_value
      - .offset:         56
        .size:           8
        .value_kind:     by_value
      - .offset:         64
        .size:           8
        .value_kind:     by_value
      - .address_space:  global
        .offset:         72
        .size:           8
        .value_kind:     global_buffer
      - .offset:         80
        .size:           4
        .value_kind:     by_value
      - .offset:         88
        .size:           4
        .value_kind:     hidden_block_count_x
      - .offset:         92
        .size:           4
        .value_kind:     hidden_block_count_y
      - .offset:         96
        .size:           4
        .value_kind:     hidden_block_count_z
      - .offset:         100
        .size:           2
        .value_kind:     hidden_group_size_x
      - .offset:         102
        .size:           2
        .value_kind:     hidden_group_size_y
      - .offset:         104
        .size:           2
        .value_kind:     hidden_group_size_z
      - .offset:         106
        .size:           2
        .value_kind:     hidden_remainder_x
      - .offset:         108
        .size:           2
        .value_kind:     hidden_remainder_y
      - .offset:         110
        .size:           2
        .value_kind:     hidden_remainder_z
      - .offset:         128
        .size:           8
        .value_kind:     hidden_global_offset_x
      - .offset:         136
        .size:           8
        .value_kind:     hidden_global_offset_y
      - .offset:         144
        .size:           8
        .value_kind:     hidden_global_offset_z
      - .offset:         152
        .size:           2
        .value_kind:     hidden_grid_dims
    .group_segment_fixed_size: 0
    .kernarg_segment_align: 8
    .kernarg_segment_size: 344
    .language:       OpenCL C
    .language_version:
      - 2
      - 0
    .max_flat_workgroup_size: 64
    .name:           _ZL36rocblas_hemvn_kernel_upper_block_sumILi64ElPK19rocblas_complex_numIfEPKPS1_S1_EviT1_lS7_lT2_lT0_lPT3_i
    .private_segment_fixed_size: 0
    .sgpr_count:     30
    .sgpr_spill_count: 0
    .symbol:         _ZL36rocblas_hemvn_kernel_upper_block_sumILi64ElPK19rocblas_complex_numIfEPKPS1_S1_EviT1_lS7_lT2_lT0_lPT3_i.kd
    .uniform_work_group_size: 1
    .uses_dynamic_stack: false
    .vgpr_count:     24
    .vgpr_spill_count: 0
    .wavefront_size: 32
  - .args:
      - .offset:         0
        .size:           4
        .value_kind:     by_value
      - .address_space:  global
        .offset:         8
        .size:           8
        .value_kind:     global_buffer
      - .offset:         16
        .size:           8
        .value_kind:     by_value
      - .address_space:  global
        .offset:         24
        .size:           8
        .value_kind:     global_buffer
      - .offset:         32
        .size:           8
        .value_kind:     by_value
      - .offset:         40
        .size:           4
        .value_kind:     by_value
      - .offset:         48
        .size:           8
        .value_kind:     by_value
      - .address_space:  global
        .offset:         56
        .size:           8
        .value_kind:     global_buffer
      - .offset:         64
        .size:           8
        .value_kind:     by_value
      - .offset:         72
        .size:           4
        .value_kind:     by_value
      - .offset:         80
        .size:           8
        .value_kind:     by_value
      - .address_space:  global
        .offset:         88
        .size:           8
        .value_kind:     global_buffer
      - .offset:         96
        .size:           8
        .value_kind:     by_value
      - .address_space:  global
        .offset:         104
        .size:           8
        .value_kind:     global_buffer
      - .offset:         112
        .size:           4
        .value_kind:     by_value
      - .offset:         120
        .size:           4
        .value_kind:     hidden_block_count_x
      - .offset:         124
        .size:           4
        .value_kind:     hidden_block_count_y
      - .offset:         128
        .size:           4
        .value_kind:     hidden_block_count_z
      - .offset:         132
        .size:           2
        .value_kind:     hidden_group_size_x
      - .offset:         134
        .size:           2
        .value_kind:     hidden_group_size_y
      - .offset:         136
        .size:           2
        .value_kind:     hidden_group_size_z
      - .offset:         138
        .size:           2
        .value_kind:     hidden_remainder_x
      - .offset:         140
        .size:           2
        .value_kind:     hidden_remainder_y
      - .offset:         142
        .size:           2
        .value_kind:     hidden_remainder_z
      - .offset:         160
        .size:           8
        .value_kind:     hidden_global_offset_x
      - .offset:         168
        .size:           8
        .value_kind:     hidden_global_offset_y
      - .offset:         176
        .size:           8
        .value_kind:     hidden_global_offset_z
      - .offset:         184
        .size:           2
        .value_kind:     hidden_grid_dims
    .group_segment_fixed_size: 9600
    .kernarg_segment_align: 8
    .kernarg_segment_size: 376
    .language:       OpenCL C
    .language_version:
      - 2
      - 0
    .max_flat_workgroup_size: 256
    .name:           _ZL26rocblas_hemvn_kernel_upperILb1ELi64ELi4ELi33ELi32ELi16EiPK19rocblas_complex_numIfEPKS3_PS1_EviT6_lT7_lT5_lS8_lS9_lS7_lT8_i
    .private_segment_fixed_size: 0
    .sgpr_count:     100
    .sgpr_spill_count: 0
    .symbol:         _ZL26rocblas_hemvn_kernel_upperILb1ELi64ELi4ELi33ELi32ELi16EiPK19rocblas_complex_numIfEPKS3_PS1_EviT6_lT7_lT5_lS8_lS9_lS7_lT8_i.kd
    .uniform_work_group_size: 1
    .uses_dynamic_stack: false
    .vgpr_count:     250
    .vgpr_spill_count: 0
    .wavefront_size: 32
  - .args:
      - .offset:         0
        .size:           4
        .value_kind:     by_value
      - .address_space:  global
        .offset:         8
        .size:           8
        .value_kind:     global_buffer
      - .offset:         16
        .size:           8
        .value_kind:     by_value
      - .address_space:  global
        .offset:         24
        .size:           8
        .value_kind:     global_buffer
      - .offset:         32
        .size:           8
        .value_kind:     by_value
      - .actual_access:  read_only
        .address_space:  global
        .offset:         40
        .size:           8
        .value_kind:     global_buffer
      - .offset:         48
        .size:           8
        .value_kind:     by_value
      - .offset:         56
        .size:           4
        .value_kind:     by_value
      - .offset:         64
        .size:           8
        .value_kind:     by_value
      - .address_space:  global
        .offset:         72
        .size:           8
        .value_kind:     global_buffer
      - .offset:         80
        .size:           4
        .value_kind:     by_value
      - .offset:         88
        .size:           4
        .value_kind:     hidden_block_count_x
      - .offset:         92
        .size:           4
        .value_kind:     hidden_block_count_y
      - .offset:         96
        .size:           4
        .value_kind:     hidden_block_count_z
      - .offset:         100
        .size:           2
        .value_kind:     hidden_group_size_x
      - .offset:         102
        .size:           2
        .value_kind:     hidden_group_size_y
      - .offset:         104
        .size:           2
        .value_kind:     hidden_group_size_z
      - .offset:         106
        .size:           2
        .value_kind:     hidden_remainder_x
      - .offset:         108
        .size:           2
        .value_kind:     hidden_remainder_y
      - .offset:         110
        .size:           2
        .value_kind:     hidden_remainder_z
      - .offset:         128
        .size:           8
        .value_kind:     hidden_global_offset_x
      - .offset:         136
        .size:           8
        .value_kind:     hidden_global_offset_y
      - .offset:         144
        .size:           8
        .value_kind:     hidden_global_offset_z
      - .offset:         152
        .size:           2
        .value_kind:     hidden_grid_dims
    .group_segment_fixed_size: 0
    .kernarg_segment_align: 8
    .kernarg_segment_size: 344
    .language:       OpenCL C
    .language_version:
      - 2
      - 0
    .max_flat_workgroup_size: 64
    .name:           _ZL36rocblas_hemvn_kernel_upper_block_sumILi64EiPK19rocblas_complex_numIfEPKPS1_S1_EviT1_lS7_lT2_lT0_lPT3_i
    .private_segment_fixed_size: 0
    .sgpr_count:     30
    .sgpr_spill_count: 0
    .symbol:         _ZL36rocblas_hemvn_kernel_upper_block_sumILi64EiPK19rocblas_complex_numIfEPKPS1_S1_EviT1_lS7_lT2_lT0_lPT3_i.kd
    .uniform_work_group_size: 1
    .uses_dynamic_stack: false
    .vgpr_count:     24
    .vgpr_spill_count: 0
    .wavefront_size: 32
  - .args:
      - .offset:         0
        .size:           4
        .value_kind:     by_value
      - .offset:         4
        .size:           8
        .value_kind:     by_value
      - .offset:         16
        .size:           8
        .value_kind:     by_value
      - .address_space:  global
        .offset:         24
        .size:           8
        .value_kind:     global_buffer
      - .offset:         32
        .size:           8
        .value_kind:     by_value
      - .offset:         40
        .size:           8
        .value_kind:     by_value
      - .offset:         48
        .size:           8
        .value_kind:     by_value
      - .address_space:  global
        .offset:         56
        .size:           8
        .value_kind:     global_buffer
      - .offset:         64
        .size:           8
        .value_kind:     by_value
      - .offset:         72
        .size:           8
        .value_kind:     by_value
      - .offset:         80
        .size:           8
        .value_kind:     by_value
      - .offset:         88
        .size:           8
        .value_kind:     by_value
      - .offset:         96
        .size:           8
        .value_kind:     by_value
      - .address_space:  global
        .offset:         104
        .size:           8
        .value_kind:     global_buffer
      - .offset:         112
        .size:           4
        .value_kind:     by_value
      - .offset:         120
        .size:           4
        .value_kind:     hidden_block_count_x
      - .offset:         124
        .size:           4
        .value_kind:     hidden_block_count_y
      - .offset:         128
        .size:           4
        .value_kind:     hidden_block_count_z
      - .offset:         132
        .size:           2
        .value_kind:     hidden_group_size_x
      - .offset:         134
        .size:           2
        .value_kind:     hidden_group_size_y
      - .offset:         136
        .size:           2
        .value_kind:     hidden_group_size_z
      - .offset:         138
        .size:           2
        .value_kind:     hidden_remainder_x
      - .offset:         140
        .size:           2
        .value_kind:     hidden_remainder_y
      - .offset:         142
        .size:           2
        .value_kind:     hidden_remainder_z
      - .offset:         160
        .size:           8
        .value_kind:     hidden_global_offset_x
      - .offset:         168
        .size:           8
        .value_kind:     hidden_global_offset_y
      - .offset:         176
        .size:           8
        .value_kind:     hidden_global_offset_z
      - .offset:         184
        .size:           2
        .value_kind:     hidden_grid_dims
    .group_segment_fixed_size: 9600
    .kernarg_segment_align: 8
    .kernarg_segment_size: 376
    .language:       OpenCL C
    .language_version:
      - 2
      - 0
    .max_flat_workgroup_size: 256
    .name:           _ZL26rocblas_hemvn_kernel_upperILb1ELi64ELi4ELi33ELi32ELi16El19rocblas_complex_numIfEPKPKS1_PS1_EviT6_lT7_lT5_lS8_lS9_lS7_lT8_i
    .private_segment_fixed_size: 0
    .sgpr_count:     86
    .sgpr_spill_count: 0
    .symbol:         _ZL26rocblas_hemvn_kernel_upperILb1ELi64ELi4ELi33ELi32ELi16El19rocblas_complex_numIfEPKPKS1_PS1_EviT6_lT7_lT5_lS8_lS9_lS7_lT8_i.kd
    .uniform_work_group_size: 1
    .uses_dynamic_stack: false
    .vgpr_count:     232
    .vgpr_spill_count: 0
    .wavefront_size: 32
  - .args:
      - .offset:         0
        .size:           4
        .value_kind:     by_value
      - .offset:         4
        .size:           8
        .value_kind:     by_value
      - .offset:         16
        .size:           8
        .value_kind:     by_value
      - .offset:         24
        .size:           8
        .value_kind:     by_value
      - .offset:         32
        .size:           8
        .value_kind:     by_value
      - .actual_access:  read_only
        .address_space:  global
        .offset:         40
        .size:           8
        .value_kind:     global_buffer
      - .offset:         48
        .size:           8
        .value_kind:     by_value
      - .offset:         56
        .size:           8
        .value_kind:     by_value
      - .offset:         64
        .size:           8
        .value_kind:     by_value
      - .address_space:  global
        .offset:         72
        .size:           8
        .value_kind:     global_buffer
      - .offset:         80
        .size:           4
        .value_kind:     by_value
      - .offset:         88
        .size:           4
        .value_kind:     hidden_block_count_x
      - .offset:         92
        .size:           4
        .value_kind:     hidden_block_count_y
      - .offset:         96
        .size:           4
        .value_kind:     hidden_block_count_z
      - .offset:         100
        .size:           2
        .value_kind:     hidden_group_size_x
      - .offset:         102
        .size:           2
        .value_kind:     hidden_group_size_y
      - .offset:         104
        .size:           2
        .value_kind:     hidden_group_size_z
      - .offset:         106
        .size:           2
        .value_kind:     hidden_remainder_x
      - .offset:         108
        .size:           2
        .value_kind:     hidden_remainder_y
      - .offset:         110
        .size:           2
        .value_kind:     hidden_remainder_z
      - .offset:         128
        .size:           8
        .value_kind:     hidden_global_offset_x
      - .offset:         136
        .size:           8
        .value_kind:     hidden_global_offset_y
      - .offset:         144
        .size:           8
        .value_kind:     hidden_global_offset_z
      - .offset:         152
        .size:           2
        .value_kind:     hidden_grid_dims
    .group_segment_fixed_size: 0
    .kernarg_segment_align: 8
    .kernarg_segment_size: 344
    .language:       OpenCL C
    .language_version:
      - 2
      - 0
    .max_flat_workgroup_size: 64
    .name:           _ZL36rocblas_hemvn_kernel_upper_block_sumILi64El19rocblas_complex_numIfEPKPS1_S1_EviT1_lS5_lT2_lT0_lPT3_i
    .private_segment_fixed_size: 0
    .sgpr_count:     32
    .sgpr_spill_count: 0
    .symbol:         _ZL36rocblas_hemvn_kernel_upper_block_sumILi64El19rocblas_complex_numIfEPKPS1_S1_EviT1_lS5_lT2_lT0_lPT3_i.kd
    .uniform_work_group_size: 1
    .uses_dynamic_stack: false
    .vgpr_count:     24
    .vgpr_spill_count: 0
    .wavefront_size: 32
  - .args:
      - .offset:         0
        .size:           4
        .value_kind:     by_value
      - .offset:         4
        .size:           8
        .value_kind:     by_value
      - .offset:         16
        .size:           8
        .value_kind:     by_value
      - .address_space:  global
        .offset:         24
        .size:           8
        .value_kind:     global_buffer
      - .offset:         32
        .size:           8
        .value_kind:     by_value
      - .offset:         40
        .size:           4
        .value_kind:     by_value
      - .offset:         48
        .size:           8
        .value_kind:     by_value
      - .address_space:  global
        .offset:         56
        .size:           8
        .value_kind:     global_buffer
      - .offset:         64
        .size:           8
        .value_kind:     by_value
      - .offset:         72
        .size:           4
        .value_kind:     by_value
      - .offset:         80
        .size:           8
        .value_kind:     by_value
      - .offset:         88
        .size:           8
        .value_kind:     by_value
      - .offset:         96
        .size:           8
        .value_kind:     by_value
      - .address_space:  global
        .offset:         104
        .size:           8
        .value_kind:     global_buffer
      - .offset:         112
        .size:           4
        .value_kind:     by_value
      - .offset:         120
        .size:           4
        .value_kind:     hidden_block_count_x
      - .offset:         124
        .size:           4
        .value_kind:     hidden_block_count_y
      - .offset:         128
        .size:           4
        .value_kind:     hidden_block_count_z
      - .offset:         132
        .size:           2
        .value_kind:     hidden_group_size_x
      - .offset:         134
        .size:           2
        .value_kind:     hidden_group_size_y
      - .offset:         136
        .size:           2
        .value_kind:     hidden_group_size_z
      - .offset:         138
        .size:           2
        .value_kind:     hidden_remainder_x
      - .offset:         140
        .size:           2
        .value_kind:     hidden_remainder_y
      - .offset:         142
        .size:           2
        .value_kind:     hidden_remainder_z
      - .offset:         160
        .size:           8
        .value_kind:     hidden_global_offset_x
      - .offset:         168
        .size:           8
        .value_kind:     hidden_global_offset_y
      - .offset:         176
        .size:           8
        .value_kind:     hidden_global_offset_z
      - .offset:         184
        .size:           2
        .value_kind:     hidden_grid_dims
    .group_segment_fixed_size: 9600
    .kernarg_segment_align: 8
    .kernarg_segment_size: 376
    .language:       OpenCL C
    .language_version:
      - 2
      - 0
    .max_flat_workgroup_size: 256
    .name:           _ZL26rocblas_hemvn_kernel_upperILb1ELi64ELi4ELi33ELi32ELi16Ei19rocblas_complex_numIfEPKPKS1_PS1_EviT6_lT7_lT5_lS8_lS9_lS7_lT8_i
    .private_segment_fixed_size: 0
    .sgpr_count:     96
    .sgpr_spill_count: 0
    .symbol:         _ZL26rocblas_hemvn_kernel_upperILb1ELi64ELi4ELi33ELi32ELi16Ei19rocblas_complex_numIfEPKPKS1_PS1_EviT6_lT7_lT5_lS8_lS9_lS7_lT8_i.kd
    .uniform_work_group_size: 1
    .uses_dynamic_stack: false
    .vgpr_count:     250
    .vgpr_spill_count: 0
    .wavefront_size: 32
  - .args:
      - .offset:         0
        .size:           4
        .value_kind:     by_value
      - .offset:         4
        .size:           8
        .value_kind:     by_value
      - .offset:         16
        .size:           8
        .value_kind:     by_value
      - .offset:         24
        .size:           8
        .value_kind:     by_value
      - .offset:         32
        .size:           8
        .value_kind:     by_value
      - .actual_access:  read_only
        .address_space:  global
        .offset:         40
        .size:           8
        .value_kind:     global_buffer
      - .offset:         48
        .size:           8
        .value_kind:     by_value
      - .offset:         56
        .size:           4
        .value_kind:     by_value
      - .offset:         64
        .size:           8
        .value_kind:     by_value
      - .address_space:  global
        .offset:         72
        .size:           8
        .value_kind:     global_buffer
      - .offset:         80
        .size:           4
        .value_kind:     by_value
      - .offset:         88
        .size:           4
        .value_kind:     hidden_block_count_x
      - .offset:         92
        .size:           4
        .value_kind:     hidden_block_count_y
      - .offset:         96
        .size:           4
        .value_kind:     hidden_block_count_z
      - .offset:         100
        .size:           2
        .value_kind:     hidden_group_size_x
      - .offset:         102
        .size:           2
        .value_kind:     hidden_group_size_y
      - .offset:         104
        .size:           2
        .value_kind:     hidden_group_size_z
      - .offset:         106
        .size:           2
        .value_kind:     hidden_remainder_x
      - .offset:         108
        .size:           2
        .value_kind:     hidden_remainder_y
      - .offset:         110
        .size:           2
        .value_kind:     hidden_remainder_z
      - .offset:         128
        .size:           8
        .value_kind:     hidden_global_offset_x
      - .offset:         136
        .size:           8
        .value_kind:     hidden_global_offset_y
      - .offset:         144
        .size:           8
        .value_kind:     hidden_global_offset_z
      - .offset:         152
        .size:           2
        .value_kind:     hidden_grid_dims
    .group_segment_fixed_size: 0
    .kernarg_segment_align: 8
    .kernarg_segment_size: 344
    .language:       OpenCL C
    .language_version:
      - 2
      - 0
    .max_flat_workgroup_size: 64
    .name:           _ZL36rocblas_hemvn_kernel_upper_block_sumILi64Ei19rocblas_complex_numIfEPKPS1_S1_EviT1_lS5_lT2_lT0_lPT3_i
    .private_segment_fixed_size: 0
    .sgpr_count:     32
    .sgpr_spill_count: 0
    .symbol:         _ZL36rocblas_hemvn_kernel_upper_block_sumILi64Ei19rocblas_complex_numIfEPKPS1_S1_EviT1_lS5_lT2_lT0_lPT3_i.kd
    .uniform_work_group_size: 1
    .uses_dynamic_stack: false
    .vgpr_count:     24
    .vgpr_spill_count: 0
    .wavefront_size: 32
  - .args:
      - .offset:         0
        .size:           4
        .value_kind:     by_value
      - .address_space:  global
        .offset:         8
        .size:           8
        .value_kind:     global_buffer
      - .offset:         16
        .size:           8
        .value_kind:     by_value
      - .address_space:  global
        .offset:         24
        .size:           8
        .value_kind:     global_buffer
      - .offset:         32
        .size:           8
        .value_kind:     by_value
      - .offset:         40
        .size:           8
        .value_kind:     by_value
      - .offset:         48
        .size:           8
        .value_kind:     by_value
      - .address_space:  global
        .offset:         56
        .size:           8
        .value_kind:     global_buffer
      - .offset:         64
        .size:           8
        .value_kind:     by_value
      - .offset:         72
        .size:           8
        .value_kind:     by_value
      - .offset:         80
        .size:           8
        .value_kind:     by_value
      - .address_space:  global
        .offset:         88
        .size:           8
        .value_kind:     global_buffer
      - .offset:         96
        .size:           8
        .value_kind:     by_value
      - .address_space:  global
        .offset:         104
        .size:           8
        .value_kind:     global_buffer
      - .offset:         112
        .size:           4
        .value_kind:     by_value
      - .offset:         120
        .size:           4
        .value_kind:     hidden_block_count_x
      - .offset:         124
        .size:           4
        .value_kind:     hidden_block_count_y
      - .offset:         128
        .size:           4
        .value_kind:     hidden_block_count_z
      - .offset:         132
        .size:           2
        .value_kind:     hidden_group_size_x
      - .offset:         134
        .size:           2
        .value_kind:     hidden_group_size_y
      - .offset:         136
        .size:           2
        .value_kind:     hidden_group_size_z
      - .offset:         138
        .size:           2
        .value_kind:     hidden_remainder_x
      - .offset:         140
        .size:           2
        .value_kind:     hidden_remainder_y
      - .offset:         142
        .size:           2
        .value_kind:     hidden_remainder_z
      - .offset:         160
        .size:           8
        .value_kind:     hidden_global_offset_x
      - .offset:         168
        .size:           8
        .value_kind:     hidden_global_offset_y
      - .offset:         176
        .size:           8
        .value_kind:     hidden_global_offset_z
      - .offset:         184
        .size:           2
        .value_kind:     hidden_grid_dims
    .group_segment_fixed_size: 9600
    .kernarg_segment_align: 8
    .kernarg_segment_size: 376
    .language:       OpenCL C
    .language_version:
      - 2
      - 0
    .max_flat_workgroup_size: 256
    .name:           _ZL26rocblas_hemvn_kernel_lowerILb1ELi64ELi4ELi33ELi32ELi16ElPK19rocblas_complex_numIfEPKS3_PS1_EviT6_lT7_lT5_lS8_lS9_lS7_lT8_i
    .private_segment_fixed_size: 0
    .sgpr_count:     107
    .sgpr_spill_count: 7
    .symbol:         _ZL26rocblas_hemvn_kernel_lowerILb1ELi64ELi4ELi33ELi32ELi16ElPK19rocblas_complex_numIfEPKS3_PS1_EviT6_lT7_lT5_lS8_lS9_lS7_lT8_i.kd
    .uniform_work_group_size: 1
    .uses_dynamic_stack: false
    .vgpr_count:     139
    .vgpr_spill_count: 0
    .wavefront_size: 32
  - .args:
      - .offset:         0
        .size:           4
        .value_kind:     by_value
      - .address_space:  global
        .offset:         8
        .size:           8
        .value_kind:     global_buffer
      - .offset:         16
        .size:           8
        .value_kind:     by_value
      - .address_space:  global
        .offset:         24
        .size:           8
        .value_kind:     global_buffer
      - .offset:         32
        .size:           8
        .value_kind:     by_value
      - .actual_access:  read_only
        .address_space:  global
        .offset:         40
        .size:           8
        .value_kind:     global_buffer
      - .offset:         48
        .size:           8
        .value_kind:     by_value
      - .offset:         56
        .size:           8
        .value_kind:     by_value
      - .offset:         64
        .size:           8
        .value_kind:     by_value
      - .actual_access:  read_only
        .address_space:  global
        .offset:         72
        .size:           8
        .value_kind:     global_buffer
      - .offset:         80
        .size:           4
        .value_kind:     by_value
      - .offset:         88
        .size:           4
        .value_kind:     hidden_block_count_x
      - .offset:         92
        .size:           4
        .value_kind:     hidden_block_count_y
      - .offset:         96
        .size:           4
        .value_kind:     hidden_block_count_z
      - .offset:         100
        .size:           2
        .value_kind:     hidden_group_size_x
      - .offset:         102
        .size:           2
        .value_kind:     hidden_group_size_y
      - .offset:         104
        .size:           2
        .value_kind:     hidden_group_size_z
      - .offset:         106
        .size:           2
        .value_kind:     hidden_remainder_x
      - .offset:         108
        .size:           2
        .value_kind:     hidden_remainder_y
      - .offset:         110
        .size:           2
        .value_kind:     hidden_remainder_z
      - .offset:         128
        .size:           8
        .value_kind:     hidden_global_offset_x
      - .offset:         136
        .size:           8
        .value_kind:     hidden_global_offset_y
      - .offset:         144
        .size:           8
        .value_kind:     hidden_global_offset_z
      - .offset:         152
        .size:           2
        .value_kind:     hidden_grid_dims
    .group_segment_fixed_size: 0
    .kernarg_segment_align: 8
    .kernarg_segment_size: 344
    .language:       OpenCL C
    .language_version:
      - 2
      - 0
    .max_flat_workgroup_size: 64
    .name:           _ZL36rocblas_hemvn_kernel_lower_block_sumILi64ElPK19rocblas_complex_numIfEPKPS1_S1_EviT1_lS7_lT2_lT0_lPT3_i
    .private_segment_fixed_size: 0
    .sgpr_count:     30
    .sgpr_spill_count: 0
    .symbol:         _ZL36rocblas_hemvn_kernel_lower_block_sumILi64ElPK19rocblas_complex_numIfEPKPS1_S1_EviT1_lS7_lT2_lT0_lPT3_i.kd
    .uniform_work_group_size: 1
    .uses_dynamic_stack: false
    .vgpr_count:     24
    .vgpr_spill_count: 0
    .wavefront_size: 32
  - .args:
      - .offset:         0
        .size:           4
        .value_kind:     by_value
      - .address_space:  global
        .offset:         8
        .size:           8
        .value_kind:     global_buffer
      - .offset:         16
        .size:           8
        .value_kind:     by_value
      - .address_space:  global
        .offset:         24
        .size:           8
        .value_kind:     global_buffer
      - .offset:         32
        .size:           8
        .value_kind:     by_value
      - .offset:         40
        .size:           4
        .value_kind:     by_value
      - .offset:         48
        .size:           8
        .value_kind:     by_value
      - .address_space:  global
        .offset:         56
        .size:           8
        .value_kind:     global_buffer
      - .offset:         64
        .size:           8
        .value_kind:     by_value
      - .offset:         72
        .size:           4
        .value_kind:     by_value
      - .offset:         80
        .size:           8
        .value_kind:     by_value
      - .address_space:  global
        .offset:         88
        .size:           8
        .value_kind:     global_buffer
      - .offset:         96
        .size:           8
        .value_kind:     by_value
      - .address_space:  global
        .offset:         104
        .size:           8
        .value_kind:     global_buffer
      - .offset:         112
        .size:           4
        .value_kind:     by_value
      - .offset:         120
        .size:           4
        .value_kind:     hidden_block_count_x
      - .offset:         124
        .size:           4
        .value_kind:     hidden_block_count_y
      - .offset:         128
        .size:           4
        .value_kind:     hidden_block_count_z
      - .offset:         132
        .size:           2
        .value_kind:     hidden_group_size_x
      - .offset:         134
        .size:           2
        .value_kind:     hidden_group_size_y
      - .offset:         136
        .size:           2
        .value_kind:     hidden_group_size_z
      - .offset:         138
        .size:           2
        .value_kind:     hidden_remainder_x
      - .offset:         140
        .size:           2
        .value_kind:     hidden_remainder_y
      - .offset:         142
        .size:           2
        .value_kind:     hidden_remainder_z
      - .offset:         160
        .size:           8
        .value_kind:     hidden_global_offset_x
      - .offset:         168
        .size:           8
        .value_kind:     hidden_global_offset_y
      - .offset:         176
        .size:           8
        .value_kind:     hidden_global_offset_z
      - .offset:         184
        .size:           2
        .value_kind:     hidden_grid_dims
    .group_segment_fixed_size: 9600
    .kernarg_segment_align: 8
    .kernarg_segment_size: 376
    .language:       OpenCL C
    .language_version:
      - 2
      - 0
    .max_flat_workgroup_size: 256
    .name:           _ZL26rocblas_hemvn_kernel_lowerILb1ELi64ELi4ELi33ELi32ELi16EiPK19rocblas_complex_numIfEPKS3_PS1_EviT6_lT7_lT5_lS8_lS9_lS7_lT8_i
    .private_segment_fixed_size: 0
    .sgpr_count:     107
    .sgpr_spill_count: 8
    .symbol:         _ZL26rocblas_hemvn_kernel_lowerILb1ELi64ELi4ELi33ELi32ELi16EiPK19rocblas_complex_numIfEPKS3_PS1_EviT6_lT7_lT5_lS8_lS9_lS7_lT8_i.kd
    .uniform_work_group_size: 1
    .uses_dynamic_stack: false
    .vgpr_count:     141
    .vgpr_spill_count: 0
    .wavefront_size: 32
  - .args:
      - .offset:         0
        .size:           4
        .value_kind:     by_value
      - .address_space:  global
        .offset:         8
        .size:           8
        .value_kind:     global_buffer
      - .offset:         16
        .size:           8
        .value_kind:     by_value
      - .address_space:  global
        .offset:         24
        .size:           8
        .value_kind:     global_buffer
      - .offset:         32
        .size:           8
        .value_kind:     by_value
      - .actual_access:  read_only
        .address_space:  global
        .offset:         40
        .size:           8
        .value_kind:     global_buffer
      - .offset:         48
        .size:           8
        .value_kind:     by_value
      - .offset:         56
        .size:           4
        .value_kind:     by_value
      - .offset:         64
        .size:           8
        .value_kind:     by_value
      - .actual_access:  read_only
        .address_space:  global
        .offset:         72
        .size:           8
        .value_kind:     global_buffer
      - .offset:         80
        .size:           4
        .value_kind:     by_value
      - .offset:         88
        .size:           4
        .value_kind:     hidden_block_count_x
      - .offset:         92
        .size:           4
        .value_kind:     hidden_block_count_y
      - .offset:         96
        .size:           4
        .value_kind:     hidden_block_count_z
      - .offset:         100
        .size:           2
        .value_kind:     hidden_group_size_x
      - .offset:         102
        .size:           2
        .value_kind:     hidden_group_size_y
      - .offset:         104
        .size:           2
        .value_kind:     hidden_group_size_z
      - .offset:         106
        .size:           2
        .value_kind:     hidden_remainder_x
      - .offset:         108
        .size:           2
        .value_kind:     hidden_remainder_y
      - .offset:         110
        .size:           2
        .value_kind:     hidden_remainder_z
      - .offset:         128
        .size:           8
        .value_kind:     hidden_global_offset_x
      - .offset:         136
        .size:           8
        .value_kind:     hidden_global_offset_y
      - .offset:         144
        .size:           8
        .value_kind:     hidden_global_offset_z
      - .offset:         152
        .size:           2
        .value_kind:     hidden_grid_dims
    .group_segment_fixed_size: 0
    .kernarg_segment_align: 8
    .kernarg_segment_size: 344
    .language:       OpenCL C
    .language_version:
      - 2
      - 0
    .max_flat_workgroup_size: 64
    .name:           _ZL36rocblas_hemvn_kernel_lower_block_sumILi64EiPK19rocblas_complex_numIfEPKPS1_S1_EviT1_lS7_lT2_lT0_lPT3_i
    .private_segment_fixed_size: 0
    .sgpr_count:     30
    .sgpr_spill_count: 0
    .symbol:         _ZL36rocblas_hemvn_kernel_lower_block_sumILi64EiPK19rocblas_complex_numIfEPKPS1_S1_EviT1_lS7_lT2_lT0_lPT3_i.kd
    .uniform_work_group_size: 1
    .uses_dynamic_stack: false
    .vgpr_count:     24
    .vgpr_spill_count: 0
    .wavefront_size: 32
  - .args:
      - .offset:         0
        .size:           4
        .value_kind:     by_value
      - .offset:         4
        .size:           8
        .value_kind:     by_value
      - .offset:         16
        .size:           8
        .value_kind:     by_value
      - .address_space:  global
        .offset:         24
        .size:           8
        .value_kind:     global_buffer
      - .offset:         32
        .size:           8
        .value_kind:     by_value
      - .offset:         40
        .size:           8
        .value_kind:     by_value
      - .offset:         48
        .size:           8
        .value_kind:     by_value
      - .address_space:  global
        .offset:         56
        .size:           8
        .value_kind:     global_buffer
      - .offset:         64
        .size:           8
        .value_kind:     by_value
      - .offset:         72
        .size:           8
        .value_kind:     by_value
      - .offset:         80
        .size:           8
        .value_kind:     by_value
      - .offset:         88
        .size:           8
        .value_kind:     by_value
      - .offset:         96
        .size:           8
        .value_kind:     by_value
      - .address_space:  global
        .offset:         104
        .size:           8
        .value_kind:     global_buffer
      - .offset:         112
        .size:           4
        .value_kind:     by_value
      - .offset:         120
        .size:           4
        .value_kind:     hidden_block_count_x
      - .offset:         124
        .size:           4
        .value_kind:     hidden_block_count_y
      - .offset:         128
        .size:           4
        .value_kind:     hidden_block_count_z
      - .offset:         132
        .size:           2
        .value_kind:     hidden_group_size_x
      - .offset:         134
        .size:           2
        .value_kind:     hidden_group_size_y
      - .offset:         136
        .size:           2
        .value_kind:     hidden_group_size_z
      - .offset:         138
        .size:           2
        .value_kind:     hidden_remainder_x
      - .offset:         140
        .size:           2
        .value_kind:     hidden_remainder_y
      - .offset:         142
        .size:           2
        .value_kind:     hidden_remainder_z
      - .offset:         160
        .size:           8
        .value_kind:     hidden_global_offset_x
      - .offset:         168
        .size:           8
        .value_kind:     hidden_global_offset_y
      - .offset:         176
        .size:           8
        .value_kind:     hidden_global_offset_z
      - .offset:         184
        .size:           2
        .value_kind:     hidden_grid_dims
    .group_segment_fixed_size: 9600
    .kernarg_segment_align: 8
    .kernarg_segment_size: 376
    .language:       OpenCL C
    .language_version:
      - 2
      - 0
    .max_flat_workgroup_size: 256
    .name:           _ZL26rocblas_hemvn_kernel_lowerILb1ELi64ELi4ELi33ELi32ELi16El19rocblas_complex_numIfEPKPKS1_PS1_EviT6_lT7_lT5_lS8_lS9_lS7_lT8_i
    .private_segment_fixed_size: 0
    .sgpr_count:     107
    .sgpr_spill_count: 2
    .symbol:         _ZL26rocblas_hemvn_kernel_lowerILb1ELi64ELi4ELi33ELi32ELi16El19rocblas_complex_numIfEPKPKS1_PS1_EviT6_lT7_lT5_lS8_lS9_lS7_lT8_i.kd
    .uniform_work_group_size: 1
    .uses_dynamic_stack: false
    .vgpr_count:     145
    .vgpr_spill_count: 0
    .wavefront_size: 32
  - .args:
      - .offset:         0
        .size:           4
        .value_kind:     by_value
      - .offset:         4
        .size:           8
        .value_kind:     by_value
      - .offset:         16
        .size:           8
        .value_kind:     by_value
      - .offset:         24
        .size:           8
        .value_kind:     by_value
      - .offset:         32
        .size:           8
        .value_kind:     by_value
      - .actual_access:  read_only
        .address_space:  global
        .offset:         40
        .size:           8
        .value_kind:     global_buffer
      - .offset:         48
        .size:           8
        .value_kind:     by_value
      - .offset:         56
        .size:           8
        .value_kind:     by_value
      - .offset:         64
        .size:           8
        .value_kind:     by_value
      - .actual_access:  read_only
        .address_space:  global
        .offset:         72
        .size:           8
        .value_kind:     global_buffer
      - .offset:         80
        .size:           4
        .value_kind:     by_value
      - .offset:         88
        .size:           4
        .value_kind:     hidden_block_count_x
      - .offset:         92
        .size:           4
        .value_kind:     hidden_block_count_y
      - .offset:         96
        .size:           4
        .value_kind:     hidden_block_count_z
      - .offset:         100
        .size:           2
        .value_kind:     hidden_group_size_x
      - .offset:         102
        .size:           2
        .value_kind:     hidden_group_size_y
      - .offset:         104
        .size:           2
        .value_kind:     hidden_group_size_z
      - .offset:         106
        .size:           2
        .value_kind:     hidden_remainder_x
      - .offset:         108
        .size:           2
        .value_kind:     hidden_remainder_y
      - .offset:         110
        .size:           2
        .value_kind:     hidden_remainder_z
      - .offset:         128
        .size:           8
        .value_kind:     hidden_global_offset_x
      - .offset:         136
        .size:           8
        .value_kind:     hidden_global_offset_y
      - .offset:         144
        .size:           8
        .value_kind:     hidden_global_offset_z
      - .offset:         152
        .size:           2
        .value_kind:     hidden_grid_dims
    .group_segment_fixed_size: 0
    .kernarg_segment_align: 8
    .kernarg_segment_size: 344
    .language:       OpenCL C
    .language_version:
      - 2
      - 0
    .max_flat_workgroup_size: 64
    .name:           _ZL36rocblas_hemvn_kernel_lower_block_sumILi64El19rocblas_complex_numIfEPKPS1_S1_EviT1_lS5_lT2_lT0_lPT3_i
    .private_segment_fixed_size: 0
    .sgpr_count:     34
    .sgpr_spill_count: 0
    .symbol:         _ZL36rocblas_hemvn_kernel_lower_block_sumILi64El19rocblas_complex_numIfEPKPS1_S1_EviT1_lS5_lT2_lT0_lPT3_i.kd
    .uniform_work_group_size: 1
    .uses_dynamic_stack: false
    .vgpr_count:     24
    .vgpr_spill_count: 0
    .wavefront_size: 32
  - .args:
      - .offset:         0
        .size:           4
        .value_kind:     by_value
      - .offset:         4
        .size:           8
        .value_kind:     by_value
      - .offset:         16
        .size:           8
        .value_kind:     by_value
      - .address_space:  global
        .offset:         24
        .size:           8
        .value_kind:     global_buffer
      - .offset:         32
        .size:           8
        .value_kind:     by_value
      - .offset:         40
        .size:           4
        .value_kind:     by_value
      - .offset:         48
        .size:           8
        .value_kind:     by_value
      - .address_space:  global
        .offset:         56
        .size:           8
        .value_kind:     global_buffer
      - .offset:         64
        .size:           8
        .value_kind:     by_value
      - .offset:         72
        .size:           4
        .value_kind:     by_value
      - .offset:         80
        .size:           8
        .value_kind:     by_value
      - .offset:         88
        .size:           8
        .value_kind:     by_value
      - .offset:         96
        .size:           8
        .value_kind:     by_value
      - .address_space:  global
        .offset:         104
        .size:           8
        .value_kind:     global_buffer
      - .offset:         112
        .size:           4
        .value_kind:     by_value
      - .offset:         120
        .size:           4
        .value_kind:     hidden_block_count_x
      - .offset:         124
        .size:           4
        .value_kind:     hidden_block_count_y
      - .offset:         128
        .size:           4
        .value_kind:     hidden_block_count_z
      - .offset:         132
        .size:           2
        .value_kind:     hidden_group_size_x
      - .offset:         134
        .size:           2
        .value_kind:     hidden_group_size_y
      - .offset:         136
        .size:           2
        .value_kind:     hidden_group_size_z
      - .offset:         138
        .size:           2
        .value_kind:     hidden_remainder_x
      - .offset:         140
        .size:           2
        .value_kind:     hidden_remainder_y
      - .offset:         142
        .size:           2
        .value_kind:     hidden_remainder_z
      - .offset:         160
        .size:           8
        .value_kind:     hidden_global_offset_x
      - .offset:         168
        .size:           8
        .value_kind:     hidden_global_offset_y
      - .offset:         176
        .size:           8
        .value_kind:     hidden_global_offset_z
      - .offset:         184
        .size:           2
        .value_kind:     hidden_grid_dims
    .group_segment_fixed_size: 9600
    .kernarg_segment_align: 8
    .kernarg_segment_size: 376
    .language:       OpenCL C
    .language_version:
      - 2
      - 0
    .max_flat_workgroup_size: 256
    .name:           _ZL26rocblas_hemvn_kernel_lowerILb1ELi64ELi4ELi33ELi32ELi16Ei19rocblas_complex_numIfEPKPKS1_PS1_EviT6_lT7_lT5_lS8_lS9_lS7_lT8_i
    .private_segment_fixed_size: 0
    .sgpr_count:     107
    .sgpr_spill_count: 3
    .symbol:         _ZL26rocblas_hemvn_kernel_lowerILb1ELi64ELi4ELi33ELi32ELi16Ei19rocblas_complex_numIfEPKPKS1_PS1_EviT6_lT7_lT5_lS8_lS9_lS7_lT8_i.kd
    .uniform_work_group_size: 1
    .uses_dynamic_stack: false
    .vgpr_count:     141
    .vgpr_spill_count: 0
    .wavefront_size: 32
  - .args:
      - .offset:         0
        .size:           4
        .value_kind:     by_value
      - .offset:         4
        .size:           8
        .value_kind:     by_value
      - .offset:         16
        .size:           8
        .value_kind:     by_value
      - .offset:         24
        .size:           8
        .value_kind:     by_value
      - .offset:         32
        .size:           8
        .value_kind:     by_value
      - .actual_access:  read_only
        .address_space:  global
        .offset:         40
        .size:           8
        .value_kind:     global_buffer
      - .offset:         48
        .size:           8
        .value_kind:     by_value
      - .offset:         56
        .size:           4
        .value_kind:     by_value
      - .offset:         64
        .size:           8
        .value_kind:     by_value
      - .actual_access:  read_only
        .address_space:  global
        .offset:         72
        .size:           8
        .value_kind:     global_buffer
      - .offset:         80
        .size:           4
        .value_kind:     by_value
      - .offset:         88
        .size:           4
        .value_kind:     hidden_block_count_x
      - .offset:         92
        .size:           4
        .value_kind:     hidden_block_count_y
      - .offset:         96
        .size:           4
        .value_kind:     hidden_block_count_z
      - .offset:         100
        .size:           2
        .value_kind:     hidden_group_size_x
      - .offset:         102
        .size:           2
        .value_kind:     hidden_group_size_y
      - .offset:         104
        .size:           2
        .value_kind:     hidden_group_size_z
      - .offset:         106
        .size:           2
        .value_kind:     hidden_remainder_x
      - .offset:         108
        .size:           2
        .value_kind:     hidden_remainder_y
      - .offset:         110
        .size:           2
        .value_kind:     hidden_remainder_z
      - .offset:         128
        .size:           8
        .value_kind:     hidden_global_offset_x
      - .offset:         136
        .size:           8
        .value_kind:     hidden_global_offset_y
      - .offset:         144
        .size:           8
        .value_kind:     hidden_global_offset_z
      - .offset:         152
        .size:           2
        .value_kind:     hidden_grid_dims
    .group_segment_fixed_size: 0
    .kernarg_segment_align: 8
    .kernarg_segment_size: 344
    .language:       OpenCL C
    .language_version:
      - 2
      - 0
    .max_flat_workgroup_size: 64
    .name:           _ZL36rocblas_hemvn_kernel_lower_block_sumILi64Ei19rocblas_complex_numIfEPKPS1_S1_EviT1_lS5_lT2_lT0_lPT3_i
    .private_segment_fixed_size: 0
    .sgpr_count:     34
    .sgpr_spill_count: 0
    .symbol:         _ZL36rocblas_hemvn_kernel_lower_block_sumILi64Ei19rocblas_complex_numIfEPKPS1_S1_EviT1_lS5_lT2_lT0_lPT3_i.kd
    .uniform_work_group_size: 1
    .uses_dynamic_stack: false
    .vgpr_count:     24
    .vgpr_spill_count: 0
    .wavefront_size: 32
  - .args:
      - .offset:         0
        .size:           4
        .value_kind:     by_value
      - .address_space:  global
        .offset:         8
        .size:           8
        .value_kind:     global_buffer
      - .offset:         16
        .size:           8
        .value_kind:     by_value
      - .address_space:  global
        .offset:         24
        .size:           8
        .value_kind:     global_buffer
      - .offset:         32
        .size:           8
        .value_kind:     by_value
      - .offset:         40
        .size:           8
        .value_kind:     by_value
      - .offset:         48
        .size:           8
        .value_kind:     by_value
      - .address_space:  global
        .offset:         56
        .size:           8
        .value_kind:     global_buffer
      - .offset:         64
        .size:           8
        .value_kind:     by_value
      - .offset:         72
        .size:           8
        .value_kind:     by_value
      - .offset:         80
        .size:           8
        .value_kind:     by_value
      - .address_space:  global
        .offset:         88
        .size:           8
        .value_kind:     global_buffer
      - .offset:         96
        .size:           8
        .value_kind:     by_value
      - .address_space:  global
        .offset:         104
        .size:           8
        .value_kind:     global_buffer
      - .offset:         112
        .size:           4
        .value_kind:     by_value
      - .offset:         120
        .size:           4
        .value_kind:     hidden_block_count_x
      - .offset:         124
        .size:           4
        .value_kind:     hidden_block_count_y
      - .offset:         128
        .size:           4
        .value_kind:     hidden_block_count_z
      - .offset:         132
        .size:           2
        .value_kind:     hidden_group_size_x
      - .offset:         134
        .size:           2
        .value_kind:     hidden_group_size_y
      - .offset:         136
        .size:           2
        .value_kind:     hidden_group_size_z
      - .offset:         138
        .size:           2
        .value_kind:     hidden_remainder_x
      - .offset:         140
        .size:           2
        .value_kind:     hidden_remainder_y
      - .offset:         142
        .size:           2
        .value_kind:     hidden_remainder_z
      - .offset:         160
        .size:           8
        .value_kind:     hidden_global_offset_x
      - .offset:         168
        .size:           8
        .value_kind:     hidden_global_offset_y
      - .offset:         176
        .size:           8
        .value_kind:     hidden_global_offset_z
      - .offset:         184
        .size:           2
        .value_kind:     hidden_grid_dims
    .group_segment_fixed_size: 19200
    .kernarg_segment_align: 8
    .kernarg_segment_size: 376
    .language:       OpenCL C
    .language_version:
      - 2
      - 0
    .max_flat_workgroup_size: 256
    .name:           _ZL26rocblas_hemvn_kernel_upperILb1ELi64ELi4ELi33ELi32ELi16ElPK19rocblas_complex_numIdEPKS3_PS1_EviT6_lT7_lT5_lS8_lS9_lS7_lT8_i
    .private_segment_fixed_size: 0
    .sgpr_count:     92
    .sgpr_spill_count: 0
    .symbol:         _ZL26rocblas_hemvn_kernel_upperILb1ELi64ELi4ELi33ELi32ELi16ElPK19rocblas_complex_numIdEPKS3_PS1_EviT6_lT7_lT5_lS8_lS9_lS7_lT8_i.kd
    .uniform_work_group_size: 1
    .uses_dynamic_stack: false
    .vgpr_count:     320
    .vgpr_spill_count: 0
    .wavefront_size: 32
  - .args:
      - .offset:         0
        .size:           4
        .value_kind:     by_value
      - .address_space:  global
        .offset:         8
        .size:           8
        .value_kind:     global_buffer
      - .offset:         16
        .size:           8
        .value_kind:     by_value
      - .address_space:  global
        .offset:         24
        .size:           8
        .value_kind:     global_buffer
      - .offset:         32
        .size:           8
        .value_kind:     by_value
      - .actual_access:  read_only
        .address_space:  global
        .offset:         40
        .size:           8
        .value_kind:     global_buffer
      - .offset:         48
        .size:           8
        .value_kind:     by_value
      - .offset:         56
        .size:           8
        .value_kind:     by_value
      - .offset:         64
        .size:           8
        .value_kind:     by_value
      - .address_space:  global
        .offset:         72
        .size:           8
        .value_kind:     global_buffer
      - .offset:         80
        .size:           4
        .value_kind:     by_value
      - .offset:         88
        .size:           4
        .value_kind:     hidden_block_count_x
      - .offset:         92
        .size:           4
        .value_kind:     hidden_block_count_y
      - .offset:         96
        .size:           4
        .value_kind:     hidden_block_count_z
      - .offset:         100
        .size:           2
        .value_kind:     hidden_group_size_x
      - .offset:         102
        .size:           2
        .value_kind:     hidden_group_size_y
      - .offset:         104
        .size:           2
        .value_kind:     hidden_group_size_z
      - .offset:         106
        .size:           2
        .value_kind:     hidden_remainder_x
      - .offset:         108
        .size:           2
        .value_kind:     hidden_remainder_y
      - .offset:         110
        .size:           2
        .value_kind:     hidden_remainder_z
      - .offset:         128
        .size:           8
        .value_kind:     hidden_global_offset_x
      - .offset:         136
        .size:           8
        .value_kind:     hidden_global_offset_y
      - .offset:         144
        .size:           8
        .value_kind:     hidden_global_offset_z
      - .offset:         152
        .size:           2
        .value_kind:     hidden_grid_dims
    .group_segment_fixed_size: 0
    .kernarg_segment_align: 8
    .kernarg_segment_size: 344
    .language:       OpenCL C
    .language_version:
      - 2
      - 0
    .max_flat_workgroup_size: 64
    .name:           _ZL36rocblas_hemvn_kernel_upper_block_sumILi64ElPK19rocblas_complex_numIdEPKPS1_S1_EviT1_lS7_lT2_lT0_lPT3_i
    .private_segment_fixed_size: 0
    .sgpr_count:     32
    .sgpr_spill_count: 0
    .symbol:         _ZL36rocblas_hemvn_kernel_upper_block_sumILi64ElPK19rocblas_complex_numIdEPKPS1_S1_EviT1_lS7_lT2_lT0_lPT3_i.kd
    .uniform_work_group_size: 1
    .uses_dynamic_stack: false
    .vgpr_count:     24
    .vgpr_spill_count: 0
    .wavefront_size: 32
  - .args:
      - .offset:         0
        .size:           4
        .value_kind:     by_value
      - .address_space:  global
        .offset:         8
        .size:           8
        .value_kind:     global_buffer
      - .offset:         16
        .size:           8
        .value_kind:     by_value
      - .address_space:  global
        .offset:         24
        .size:           8
        .value_kind:     global_buffer
      - .offset:         32
        .size:           8
        .value_kind:     by_value
      - .offset:         40
        .size:           4
        .value_kind:     by_value
      - .offset:         48
        .size:           8
        .value_kind:     by_value
      - .address_space:  global
        .offset:         56
        .size:           8
        .value_kind:     global_buffer
      - .offset:         64
        .size:           8
        .value_kind:     by_value
      - .offset:         72
        .size:           4
        .value_kind:     by_value
      - .offset:         80
        .size:           8
        .value_kind:     by_value
      - .address_space:  global
        .offset:         88
        .size:           8
        .value_kind:     global_buffer
      - .offset:         96
        .size:           8
        .value_kind:     by_value
      - .address_space:  global
        .offset:         104
        .size:           8
        .value_kind:     global_buffer
      - .offset:         112
        .size:           4
        .value_kind:     by_value
      - .offset:         120
        .size:           4
        .value_kind:     hidden_block_count_x
      - .offset:         124
        .size:           4
        .value_kind:     hidden_block_count_y
      - .offset:         128
        .size:           4
        .value_kind:     hidden_block_count_z
      - .offset:         132
        .size:           2
        .value_kind:     hidden_group_size_x
      - .offset:         134
        .size:           2
        .value_kind:     hidden_group_size_y
      - .offset:         136
        .size:           2
        .value_kind:     hidden_group_size_z
      - .offset:         138
        .size:           2
        .value_kind:     hidden_remainder_x
      - .offset:         140
        .size:           2
        .value_kind:     hidden_remainder_y
      - .offset:         142
        .size:           2
        .value_kind:     hidden_remainder_z
      - .offset:         160
        .size:           8
        .value_kind:     hidden_global_offset_x
      - .offset:         168
        .size:           8
        .value_kind:     hidden_global_offset_y
      - .offset:         176
        .size:           8
        .value_kind:     hidden_global_offset_z
      - .offset:         184
        .size:           2
        .value_kind:     hidden_grid_dims
    .group_segment_fixed_size: 19200
    .kernarg_segment_align: 8
    .kernarg_segment_size: 376
    .language:       OpenCL C
    .language_version:
      - 2
      - 0
    .max_flat_workgroup_size: 256
    .name:           _ZL26rocblas_hemvn_kernel_upperILb1ELi64ELi4ELi33ELi32ELi16EiPK19rocblas_complex_numIdEPKS3_PS1_EviT6_lT7_lT5_lS8_lS9_lS7_lT8_i
    .private_segment_fixed_size: 0
    .sgpr_count:     102
    .sgpr_spill_count: 0
    .symbol:         _ZL26rocblas_hemvn_kernel_upperILb1ELi64ELi4ELi33ELi32ELi16EiPK19rocblas_complex_numIdEPKS3_PS1_EviT6_lT7_lT5_lS8_lS9_lS7_lT8_i.kd
    .uniform_work_group_size: 1
    .uses_dynamic_stack: false
    .vgpr_count:     338
    .vgpr_spill_count: 0
    .wavefront_size: 32
  - .args:
      - .offset:         0
        .size:           4
        .value_kind:     by_value
      - .address_space:  global
        .offset:         8
        .size:           8
        .value_kind:     global_buffer
      - .offset:         16
        .size:           8
        .value_kind:     by_value
      - .address_space:  global
        .offset:         24
        .size:           8
        .value_kind:     global_buffer
      - .offset:         32
        .size:           8
        .value_kind:     by_value
      - .actual_access:  read_only
        .address_space:  global
        .offset:         40
        .size:           8
        .value_kind:     global_buffer
      - .offset:         48
        .size:           8
        .value_kind:     by_value
      - .offset:         56
        .size:           4
        .value_kind:     by_value
      - .offset:         64
        .size:           8
        .value_kind:     by_value
      - .address_space:  global
        .offset:         72
        .size:           8
        .value_kind:     global_buffer
      - .offset:         80
        .size:           4
        .value_kind:     by_value
      - .offset:         88
        .size:           4
        .value_kind:     hidden_block_count_x
      - .offset:         92
        .size:           4
        .value_kind:     hidden_block_count_y
      - .offset:         96
        .size:           4
        .value_kind:     hidden_block_count_z
      - .offset:         100
        .size:           2
        .value_kind:     hidden_group_size_x
      - .offset:         102
        .size:           2
        .value_kind:     hidden_group_size_y
      - .offset:         104
        .size:           2
        .value_kind:     hidden_group_size_z
      - .offset:         106
        .size:           2
        .value_kind:     hidden_remainder_x
      - .offset:         108
        .size:           2
        .value_kind:     hidden_remainder_y
      - .offset:         110
        .size:           2
        .value_kind:     hidden_remainder_z
      - .offset:         128
        .size:           8
        .value_kind:     hidden_global_offset_x
      - .offset:         136
        .size:           8
        .value_kind:     hidden_global_offset_y
      - .offset:         144
        .size:           8
        .value_kind:     hidden_global_offset_z
      - .offset:         152
        .size:           2
        .value_kind:     hidden_grid_dims
    .group_segment_fixed_size: 0
    .kernarg_segment_align: 8
    .kernarg_segment_size: 344
    .language:       OpenCL C
    .language_version:
      - 2
      - 0
    .max_flat_workgroup_size: 64
    .name:           _ZL36rocblas_hemvn_kernel_upper_block_sumILi64EiPK19rocblas_complex_numIdEPKPS1_S1_EviT1_lS7_lT2_lT0_lPT3_i
    .private_segment_fixed_size: 0
    .sgpr_count:     32
    .sgpr_spill_count: 0
    .symbol:         _ZL36rocblas_hemvn_kernel_upper_block_sumILi64EiPK19rocblas_complex_numIdEPKPS1_S1_EviT1_lS7_lT2_lT0_lPT3_i.kd
    .uniform_work_group_size: 1
    .uses_dynamic_stack: false
    .vgpr_count:     24
    .vgpr_spill_count: 0
    .wavefront_size: 32
  - .args:
      - .offset:         0
        .size:           4
        .value_kind:     by_value
      - .offset:         8
        .size:           16
        .value_kind:     by_value
      - .offset:         24
        .size:           8
        .value_kind:     by_value
      - .address_space:  global
        .offset:         32
        .size:           8
        .value_kind:     global_buffer
      - .offset:         40
        .size:           8
        .value_kind:     by_value
      - .offset:         48
        .size:           8
        .value_kind:     by_value
      - .offset:         56
        .size:           8
        .value_kind:     by_value
      - .address_space:  global
        .offset:         64
        .size:           8
        .value_kind:     global_buffer
      - .offset:         72
        .size:           8
        .value_kind:     by_value
      - .offset:         80
        .size:           8
        .value_kind:     by_value
      - .offset:         88
        .size:           8
        .value_kind:     by_value
      - .offset:         96
        .size:           16
        .value_kind:     by_value
      - .offset:         112
        .size:           8
        .value_kind:     by_value
      - .address_space:  global
        .offset:         120
        .size:           8
        .value_kind:     global_buffer
      - .offset:         128
        .size:           4
        .value_kind:     by_value
      - .offset:         136
        .size:           4
        .value_kind:     hidden_block_count_x
      - .offset:         140
        .size:           4
        .value_kind:     hidden_block_count_y
      - .offset:         144
        .size:           4
        .value_kind:     hidden_block_count_z
      - .offset:         148
        .size:           2
        .value_kind:     hidden_group_size_x
      - .offset:         150
        .size:           2
        .value_kind:     hidden_group_size_y
      - .offset:         152
        .size:           2
        .value_kind:     hidden_group_size_z
      - .offset:         154
        .size:           2
        .value_kind:     hidden_remainder_x
      - .offset:         156
        .size:           2
        .value_kind:     hidden_remainder_y
      - .offset:         158
        .size:           2
        .value_kind:     hidden_remainder_z
      - .offset:         176
        .size:           8
        .value_kind:     hidden_global_offset_x
      - .offset:         184
        .size:           8
        .value_kind:     hidden_global_offset_y
      - .offset:         192
        .size:           8
        .value_kind:     hidden_global_offset_z
      - .offset:         200
        .size:           2
        .value_kind:     hidden_grid_dims
    .group_segment_fixed_size: 19200
    .kernarg_segment_align: 8
    .kernarg_segment_size: 392
    .language:       OpenCL C
    .language_version:
      - 2
      - 0
    .max_flat_workgroup_size: 256
    .name:           _ZL26rocblas_hemvn_kernel_upperILb1ELi64ELi4ELi33ELi32ELi16El19rocblas_complex_numIdEPKPKS1_PS1_EviT6_lT7_lT5_lS8_lS9_lS7_lT8_i
    .private_segment_fixed_size: 0
    .sgpr_count:     86
    .sgpr_spill_count: 0
    .symbol:         _ZL26rocblas_hemvn_kernel_upperILb1ELi64ELi4ELi33ELi32ELi16El19rocblas_complex_numIdEPKPKS1_PS1_EviT6_lT7_lT5_lS8_lS9_lS7_lT8_i.kd
    .uniform_work_group_size: 1
    .uses_dynamic_stack: false
    .vgpr_count:     320
    .vgpr_spill_count: 0
    .wavefront_size: 32
  - .args:
      - .offset:         0
        .size:           4
        .value_kind:     by_value
      - .offset:         8
        .size:           16
        .value_kind:     by_value
      - .offset:         24
        .size:           8
        .value_kind:     by_value
      - .offset:         32
        .size:           16
        .value_kind:     by_value
      - .offset:         48
        .size:           8
        .value_kind:     by_value
      - .actual_access:  read_only
        .address_space:  global
        .offset:         56
        .size:           8
        .value_kind:     global_buffer
      - .offset:         64
        .size:           8
        .value_kind:     by_value
      - .offset:         72
        .size:           8
        .value_kind:     by_value
      - .offset:         80
        .size:           8
        .value_kind:     by_value
      - .address_space:  global
        .offset:         88
        .size:           8
        .value_kind:     global_buffer
      - .offset:         96
        .size:           4
        .value_kind:     by_value
      - .offset:         104
        .size:           4
        .value_kind:     hidden_block_count_x
      - .offset:         108
        .size:           4
        .value_kind:     hidden_block_count_y
      - .offset:         112
        .size:           4
        .value_kind:     hidden_block_count_z
      - .offset:         116
        .size:           2
        .value_kind:     hidden_group_size_x
      - .offset:         118
        .size:           2
        .value_kind:     hidden_group_size_y
      - .offset:         120
        .size:           2
        .value_kind:     hidden_group_size_z
      - .offset:         122
        .size:           2
        .value_kind:     hidden_remainder_x
      - .offset:         124
        .size:           2
        .value_kind:     hidden_remainder_y
      - .offset:         126
        .size:           2
        .value_kind:     hidden_remainder_z
      - .offset:         144
        .size:           8
        .value_kind:     hidden_global_offset_x
      - .offset:         152
        .size:           8
        .value_kind:     hidden_global_offset_y
      - .offset:         160
        .size:           8
        .value_kind:     hidden_global_offset_z
      - .offset:         168
        .size:           2
        .value_kind:     hidden_grid_dims
    .group_segment_fixed_size: 0
    .kernarg_segment_align: 8
    .kernarg_segment_size: 360
    .language:       OpenCL C
    .language_version:
      - 2
      - 0
    .max_flat_workgroup_size: 64
    .name:           _ZL36rocblas_hemvn_kernel_upper_block_sumILi64El19rocblas_complex_numIdEPKPS1_S1_EviT1_lS5_lT2_lT0_lPT3_i
    .private_segment_fixed_size: 0
    .sgpr_count:     34
    .sgpr_spill_count: 0
    .symbol:         _ZL36rocblas_hemvn_kernel_upper_block_sumILi64El19rocblas_complex_numIdEPKPS1_S1_EviT1_lS5_lT2_lT0_lPT3_i.kd
    .uniform_work_group_size: 1
    .uses_dynamic_stack: false
    .vgpr_count:     16
    .vgpr_spill_count: 0
    .wavefront_size: 32
  - .args:
      - .offset:         0
        .size:           4
        .value_kind:     by_value
      - .offset:         8
        .size:           16
        .value_kind:     by_value
      - .offset:         24
        .size:           8
        .value_kind:     by_value
      - .address_space:  global
        .offset:         32
        .size:           8
        .value_kind:     global_buffer
      - .offset:         40
        .size:           8
        .value_kind:     by_value
      - .offset:         48
        .size:           4
        .value_kind:     by_value
      - .offset:         56
        .size:           8
        .value_kind:     by_value
      - .address_space:  global
        .offset:         64
        .size:           8
        .value_kind:     global_buffer
      - .offset:         72
        .size:           8
        .value_kind:     by_value
      - .offset:         80
        .size:           4
        .value_kind:     by_value
      - .offset:         88
        .size:           8
        .value_kind:     by_value
      - .offset:         96
        .size:           16
        .value_kind:     by_value
      - .offset:         112
        .size:           8
        .value_kind:     by_value
      - .address_space:  global
        .offset:         120
        .size:           8
        .value_kind:     global_buffer
      - .offset:         128
        .size:           4
        .value_kind:     by_value
      - .offset:         136
        .size:           4
        .value_kind:     hidden_block_count_x
      - .offset:         140
        .size:           4
        .value_kind:     hidden_block_count_y
      - .offset:         144
        .size:           4
        .value_kind:     hidden_block_count_z
      - .offset:         148
        .size:           2
        .value_kind:     hidden_group_size_x
      - .offset:         150
        .size:           2
        .value_kind:     hidden_group_size_y
      - .offset:         152
        .size:           2
        .value_kind:     hidden_group_size_z
      - .offset:         154
        .size:           2
        .value_kind:     hidden_remainder_x
      - .offset:         156
        .size:           2
        .value_kind:     hidden_remainder_y
      - .offset:         158
        .size:           2
        .value_kind:     hidden_remainder_z
      - .offset:         176
        .size:           8
        .value_kind:     hidden_global_offset_x
      - .offset:         184
        .size:           8
        .value_kind:     hidden_global_offset_y
      - .offset:         192
        .size:           8
        .value_kind:     hidden_global_offset_z
      - .offset:         200
        .size:           2
        .value_kind:     hidden_grid_dims
    .group_segment_fixed_size: 19200
    .kernarg_segment_align: 8
    .kernarg_segment_size: 392
    .language:       OpenCL C
    .language_version:
      - 2
      - 0
    .max_flat_workgroup_size: 256
    .name:           _ZL26rocblas_hemvn_kernel_upperILb1ELi64ELi4ELi33ELi32ELi16Ei19rocblas_complex_numIdEPKPKS1_PS1_EviT6_lT7_lT5_lS8_lS9_lS7_lT8_i
    .private_segment_fixed_size: 0
    .sgpr_count:     100
    .sgpr_spill_count: 0
    .symbol:         _ZL26rocblas_hemvn_kernel_upperILb1ELi64ELi4ELi33ELi32ELi16Ei19rocblas_complex_numIdEPKPKS1_PS1_EviT6_lT7_lT5_lS8_lS9_lS7_lT8_i.kd
    .uniform_work_group_size: 1
    .uses_dynamic_stack: false
    .vgpr_count:     338
    .vgpr_spill_count: 0
    .wavefront_size: 32
  - .args:
      - .offset:         0
        .size:           4
        .value_kind:     by_value
      - .offset:         8
        .size:           16
        .value_kind:     by_value
      - .offset:         24
        .size:           8
        .value_kind:     by_value
      - .offset:         32
        .size:           16
        .value_kind:     by_value
      - .offset:         48
        .size:           8
        .value_kind:     by_value
      - .actual_access:  read_only
        .address_space:  global
        .offset:         56
        .size:           8
        .value_kind:     global_buffer
      - .offset:         64
        .size:           8
        .value_kind:     by_value
      - .offset:         72
        .size:           4
        .value_kind:     by_value
      - .offset:         80
        .size:           8
        .value_kind:     by_value
      - .address_space:  global
        .offset:         88
        .size:           8
        .value_kind:     global_buffer
      - .offset:         96
        .size:           4
        .value_kind:     by_value
      - .offset:         104
        .size:           4
        .value_kind:     hidden_block_count_x
      - .offset:         108
        .size:           4
        .value_kind:     hidden_block_count_y
      - .offset:         112
        .size:           4
        .value_kind:     hidden_block_count_z
      - .offset:         116
        .size:           2
        .value_kind:     hidden_group_size_x
      - .offset:         118
        .size:           2
        .value_kind:     hidden_group_size_y
      - .offset:         120
        .size:           2
        .value_kind:     hidden_group_size_z
      - .offset:         122
        .size:           2
        .value_kind:     hidden_remainder_x
      - .offset:         124
        .size:           2
        .value_kind:     hidden_remainder_y
      - .offset:         126
        .size:           2
        .value_kind:     hidden_remainder_z
      - .offset:         144
        .size:           8
        .value_kind:     hidden_global_offset_x
      - .offset:         152
        .size:           8
        .value_kind:     hidden_global_offset_y
      - .offset:         160
        .size:           8
        .value_kind:     hidden_global_offset_z
      - .offset:         168
        .size:           2
        .value_kind:     hidden_grid_dims
    .group_segment_fixed_size: 0
    .kernarg_segment_align: 8
    .kernarg_segment_size: 360
    .language:       OpenCL C
    .language_version:
      - 2
      - 0
    .max_flat_workgroup_size: 64
    .name:           _ZL36rocblas_hemvn_kernel_upper_block_sumILi64Ei19rocblas_complex_numIdEPKPS1_S1_EviT1_lS5_lT2_lT0_lPT3_i
    .private_segment_fixed_size: 0
    .sgpr_count:     34
    .sgpr_spill_count: 0
    .symbol:         _ZL36rocblas_hemvn_kernel_upper_block_sumILi64Ei19rocblas_complex_numIdEPKPS1_S1_EviT1_lS5_lT2_lT0_lPT3_i.kd
    .uniform_work_group_size: 1
    .uses_dynamic_stack: false
    .vgpr_count:     16
    .vgpr_spill_count: 0
    .wavefront_size: 32
  - .args:
      - .offset:         0
        .size:           4
        .value_kind:     by_value
      - .address_space:  global
        .offset:         8
        .size:           8
        .value_kind:     global_buffer
      - .offset:         16
        .size:           8
        .value_kind:     by_value
      - .address_space:  global
        .offset:         24
        .size:           8
        .value_kind:     global_buffer
      - .offset:         32
        .size:           8
        .value_kind:     by_value
      - .offset:         40
        .size:           8
        .value_kind:     by_value
      - .offset:         48
        .size:           8
        .value_kind:     by_value
      - .address_space:  global
        .offset:         56
        .size:           8
        .value_kind:     global_buffer
      - .offset:         64
        .size:           8
        .value_kind:     by_value
      - .offset:         72
        .size:           8
        .value_kind:     by_value
      - .offset:         80
        .size:           8
        .value_kind:     by_value
      - .address_space:  global
        .offset:         88
        .size:           8
        .value_kind:     global_buffer
      - .offset:         96
        .size:           8
        .value_kind:     by_value
      - .address_space:  global
        .offset:         104
        .size:           8
        .value_kind:     global_buffer
      - .offset:         112
        .size:           4
        .value_kind:     by_value
      - .offset:         120
        .size:           4
        .value_kind:     hidden_block_count_x
      - .offset:         124
        .size:           4
        .value_kind:     hidden_block_count_y
      - .offset:         128
        .size:           4
        .value_kind:     hidden_block_count_z
      - .offset:         132
        .size:           2
        .value_kind:     hidden_group_size_x
      - .offset:         134
        .size:           2
        .value_kind:     hidden_group_size_y
      - .offset:         136
        .size:           2
        .value_kind:     hidden_group_size_z
      - .offset:         138
        .size:           2
        .value_kind:     hidden_remainder_x
      - .offset:         140
        .size:           2
        .value_kind:     hidden_remainder_y
      - .offset:         142
        .size:           2
        .value_kind:     hidden_remainder_z
      - .offset:         160
        .size:           8
        .value_kind:     hidden_global_offset_x
      - .offset:         168
        .size:           8
        .value_kind:     hidden_global_offset_y
      - .offset:         176
        .size:           8
        .value_kind:     hidden_global_offset_z
      - .offset:         184
        .size:           2
        .value_kind:     hidden_grid_dims
    .group_segment_fixed_size: 19200
    .kernarg_segment_align: 8
    .kernarg_segment_size: 376
    .language:       OpenCL C
    .language_version:
      - 2
      - 0
    .max_flat_workgroup_size: 256
    .name:           _ZL26rocblas_hemvn_kernel_lowerILb1ELi64ELi4ELi33ELi32ELi16ElPK19rocblas_complex_numIdEPKS3_PS1_EviT6_lT7_lT5_lS8_lS9_lS7_lT8_i
    .private_segment_fixed_size: 0
    .sgpr_count:     92
    .sgpr_spill_count: 0
    .symbol:         _ZL26rocblas_hemvn_kernel_lowerILb1ELi64ELi4ELi33ELi32ELi16ElPK19rocblas_complex_numIdEPKS3_PS1_EviT6_lT7_lT5_lS8_lS9_lS7_lT8_i.kd
    .uniform_work_group_size: 1
    .uses_dynamic_stack: false
    .vgpr_count:     242
    .vgpr_spill_count: 0
    .wavefront_size: 32
  - .args:
      - .offset:         0
        .size:           4
        .value_kind:     by_value
      - .address_space:  global
        .offset:         8
        .size:           8
        .value_kind:     global_buffer
      - .offset:         16
        .size:           8
        .value_kind:     by_value
      - .address_space:  global
        .offset:         24
        .size:           8
        .value_kind:     global_buffer
      - .offset:         32
        .size:           8
        .value_kind:     by_value
      - .actual_access:  read_only
        .address_space:  global
        .offset:         40
        .size:           8
        .value_kind:     global_buffer
      - .offset:         48
        .size:           8
        .value_kind:     by_value
      - .offset:         56
        .size:           8
        .value_kind:     by_value
      - .offset:         64
        .size:           8
        .value_kind:     by_value
      - .actual_access:  read_only
        .address_space:  global
        .offset:         72
        .size:           8
        .value_kind:     global_buffer
      - .offset:         80
        .size:           4
        .value_kind:     by_value
      - .offset:         88
        .size:           4
        .value_kind:     hidden_block_count_x
      - .offset:         92
        .size:           4
        .value_kind:     hidden_block_count_y
      - .offset:         96
        .size:           4
        .value_kind:     hidden_block_count_z
      - .offset:         100
        .size:           2
        .value_kind:     hidden_group_size_x
      - .offset:         102
        .size:           2
        .value_kind:     hidden_group_size_y
      - .offset:         104
        .size:           2
        .value_kind:     hidden_group_size_z
      - .offset:         106
        .size:           2
        .value_kind:     hidden_remainder_x
      - .offset:         108
        .size:           2
        .value_kind:     hidden_remainder_y
      - .offset:         110
        .size:           2
        .value_kind:     hidden_remainder_z
      - .offset:         128
        .size:           8
        .value_kind:     hidden_global_offset_x
      - .offset:         136
        .size:           8
        .value_kind:     hidden_global_offset_y
      - .offset:         144
        .size:           8
        .value_kind:     hidden_global_offset_z
      - .offset:         152
        .size:           2
        .value_kind:     hidden_grid_dims
    .group_segment_fixed_size: 0
    .kernarg_segment_align: 8
    .kernarg_segment_size: 344
    .language:       OpenCL C
    .language_version:
      - 2
      - 0
    .max_flat_workgroup_size: 64
    .name:           _ZL36rocblas_hemvn_kernel_lower_block_sumILi64ElPK19rocblas_complex_numIdEPKPS1_S1_EviT1_lS7_lT2_lT0_lPT3_i
    .private_segment_fixed_size: 0
    .sgpr_count:     32
    .sgpr_spill_count: 0
    .symbol:         _ZL36rocblas_hemvn_kernel_lower_block_sumILi64ElPK19rocblas_complex_numIdEPKPS1_S1_EviT1_lS7_lT2_lT0_lPT3_i.kd
    .uniform_work_group_size: 1
    .uses_dynamic_stack: false
    .vgpr_count:     24
    .vgpr_spill_count: 0
    .wavefront_size: 32
  - .args:
      - .offset:         0
        .size:           4
        .value_kind:     by_value
      - .address_space:  global
        .offset:         8
        .size:           8
        .value_kind:     global_buffer
      - .offset:         16
        .size:           8
        .value_kind:     by_value
      - .address_space:  global
        .offset:         24
        .size:           8
        .value_kind:     global_buffer
      - .offset:         32
        .size:           8
        .value_kind:     by_value
      - .offset:         40
        .size:           4
        .value_kind:     by_value
      - .offset:         48
        .size:           8
        .value_kind:     by_value
      - .address_space:  global
        .offset:         56
        .size:           8
        .value_kind:     global_buffer
      - .offset:         64
        .size:           8
        .value_kind:     by_value
      - .offset:         72
        .size:           4
        .value_kind:     by_value
      - .offset:         80
        .size:           8
        .value_kind:     by_value
      - .address_space:  global
        .offset:         88
        .size:           8
        .value_kind:     global_buffer
      - .offset:         96
        .size:           8
        .value_kind:     by_value
      - .address_space:  global
        .offset:         104
        .size:           8
        .value_kind:     global_buffer
      - .offset:         112
        .size:           4
        .value_kind:     by_value
      - .offset:         120
        .size:           4
        .value_kind:     hidden_block_count_x
      - .offset:         124
        .size:           4
        .value_kind:     hidden_block_count_y
      - .offset:         128
        .size:           4
        .value_kind:     hidden_block_count_z
      - .offset:         132
        .size:           2
        .value_kind:     hidden_group_size_x
      - .offset:         134
        .size:           2
        .value_kind:     hidden_group_size_y
      - .offset:         136
        .size:           2
        .value_kind:     hidden_group_size_z
      - .offset:         138
        .size:           2
        .value_kind:     hidden_remainder_x
      - .offset:         140
        .size:           2
        .value_kind:     hidden_remainder_y
      - .offset:         142
        .size:           2
        .value_kind:     hidden_remainder_z
      - .offset:         160
        .size:           8
        .value_kind:     hidden_global_offset_x
      - .offset:         168
        .size:           8
        .value_kind:     hidden_global_offset_y
      - .offset:         176
        .size:           8
        .value_kind:     hidden_global_offset_z
      - .offset:         184
        .size:           2
        .value_kind:     hidden_grid_dims
    .group_segment_fixed_size: 19200
    .kernarg_segment_align: 8
    .kernarg_segment_size: 376
    .language:       OpenCL C
    .language_version:
      - 2
      - 0
    .max_flat_workgroup_size: 256
    .name:           _ZL26rocblas_hemvn_kernel_lowerILb1ELi64ELi4ELi33ELi32ELi16EiPK19rocblas_complex_numIdEPKS3_PS1_EviT6_lT7_lT5_lS8_lS9_lS7_lT8_i
    .private_segment_fixed_size: 0
    .sgpr_count:     92
    .sgpr_spill_count: 0
    .symbol:         _ZL26rocblas_hemvn_kernel_lowerILb1ELi64ELi4ELi33ELi32ELi16EiPK19rocblas_complex_numIdEPKS3_PS1_EviT6_lT7_lT5_lS8_lS9_lS7_lT8_i.kd
    .uniform_work_group_size: 1
    .uses_dynamic_stack: false
    .vgpr_count:     246
    .vgpr_spill_count: 0
    .wavefront_size: 32
  - .args:
      - .offset:         0
        .size:           4
        .value_kind:     by_value
      - .address_space:  global
        .offset:         8
        .size:           8
        .value_kind:     global_buffer
      - .offset:         16
        .size:           8
        .value_kind:     by_value
      - .address_space:  global
        .offset:         24
        .size:           8
        .value_kind:     global_buffer
      - .offset:         32
        .size:           8
        .value_kind:     by_value
      - .actual_access:  read_only
        .address_space:  global
        .offset:         40
        .size:           8
        .value_kind:     global_buffer
      - .offset:         48
        .size:           8
        .value_kind:     by_value
      - .offset:         56
        .size:           4
        .value_kind:     by_value
      - .offset:         64
        .size:           8
        .value_kind:     by_value
      - .actual_access:  read_only
        .address_space:  global
        .offset:         72
        .size:           8
        .value_kind:     global_buffer
      - .offset:         80
        .size:           4
        .value_kind:     by_value
      - .offset:         88
        .size:           4
        .value_kind:     hidden_block_count_x
      - .offset:         92
        .size:           4
        .value_kind:     hidden_block_count_y
      - .offset:         96
        .size:           4
        .value_kind:     hidden_block_count_z
      - .offset:         100
        .size:           2
        .value_kind:     hidden_group_size_x
      - .offset:         102
        .size:           2
        .value_kind:     hidden_group_size_y
      - .offset:         104
        .size:           2
        .value_kind:     hidden_group_size_z
      - .offset:         106
        .size:           2
        .value_kind:     hidden_remainder_x
      - .offset:         108
        .size:           2
        .value_kind:     hidden_remainder_y
      - .offset:         110
        .size:           2
        .value_kind:     hidden_remainder_z
      - .offset:         128
        .size:           8
        .value_kind:     hidden_global_offset_x
      - .offset:         136
        .size:           8
        .value_kind:     hidden_global_offset_y
      - .offset:         144
        .size:           8
        .value_kind:     hidden_global_offset_z
      - .offset:         152
        .size:           2
        .value_kind:     hidden_grid_dims
    .group_segment_fixed_size: 0
    .kernarg_segment_align: 8
    .kernarg_segment_size: 344
    .language:       OpenCL C
    .language_version:
      - 2
      - 0
    .max_flat_workgroup_size: 64
    .name:           _ZL36rocblas_hemvn_kernel_lower_block_sumILi64EiPK19rocblas_complex_numIdEPKPS1_S1_EviT1_lS7_lT2_lT0_lPT3_i
    .private_segment_fixed_size: 0
    .sgpr_count:     32
    .sgpr_spill_count: 0
    .symbol:         _ZL36rocblas_hemvn_kernel_lower_block_sumILi64EiPK19rocblas_complex_numIdEPKPS1_S1_EviT1_lS7_lT2_lT0_lPT3_i.kd
    .uniform_work_group_size: 1
    .uses_dynamic_stack: false
    .vgpr_count:     24
    .vgpr_spill_count: 0
    .wavefront_size: 32
  - .args:
      - .offset:         0
        .size:           4
        .value_kind:     by_value
      - .offset:         8
        .size:           16
        .value_kind:     by_value
      - .offset:         24
        .size:           8
        .value_kind:     by_value
      - .address_space:  global
        .offset:         32
        .size:           8
        .value_kind:     global_buffer
      - .offset:         40
        .size:           8
        .value_kind:     by_value
      - .offset:         48
        .size:           8
        .value_kind:     by_value
      - .offset:         56
        .size:           8
        .value_kind:     by_value
      - .address_space:  global
        .offset:         64
        .size:           8
        .value_kind:     global_buffer
      - .offset:         72
        .size:           8
        .value_kind:     by_value
      - .offset:         80
        .size:           8
        .value_kind:     by_value
      - .offset:         88
        .size:           8
        .value_kind:     by_value
      - .offset:         96
        .size:           16
        .value_kind:     by_value
      - .offset:         112
        .size:           8
        .value_kind:     by_value
      - .address_space:  global
        .offset:         120
        .size:           8
        .value_kind:     global_buffer
      - .offset:         128
        .size:           4
        .value_kind:     by_value
      - .offset:         136
        .size:           4
        .value_kind:     hidden_block_count_x
      - .offset:         140
        .size:           4
        .value_kind:     hidden_block_count_y
      - .offset:         144
        .size:           4
        .value_kind:     hidden_block_count_z
      - .offset:         148
        .size:           2
        .value_kind:     hidden_group_size_x
      - .offset:         150
        .size:           2
        .value_kind:     hidden_group_size_y
      - .offset:         152
        .size:           2
        .value_kind:     hidden_group_size_z
      - .offset:         154
        .size:           2
        .value_kind:     hidden_remainder_x
      - .offset:         156
        .size:           2
        .value_kind:     hidden_remainder_y
      - .offset:         158
        .size:           2
        .value_kind:     hidden_remainder_z
      - .offset:         176
        .size:           8
        .value_kind:     hidden_global_offset_x
      - .offset:         184
        .size:           8
        .value_kind:     hidden_global_offset_y
      - .offset:         192
        .size:           8
        .value_kind:     hidden_global_offset_z
      - .offset:         200
        .size:           2
        .value_kind:     hidden_grid_dims
    .group_segment_fixed_size: 19200
    .kernarg_segment_align: 8
    .kernarg_segment_size: 392
    .language:       OpenCL C
    .language_version:
      - 2
      - 0
    .max_flat_workgroup_size: 256
    .name:           _ZL26rocblas_hemvn_kernel_lowerILb1ELi64ELi4ELi33ELi32ELi16El19rocblas_complex_numIdEPKPKS1_PS1_EviT6_lT7_lT5_lS8_lS9_lS7_lT8_i
    .private_segment_fixed_size: 0
    .sgpr_count:     86
    .sgpr_spill_count: 0
    .symbol:         _ZL26rocblas_hemvn_kernel_lowerILb1ELi64ELi4ELi33ELi32ELi16El19rocblas_complex_numIdEPKPKS1_PS1_EviT6_lT7_lT5_lS8_lS9_lS7_lT8_i.kd
    .uniform_work_group_size: 1
    .uses_dynamic_stack: false
    .vgpr_count:     242
    .vgpr_spill_count: 0
    .wavefront_size: 32
  - .args:
      - .offset:         0
        .size:           4
        .value_kind:     by_value
      - .offset:         8
        .size:           16
        .value_kind:     by_value
      - .offset:         24
        .size:           8
        .value_kind:     by_value
      - .offset:         32
        .size:           16
        .value_kind:     by_value
      - .offset:         48
        .size:           8
        .value_kind:     by_value
      - .actual_access:  read_only
        .address_space:  global
        .offset:         56
        .size:           8
        .value_kind:     global_buffer
      - .offset:         64
        .size:           8
        .value_kind:     by_value
      - .offset:         72
        .size:           8
        .value_kind:     by_value
      - .offset:         80
        .size:           8
        .value_kind:     by_value
      - .actual_access:  read_only
        .address_space:  global
        .offset:         88
        .size:           8
        .value_kind:     global_buffer
      - .offset:         96
        .size:           4
        .value_kind:     by_value
      - .offset:         104
        .size:           4
        .value_kind:     hidden_block_count_x
      - .offset:         108
        .size:           4
        .value_kind:     hidden_block_count_y
      - .offset:         112
        .size:           4
        .value_kind:     hidden_block_count_z
      - .offset:         116
        .size:           2
        .value_kind:     hidden_group_size_x
      - .offset:         118
        .size:           2
        .value_kind:     hidden_group_size_y
      - .offset:         120
        .size:           2
        .value_kind:     hidden_group_size_z
      - .offset:         122
        .size:           2
        .value_kind:     hidden_remainder_x
      - .offset:         124
        .size:           2
        .value_kind:     hidden_remainder_y
      - .offset:         126
        .size:           2
        .value_kind:     hidden_remainder_z
      - .offset:         144
        .size:           8
        .value_kind:     hidden_global_offset_x
      - .offset:         152
        .size:           8
        .value_kind:     hidden_global_offset_y
      - .offset:         160
        .size:           8
        .value_kind:     hidden_global_offset_z
      - .offset:         168
        .size:           2
        .value_kind:     hidden_grid_dims
    .group_segment_fixed_size: 0
    .kernarg_segment_align: 8
    .kernarg_segment_size: 360
    .language:       OpenCL C
    .language_version:
      - 2
      - 0
    .max_flat_workgroup_size: 64
    .name:           _ZL36rocblas_hemvn_kernel_lower_block_sumILi64El19rocblas_complex_numIdEPKPS1_S1_EviT1_lS5_lT2_lT0_lPT3_i
    .private_segment_fixed_size: 0
    .sgpr_count:     34
    .sgpr_spill_count: 0
    .symbol:         _ZL36rocblas_hemvn_kernel_lower_block_sumILi64El19rocblas_complex_numIdEPKPS1_S1_EviT1_lS5_lT2_lT0_lPT3_i.kd
    .uniform_work_group_size: 1
    .uses_dynamic_stack: false
    .vgpr_count:     16
    .vgpr_spill_count: 0
    .wavefront_size: 32
  - .args:
      - .offset:         0
        .size:           4
        .value_kind:     by_value
      - .offset:         8
        .size:           16
        .value_kind:     by_value
      - .offset:         24
        .size:           8
        .value_kind:     by_value
      - .address_space:  global
        .offset:         32
        .size:           8
        .value_kind:     global_buffer
      - .offset:         40
        .size:           8
        .value_kind:     by_value
      - .offset:         48
        .size:           4
        .value_kind:     by_value
      - .offset:         56
        .size:           8
        .value_kind:     by_value
      - .address_space:  global
        .offset:         64
        .size:           8
        .value_kind:     global_buffer
      - .offset:         72
        .size:           8
        .value_kind:     by_value
      - .offset:         80
        .size:           4
        .value_kind:     by_value
      - .offset:         88
        .size:           8
        .value_kind:     by_value
      - .offset:         96
        .size:           16
        .value_kind:     by_value
      - .offset:         112
        .size:           8
        .value_kind:     by_value
      - .address_space:  global
        .offset:         120
        .size:           8
        .value_kind:     global_buffer
      - .offset:         128
        .size:           4
        .value_kind:     by_value
      - .offset:         136
        .size:           4
        .value_kind:     hidden_block_count_x
      - .offset:         140
        .size:           4
        .value_kind:     hidden_block_count_y
      - .offset:         144
        .size:           4
        .value_kind:     hidden_block_count_z
      - .offset:         148
        .size:           2
        .value_kind:     hidden_group_size_x
      - .offset:         150
        .size:           2
        .value_kind:     hidden_group_size_y
      - .offset:         152
        .size:           2
        .value_kind:     hidden_group_size_z
      - .offset:         154
        .size:           2
        .value_kind:     hidden_remainder_x
      - .offset:         156
        .size:           2
        .value_kind:     hidden_remainder_y
      - .offset:         158
        .size:           2
        .value_kind:     hidden_remainder_z
      - .offset:         176
        .size:           8
        .value_kind:     hidden_global_offset_x
      - .offset:         184
        .size:           8
        .value_kind:     hidden_global_offset_y
      - .offset:         192
        .size:           8
        .value_kind:     hidden_global_offset_z
      - .offset:         200
        .size:           2
        .value_kind:     hidden_grid_dims
    .group_segment_fixed_size: 19200
    .kernarg_segment_align: 8
    .kernarg_segment_size: 392
    .language:       OpenCL C
    .language_version:
      - 2
      - 0
    .max_flat_workgroup_size: 256
    .name:           _ZL26rocblas_hemvn_kernel_lowerILb1ELi64ELi4ELi33ELi32ELi16Ei19rocblas_complex_numIdEPKPKS1_PS1_EviT6_lT7_lT5_lS8_lS9_lS7_lT8_i
    .private_segment_fixed_size: 0
    .sgpr_count:     86
    .sgpr_spill_count: 0
    .symbol:         _ZL26rocblas_hemvn_kernel_lowerILb1ELi64ELi4ELi33ELi32ELi16Ei19rocblas_complex_numIdEPKPKS1_PS1_EviT6_lT7_lT5_lS8_lS9_lS7_lT8_i.kd
    .uniform_work_group_size: 1
    .uses_dynamic_stack: false
    .vgpr_count:     246
    .vgpr_spill_count: 0
    .wavefront_size: 32
  - .args:
      - .offset:         0
        .size:           4
        .value_kind:     by_value
      - .offset:         8
        .size:           16
        .value_kind:     by_value
      - .offset:         24
        .size:           8
        .value_kind:     by_value
      - .offset:         32
        .size:           16
        .value_kind:     by_value
      - .offset:         48
        .size:           8
        .value_kind:     by_value
      - .actual_access:  read_only
        .address_space:  global
        .offset:         56
        .size:           8
        .value_kind:     global_buffer
      - .offset:         64
        .size:           8
        .value_kind:     by_value
      - .offset:         72
        .size:           4
        .value_kind:     by_value
      - .offset:         80
        .size:           8
        .value_kind:     by_value
      - .actual_access:  read_only
        .address_space:  global
        .offset:         88
        .size:           8
        .value_kind:     global_buffer
      - .offset:         96
        .size:           4
        .value_kind:     by_value
      - .offset:         104
        .size:           4
        .value_kind:     hidden_block_count_x
      - .offset:         108
        .size:           4
        .value_kind:     hidden_block_count_y
      - .offset:         112
        .size:           4
        .value_kind:     hidden_block_count_z
      - .offset:         116
        .size:           2
        .value_kind:     hidden_group_size_x
      - .offset:         118
        .size:           2
        .value_kind:     hidden_group_size_y
      - .offset:         120
        .size:           2
        .value_kind:     hidden_group_size_z
      - .offset:         122
        .size:           2
        .value_kind:     hidden_remainder_x
      - .offset:         124
        .size:           2
        .value_kind:     hidden_remainder_y
      - .offset:         126
        .size:           2
        .value_kind:     hidden_remainder_z
      - .offset:         144
        .size:           8
        .value_kind:     hidden_global_offset_x
      - .offset:         152
        .size:           8
        .value_kind:     hidden_global_offset_y
      - .offset:         160
        .size:           8
        .value_kind:     hidden_global_offset_z
      - .offset:         168
        .size:           2
        .value_kind:     hidden_grid_dims
    .group_segment_fixed_size: 0
    .kernarg_segment_align: 8
    .kernarg_segment_size: 360
    .language:       OpenCL C
    .language_version:
      - 2
      - 0
    .max_flat_workgroup_size: 64
    .name:           _ZL36rocblas_hemvn_kernel_lower_block_sumILi64Ei19rocblas_complex_numIdEPKPS1_S1_EviT1_lS5_lT2_lT0_lPT3_i
    .private_segment_fixed_size: 0
    .sgpr_count:     34
    .sgpr_spill_count: 0
    .symbol:         _ZL36rocblas_hemvn_kernel_lower_block_sumILi64Ei19rocblas_complex_numIdEPKPS1_S1_EviT1_lS5_lT2_lT0_lPT3_i.kd
    .uniform_work_group_size: 1
    .uses_dynamic_stack: false
    .vgpr_count:     16
    .vgpr_spill_count: 0
    .wavefront_size: 32
  - .args:
      - .offset:         0
        .size:           1
        .value_kind:     by_value
      - .offset:         4
        .size:           4
        .value_kind:     by_value
      - .offset:         8
        .size:           8
        .value_kind:     by_value
      - .offset:         16
        .size:           8
        .value_kind:     by_value
      - .address_space:  global
        .offset:         24
        .size:           8
        .value_kind:     global_buffer
      - .offset:         32
        .size:           8
        .value_kind:     by_value
      - .offset:         40
        .size:           8
        .value_kind:     by_value
      - .offset:         48
        .size:           8
        .value_kind:     by_value
      - .address_space:  global
        .offset:         56
        .size:           8
        .value_kind:     global_buffer
      - .offset:         64
        .size:           8
        .value_kind:     by_value
      - .offset:         72
        .size:           8
        .value_kind:     by_value
      - .offset:         80
        .size:           8
        .value_kind:     by_value
      - .offset:         88
        .size:           8
        .value_kind:     by_value
      - .offset:         96
        .size:           8
        .value_kind:     by_value
      - .address_space:  global
        .offset:         104
        .size:           8
        .value_kind:     global_buffer
      - .offset:         112
        .size:           8
        .value_kind:     by_value
      - .offset:         120
        .size:           8
        .value_kind:     by_value
      - .offset:         128
        .size:           8
        .value_kind:     by_value
      - .offset:         136
        .size:           4
        .value_kind:     by_value
    .group_segment_fixed_size: 7296
    .kernarg_segment_align: 8
    .kernarg_segment_size: 140
    .language:       OpenCL C
    .language_version:
      - 2
      - 0
    .max_flat_workgroup_size: 128
    .name:           _ZL50rocblas_symv_kernel_upper_double_buffered_diagonalILi32ELi4E24rocblas_internal_val_ptrIfEPKfPfEvbiT1_lT2_lllS6_lllS5_lT3_llli
    .private_segment_fixed_size: 0
    .sgpr_count:     42
    .sgpr_spill_count: 0
    .symbol:         _ZL50rocblas_symv_kernel_upper_double_buffered_diagonalILi32ELi4E24rocblas_internal_val_ptrIfEPKfPfEvbiT1_lT2_lllS6_lllS5_lT3_llli.kd
    .uniform_work_group_size: 1
    .uses_dynamic_stack: false
    .vgpr_count:     38
    .vgpr_spill_count: 0
    .wavefront_size: 32
  - .args:
      - .offset:         0
        .size:           1
        .value_kind:     by_value
      - .offset:         4
        .size:           4
        .value_kind:     by_value
      - .offset:         8
        .size:           8
        .value_kind:     by_value
      - .offset:         16
        .size:           8
        .value_kind:     by_value
      - .address_space:  global
        .offset:         24
        .size:           8
        .value_kind:     global_buffer
      - .offset:         32
        .size:           8
        .value_kind:     by_value
      - .offset:         40
        .size:           8
        .value_kind:     by_value
      - .offset:         48
        .size:           8
        .value_kind:     by_value
      - .address_space:  global
        .offset:         56
        .size:           8
        .value_kind:     global_buffer
      - .offset:         64
        .size:           8
        .value_kind:     by_value
      - .offset:         72
        .size:           8
        .value_kind:     by_value
      - .offset:         80
        .size:           8
        .value_kind:     by_value
      - .address_space:  global
        .offset:         88
        .size:           8
        .value_kind:     global_buffer
      - .offset:         96
        .size:           8
        .value_kind:     by_value
      - .offset:         104
        .size:           8
        .value_kind:     by_value
      - .offset:         112
        .size:           8
        .value_kind:     by_value
      - .offset:         120
        .size:           4
        .value_kind:     by_value
      - .offset:         128
        .size:           4
        .value_kind:     hidden_block_count_x
      - .offset:         132
        .size:           4
        .value_kind:     hidden_block_count_y
      - .offset:         136
        .size:           4
        .value_kind:     hidden_block_count_z
      - .offset:         140
        .size:           2
        .value_kind:     hidden_group_size_x
      - .offset:         142
        .size:           2
        .value_kind:     hidden_group_size_y
      - .offset:         144
        .size:           2
        .value_kind:     hidden_group_size_z
      - .offset:         146
        .size:           2
        .value_kind:     hidden_remainder_x
      - .offset:         148
        .size:           2
        .value_kind:     hidden_remainder_y
      - .offset:         150
        .size:           2
        .value_kind:     hidden_remainder_z
      - .offset:         168
        .size:           8
        .value_kind:     hidden_global_offset_x
      - .offset:         176
        .size:           8
        .value_kind:     hidden_global_offset_y
      - .offset:         184
        .size:           8
        .value_kind:     hidden_global_offset_z
      - .offset:         192
        .size:           2
        .value_kind:     hidden_grid_dims
    .group_segment_fixed_size: 4224
    .kernarg_segment_align: 8
    .kernarg_segment_size: 384
    .language:       OpenCL C
    .language_version:
      - 2
      - 0
    .max_flat_workgroup_size: 128
    .name:           _ZL54rocblas_symv_kernel_upper_double_buffered_non_diagonalILi32ELi4ELi4E24rocblas_internal_val_ptrIfEPKfPfEvbiT2_lT3_lllS6_lllT4_llli
    .private_segment_fixed_size: 0
    .sgpr_count:     73
    .sgpr_spill_count: 0
    .symbol:         _ZL54rocblas_symv_kernel_upper_double_buffered_non_diagonalILi32ELi4ELi4E24rocblas_internal_val_ptrIfEPKfPfEvbiT2_lT3_lllS6_lllT4_llli.kd
    .uniform_work_group_size: 1
    .uses_dynamic_stack: false
    .vgpr_count:     88
    .vgpr_spill_count: 0
    .wavefront_size: 32
  - .args:
      - .offset:         0
        .size:           1
        .value_kind:     by_value
      - .offset:         4
        .size:           4
        .value_kind:     by_value
      - .offset:         8
        .size:           8
        .value_kind:     by_value
      - .offset:         16
        .size:           8
        .value_kind:     by_value
      - .address_space:  global
        .offset:         24
        .size:           8
        .value_kind:     global_buffer
      - .offset:         32
        .size:           8
        .value_kind:     by_value
      - .offset:         40
        .size:           8
        .value_kind:     by_value
      - .offset:         48
        .size:           8
        .value_kind:     by_value
      - .address_space:  global
        .offset:         56
        .size:           8
        .value_kind:     global_buffer
      - .offset:         64
        .size:           8
        .value_kind:     by_value
      - .offset:         72
        .size:           8
        .value_kind:     by_value
      - .offset:         80
        .size:           8
        .value_kind:     by_value
      - .offset:         88
        .size:           8
        .value_kind:     by_value
      - .offset:         96
        .size:           8
        .value_kind:     by_value
      - .address_space:  global
        .offset:         104
        .size:           8
        .value_kind:     global_buffer
      - .offset:         112
        .size:           8
        .value_kind:     by_value
      - .offset:         120
        .size:           8
        .value_kind:     by_value
      - .offset:         128
        .size:           8
        .value_kind:     by_value
      - .offset:         136
        .size:           4
        .value_kind:     by_value
      - .offset:         140
        .size:           4
        .value_kind:     by_value
      - .offset:         144
        .size:           4
        .value_kind:     hidden_block_count_x
      - .offset:         148
        .size:           4
        .value_kind:     hidden_block_count_y
      - .offset:         152
        .size:           4
        .value_kind:     hidden_block_count_z
      - .offset:         156
        .size:           2
        .value_kind:     hidden_group_size_x
      - .offset:         158
        .size:           2
        .value_kind:     hidden_group_size_y
      - .offset:         160
        .size:           2
        .value_kind:     hidden_group_size_z
      - .offset:         162
        .size:           2
        .value_kind:     hidden_remainder_x
      - .offset:         164
        .size:           2
        .value_kind:     hidden_remainder_y
      - .offset:         166
        .size:           2
        .value_kind:     hidden_remainder_z
      - .offset:         184
        .size:           8
        .value_kind:     hidden_global_offset_x
      - .offset:         192
        .size:           8
        .value_kind:     hidden_global_offset_y
      - .offset:         200
        .size:           8
        .value_kind:     hidden_global_offset_z
      - .offset:         208
        .size:           2
        .value_kind:     hidden_grid_dims
    .group_segment_fixed_size: 10368
    .kernarg_segment_align: 8
    .kernarg_segment_size: 400
    .language:       OpenCL C
    .language_version:
      - 2
      - 0
    .max_flat_workgroup_size: 256
    .name:           _ZL58rocblas_symv_kernel_upper_double_buffered_diagonal_genericILi32ELi8E24rocblas_internal_val_ptrIfEPKfPfEvbiT1_lT2_lllS6_lllS5_lT3_lllii
    .private_segment_fixed_size: 0
    .sgpr_count:     60
    .sgpr_spill_count: 0
    .symbol:         _ZL58rocblas_symv_kernel_upper_double_buffered_diagonal_genericILi32ELi8E24rocblas_internal_val_ptrIfEPKfPfEvbiT1_lT2_lllS6_lllS5_lT3_lllii.kd
    .uniform_work_group_size: 1
    .uses_dynamic_stack: false
    .vgpr_count:     36
    .vgpr_spill_count: 0
    .wavefront_size: 32
  - .args:
      - .offset:         0
        .size:           1
        .value_kind:     by_value
      - .offset:         4
        .size:           4
        .value_kind:     by_value
      - .offset:         8
        .size:           8
        .value_kind:     by_value
      - .offset:         16
        .size:           8
        .value_kind:     by_value
      - .address_space:  global
        .offset:         24
        .size:           8
        .value_kind:     global_buffer
      - .offset:         32
        .size:           8
        .value_kind:     by_value
      - .offset:         40
        .size:           8
        .value_kind:     by_value
      - .offset:         48
        .size:           8
        .value_kind:     by_value
      - .address_space:  global
        .offset:         56
        .size:           8
        .value_kind:     global_buffer
      - .offset:         64
        .size:           8
        .value_kind:     by_value
      - .offset:         72
        .size:           8
        .value_kind:     by_value
      - .offset:         80
        .size:           8
        .value_kind:     by_value
      - .address_space:  global
        .offset:         88
        .size:           8
        .value_kind:     global_buffer
      - .offset:         96
        .size:           8
        .value_kind:     by_value
      - .offset:         104
        .size:           8
        .value_kind:     by_value
      - .offset:         112
        .size:           8
        .value_kind:     by_value
      - .offset:         120
        .size:           4
        .value_kind:     by_value
      - .offset:         124
        .size:           4
        .value_kind:     by_value
      - .offset:         128
        .size:           4
        .value_kind:     hidden_block_count_x
      - .offset:         132
        .size:           4
        .value_kind:     hidden_block_count_y
      - .offset:         136
        .size:           4
        .value_kind:     hidden_block_count_z
      - .offset:         140
        .size:           2
        .value_kind:     hidden_group_size_x
      - .offset:         142
        .size:           2
        .value_kind:     hidden_group_size_y
      - .offset:         144
        .size:           2
        .value_kind:     hidden_group_size_z
      - .offset:         146
        .size:           2
        .value_kind:     hidden_remainder_x
      - .offset:         148
        .size:           2
        .value_kind:     hidden_remainder_y
      - .offset:         150
        .size:           2
        .value_kind:     hidden_remainder_z
      - .offset:         168
        .size:           8
        .value_kind:     hidden_global_offset_x
      - .offset:         176
        .size:           8
        .value_kind:     hidden_global_offset_y
      - .offset:         184
        .size:           8
        .value_kind:     hidden_global_offset_z
      - .offset:         192
        .size:           2
        .value_kind:     hidden_grid_dims
    .group_segment_fixed_size: 6272
    .kernarg_segment_align: 8
    .kernarg_segment_size: 384
    .language:       OpenCL C
    .language_version:
      - 2
      - 0
    .max_flat_workgroup_size: 256
    .name:           _ZL62rocblas_symv_kernel_upper_double_buffered_non_diagonal_genericILi32ELi8ELi2ELi0E24rocblas_internal_val_ptrIfEPKfPfEvbiT3_lT4_lllS6_lllT5_lllii
    .private_segment_fixed_size: 0
    .sgpr_count:     75
    .sgpr_spill_count: 0
    .symbol:         _ZL62rocblas_symv_kernel_upper_double_buffered_non_diagonal_genericILi32ELi8ELi2ELi0E24rocblas_internal_val_ptrIfEPKfPfEvbiT3_lT4_lllS6_lllT5_lllii.kd
    .uniform_work_group_size: 1
    .uses_dynamic_stack: false
    .vgpr_count:     72
    .vgpr_spill_count: 0
    .wavefront_size: 32
  - .args:
      - .offset:         0
        .size:           1
        .value_kind:     by_value
      - .offset:         4
        .size:           4
        .value_kind:     by_value
      - .offset:         8
        .size:           8
        .value_kind:     by_value
      - .offset:         16
        .size:           8
        .value_kind:     by_value
      - .address_space:  global
        .offset:         24
        .size:           8
        .value_kind:     global_buffer
      - .offset:         32
        .size:           8
        .value_kind:     by_value
      - .offset:         40
        .size:           8
        .value_kind:     by_value
      - .offset:         48
        .size:           8
        .value_kind:     by_value
      - .address_space:  global
        .offset:         56
        .size:           8
        .value_kind:     global_buffer
      - .offset:         64
        .size:           8
        .value_kind:     by_value
      - .offset:         72
        .size:           8
        .value_kind:     by_value
      - .offset:         80
        .size:           8
        .value_kind:     by_value
      - .address_space:  global
        .offset:         88
        .size:           8
        .value_kind:     global_buffer
      - .offset:         96
        .size:           8
        .value_kind:     by_value
      - .offset:         104
        .size:           8
        .value_kind:     by_value
      - .offset:         112
        .size:           8
        .value_kind:     by_value
      - .offset:         120
        .size:           4
        .value_kind:     by_value
      - .offset:         124
        .size:           4
        .value_kind:     by_value
      - .offset:         128
        .size:           4
        .value_kind:     hidden_block_count_x
      - .offset:         132
        .size:           4
        .value_kind:     hidden_block_count_y
      - .offset:         136
        .size:           4
        .value_kind:     hidden_block_count_z
      - .offset:         140
        .size:           2
        .value_kind:     hidden_group_size_x
      - .offset:         142
        .size:           2
        .value_kind:     hidden_group_size_y
      - .offset:         144
        .size:           2
        .value_kind:     hidden_group_size_z
      - .offset:         146
        .size:           2
        .value_kind:     hidden_remainder_x
      - .offset:         148
        .size:           2
        .value_kind:     hidden_remainder_y
      - .offset:         150
        .size:           2
        .value_kind:     hidden_remainder_z
      - .offset:         168
        .size:           8
        .value_kind:     hidden_global_offset_x
      - .offset:         176
        .size:           8
        .value_kind:     hidden_global_offset_y
      - .offset:         184
        .size:           8
        .value_kind:     hidden_global_offset_z
      - .offset:         192
        .size:           2
        .value_kind:     hidden_grid_dims
    .group_segment_fixed_size: 6272
    .kernarg_segment_align: 8
    .kernarg_segment_size: 384
    .language:       OpenCL C
    .language_version:
      - 2
      - 0
    .max_flat_workgroup_size: 256
    .name:           _ZL62rocblas_symv_kernel_upper_double_buffered_non_diagonal_genericILi32ELi8ELi2ELi1E24rocblas_internal_val_ptrIfEPKfPfEvbiT3_lT4_lllS6_lllT5_lllii
    .private_segment_fixed_size: 0
    .sgpr_count:     73
    .sgpr_spill_count: 0
    .symbol:         _ZL62rocblas_symv_kernel_upper_double_buffered_non_diagonal_genericILi32ELi8ELi2ELi1E24rocblas_internal_val_ptrIfEPKfPfEvbiT3_lT4_lllS6_lllT5_lllii.kd
    .uniform_work_group_size: 1
    .uses_dynamic_stack: false
    .vgpr_count:     76
    .vgpr_spill_count: 0
    .wavefront_size: 32
  - .args:
      - .offset:         0
        .size:           4
        .value_kind:     by_value
      - .address_space:  global
        .offset:         8
        .size:           8
        .value_kind:     global_buffer
      - .offset:         16
        .size:           8
        .value_kind:     by_value
      - .address_space:  global
        .offset:         24
        .size:           8
        .value_kind:     global_buffer
      - .offset:         32
        .size:           8
        .value_kind:     by_value
      - .offset:         40
        .size:           8
        .value_kind:     by_value
      - .offset:         48
        .size:           8
        .value_kind:     by_value
      - .address_space:  global
        .offset:         56
        .size:           8
        .value_kind:     global_buffer
      - .offset:         64
        .size:           8
        .value_kind:     by_value
      - .offset:         72
        .size:           8
        .value_kind:     by_value
      - .offset:         80
        .size:           8
        .value_kind:     by_value
      - .address_space:  global
        .offset:         88
        .size:           8
        .value_kind:     global_buffer
      - .offset:         96
        .size:           8
        .value_kind:     by_value
      - .address_space:  global
        .offset:         104
        .size:           8
        .value_kind:     global_buffer
      - .offset:         112
        .size:           4
        .value_kind:     by_value
      - .offset:         120
        .size:           4
        .value_kind:     hidden_block_count_x
      - .offset:         124
        .size:           4
        .value_kind:     hidden_block_count_y
      - .offset:         128
        .size:           4
        .value_kind:     hidden_block_count_z
      - .offset:         132
        .size:           2
        .value_kind:     hidden_group_size_x
      - .offset:         134
        .size:           2
        .value_kind:     hidden_group_size_y
      - .offset:         136
        .size:           2
        .value_kind:     hidden_group_size_z
      - .offset:         138
        .size:           2
        .value_kind:     hidden_remainder_x
      - .offset:         140
        .size:           2
        .value_kind:     hidden_remainder_y
      - .offset:         142
        .size:           2
        .value_kind:     hidden_remainder_z
      - .offset:         160
        .size:           8
        .value_kind:     hidden_global_offset_x
      - .offset:         168
        .size:           8
        .value_kind:     hidden_global_offset_y
      - .offset:         176
        .size:           8
        .value_kind:     hidden_global_offset_z
      - .offset:         184
        .size:           2
        .value_kind:     hidden_grid_dims
    .group_segment_fixed_size: 4800
    .kernarg_segment_align: 8
    .kernarg_segment_size: 376
    .language:       OpenCL C
    .language_version:
      - 2
      - 0
    .max_flat_workgroup_size: 256
    .name:           _ZL26rocblas_hemvn_kernel_upperILb0ELi64ELi4ELi33ELi32ELi16ElPKfS1_PfEviT6_lT7_lT5_lS4_lS5_lS3_lT8_i
    .private_segment_fixed_size: 0
    .sgpr_count:     80
    .sgpr_spill_count: 0
    .symbol:         _ZL26rocblas_hemvn_kernel_upperILb0ELi64ELi4ELi33ELi32ELi16ElPKfS1_PfEviT6_lT7_lT5_lS4_lS5_lS3_lT8_i.kd
    .uniform_work_group_size: 1
    .uses_dynamic_stack: false
    .vgpr_count:     144
    .vgpr_spill_count: 0
    .wavefront_size: 32
  - .args:
      - .offset:         0
        .size:           4
        .value_kind:     by_value
      - .address_space:  global
        .offset:         8
        .size:           8
        .value_kind:     global_buffer
      - .offset:         16
        .size:           8
        .value_kind:     by_value
      - .address_space:  global
        .offset:         24
        .size:           8
        .value_kind:     global_buffer
      - .offset:         32
        .size:           8
        .value_kind:     by_value
      - .address_space:  global
        .offset:         40
        .size:           8
        .value_kind:     global_buffer
      - .offset:         48
        .size:           8
        .value_kind:     by_value
      - .offset:         56
        .size:           8
        .value_kind:     by_value
      - .offset:         64
        .size:           8
        .value_kind:     by_value
      - .address_space:  global
        .offset:         72
        .size:           8
        .value_kind:     global_buffer
      - .offset:         80
        .size:           4
        .value_kind:     by_value
      - .offset:         88
        .size:           4
        .value_kind:     hidden_block_count_x
      - .offset:         92
        .size:           4
        .value_kind:     hidden_block_count_y
      - .offset:         96
        .size:           4
        .value_kind:     hidden_block_count_z
      - .offset:         100
        .size:           2
        .value_kind:     hidden_group_size_x
      - .offset:         102
        .size:           2
        .value_kind:     hidden_group_size_y
      - .offset:         104
        .size:           2
        .value_kind:     hidden_group_size_z
      - .offset:         106
        .size:           2
        .value_kind:     hidden_remainder_x
      - .offset:         108
        .size:           2
        .value_kind:     hidden_remainder_y
      - .offset:         110
        .size:           2
        .value_kind:     hidden_remainder_z
      - .offset:         128
        .size:           8
        .value_kind:     hidden_global_offset_x
      - .offset:         136
        .size:           8
        .value_kind:     hidden_global_offset_y
      - .offset:         144
        .size:           8
        .value_kind:     hidden_global_offset_z
      - .offset:         152
        .size:           2
        .value_kind:     hidden_grid_dims
    .group_segment_fixed_size: 0
    .kernarg_segment_align: 8
    .kernarg_segment_size: 344
    .language:       OpenCL C
    .language_version:
      - 2
      - 0
    .max_flat_workgroup_size: 64
    .name:           _ZL36rocblas_hemvn_kernel_upper_block_sumILi64ElPKfPffEviT1_lS3_lT2_lT0_lPT3_i
    .private_segment_fixed_size: 0
    .sgpr_count:     32
    .sgpr_spill_count: 0
    .symbol:         _ZL36rocblas_hemvn_kernel_upper_block_sumILi64ElPKfPffEviT1_lS3_lT2_lT0_lPT3_i.kd
    .uniform_work_group_size: 1
    .uses_dynamic_stack: false
    .vgpr_count:     8
    .vgpr_spill_count: 0
    .wavefront_size: 32
  - .args:
      - .offset:         0
        .size:           4
        .value_kind:     by_value
      - .address_space:  global
        .offset:         8
        .size:           8
        .value_kind:     global_buffer
      - .offset:         16
        .size:           8
        .value_kind:     by_value
      - .address_space:  global
        .offset:         24
        .size:           8
        .value_kind:     global_buffer
      - .offset:         32
        .size:           8
        .value_kind:     by_value
      - .offset:         40
        .size:           4
        .value_kind:     by_value
      - .offset:         48
        .size:           8
        .value_kind:     by_value
      - .address_space:  global
        .offset:         56
        .size:           8
        .value_kind:     global_buffer
      - .offset:         64
        .size:           8
        .value_kind:     by_value
      - .offset:         72
        .size:           4
        .value_kind:     by_value
      - .offset:         80
        .size:           8
        .value_kind:     by_value
      - .address_space:  global
        .offset:         88
        .size:           8
        .value_kind:     global_buffer
      - .offset:         96
        .size:           8
        .value_kind:     by_value
      - .address_space:  global
        .offset:         104
        .size:           8
        .value_kind:     global_buffer
      - .offset:         112
        .size:           4
        .value_kind:     by_value
      - .offset:         120
        .size:           4
        .value_kind:     hidden_block_count_x
      - .offset:         124
        .size:           4
        .value_kind:     hidden_block_count_y
      - .offset:         128
        .size:           4
        .value_kind:     hidden_block_count_z
      - .offset:         132
        .size:           2
        .value_kind:     hidden_group_size_x
      - .offset:         134
        .size:           2
        .value_kind:     hidden_group_size_y
      - .offset:         136
        .size:           2
        .value_kind:     hidden_group_size_z
      - .offset:         138
        .size:           2
        .value_kind:     hidden_remainder_x
      - .offset:         140
        .size:           2
        .value_kind:     hidden_remainder_y
      - .offset:         142
        .size:           2
        .value_kind:     hidden_remainder_z
      - .offset:         160
        .size:           8
        .value_kind:     hidden_global_offset_x
      - .offset:         168
        .size:           8
        .value_kind:     hidden_global_offset_y
      - .offset:         176
        .size:           8
        .value_kind:     hidden_global_offset_z
      - .offset:         184
        .size:           2
        .value_kind:     hidden_grid_dims
    .group_segment_fixed_size: 4800
    .kernarg_segment_align: 8
    .kernarg_segment_size: 376
    .language:       OpenCL C
    .language_version:
      - 2
      - 0
    .max_flat_workgroup_size: 256
    .name:           _ZL26rocblas_hemvn_kernel_upperILb0ELi64ELi4ELi33ELi32ELi16EiPKfS1_PfEviT6_lT7_lT5_lS4_lS5_lS3_lT8_i
    .private_segment_fixed_size: 0
    .sgpr_count:     106
    .sgpr_spill_count: 0
    .symbol:         _ZL26rocblas_hemvn_kernel_upperILb0ELi64ELi4ELi33ELi32ELi16EiPKfS1_PfEviT6_lT7_lT5_lS4_lS5_lS3_lT8_i.kd
    .uniform_work_group_size: 1
    .uses_dynamic_stack: false
    .vgpr_count:     172
    .vgpr_spill_count: 0
    .wavefront_size: 32
  - .args:
      - .offset:         0
        .size:           4
        .value_kind:     by_value
      - .address_space:  global
        .offset:         8
        .size:           8
        .value_kind:     global_buffer
      - .offset:         16
        .size:           8
        .value_kind:     by_value
      - .address_space:  global
        .offset:         24
        .size:           8
        .value_kind:     global_buffer
      - .offset:         32
        .size:           8
        .value_kind:     by_value
      - .address_space:  global
        .offset:         40
        .size:           8
        .value_kind:     global_buffer
      - .offset:         48
        .size:           8
        .value_kind:     by_value
      - .offset:         56
        .size:           4
        .value_kind:     by_value
      - .offset:         64
        .size:           8
        .value_kind:     by_value
      - .address_space:  global
        .offset:         72
        .size:           8
        .value_kind:     global_buffer
      - .offset:         80
        .size:           4
        .value_kind:     by_value
      - .offset:         88
        .size:           4
        .value_kind:     hidden_block_count_x
      - .offset:         92
        .size:           4
        .value_kind:     hidden_block_count_y
      - .offset:         96
        .size:           4
        .value_kind:     hidden_block_count_z
      - .offset:         100
        .size:           2
        .value_kind:     hidden_group_size_x
      - .offset:         102
        .size:           2
        .value_kind:     hidden_group_size_y
      - .offset:         104
        .size:           2
        .value_kind:     hidden_group_size_z
      - .offset:         106
        .size:           2
        .value_kind:     hidden_remainder_x
      - .offset:         108
        .size:           2
        .value_kind:     hidden_remainder_y
      - .offset:         110
        .size:           2
        .value_kind:     hidden_remainder_z
      - .offset:         128
        .size:           8
        .value_kind:     hidden_global_offset_x
      - .offset:         136
        .size:           8
        .value_kind:     hidden_global_offset_y
      - .offset:         144
        .size:           8
        .value_kind:     hidden_global_offset_z
      - .offset:         152
        .size:           2
        .value_kind:     hidden_grid_dims
    .group_segment_fixed_size: 0
    .kernarg_segment_align: 8
    .kernarg_segment_size: 344
    .language:       OpenCL C
    .language_version:
      - 2
      - 0
    .max_flat_workgroup_size: 64
    .name:           _ZL36rocblas_hemvn_kernel_upper_block_sumILi64EiPKfPffEviT1_lS3_lT2_lT0_lPT3_i
    .private_segment_fixed_size: 0
    .sgpr_count:     32
    .sgpr_spill_count: 0
    .symbol:         _ZL36rocblas_hemvn_kernel_upper_block_sumILi64EiPKfPffEviT1_lS3_lT2_lT0_lPT3_i.kd
    .uniform_work_group_size: 1
    .uses_dynamic_stack: false
    .vgpr_count:     8
    .vgpr_spill_count: 0
    .wavefront_size: 32
  - .args:
      - .offset:         0
        .size:           4
        .value_kind:     by_value
      - .offset:         4
        .size:           4
        .value_kind:     by_value
      - .offset:         8
        .size:           8
        .value_kind:     by_value
      - .address_space:  global
        .offset:         16
        .size:           8
        .value_kind:     global_buffer
      - .offset:         24
        .size:           8
        .value_kind:     by_value
      - .offset:         32
        .size:           8
        .value_kind:     by_value
      - .offset:         40
        .size:           8
        .value_kind:     by_value
      - .address_space:  global
        .offset:         48
        .size:           8
        .value_kind:     global_buffer
      - .offset:         56
        .size:           8
        .value_kind:     by_value
      - .offset:         64
        .size:           8
        .value_kind:     by_value
      - .offset:         72
        .size:           8
        .value_kind:     by_value
      - .offset:         80
        .size:           4
        .value_kind:     by_value
      - .offset:         88
        .size:           8
        .value_kind:     by_value
      - .address_space:  global
        .offset:         96
        .size:           8
        .value_kind:     global_buffer
      - .offset:         104
        .size:           4
        .value_kind:     by_value
      - .offset:         112
        .size:           4
        .value_kind:     hidden_block_count_x
      - .offset:         116
        .size:           4
        .value_kind:     hidden_block_count_y
      - .offset:         120
        .size:           4
        .value_kind:     hidden_block_count_z
      - .offset:         124
        .size:           2
        .value_kind:     hidden_group_size_x
      - .offset:         126
        .size:           2
        .value_kind:     hidden_group_size_y
      - .offset:         128
        .size:           2
        .value_kind:     hidden_group_size_z
      - .offset:         130
        .size:           2
        .value_kind:     hidden_remainder_x
      - .offset:         132
        .size:           2
        .value_kind:     hidden_remainder_y
      - .offset:         134
        .size:           2
        .value_kind:     hidden_remainder_z
      - .offset:         152
        .size:           8
        .value_kind:     hidden_global_offset_x
      - .offset:         160
        .size:           8
        .value_kind:     hidden_global_offset_y
      - .offset:         168
        .size:           8
        .value_kind:     hidden_global_offset_z
      - .offset:         176
        .size:           2
        .value_kind:     hidden_grid_dims
    .group_segment_fixed_size: 4800
    .kernarg_segment_align: 8
    .kernarg_segment_size: 368
    .language:       OpenCL C
    .language_version:
      - 2
      - 0
    .max_flat_workgroup_size: 256
    .name:           _ZL26rocblas_hemvn_kernel_upperILb0ELi64ELi4ELi33ELi32ELi16ElfPKfPfEviT6_lT7_lT5_lS4_lS5_lS3_lT8_i
    .private_segment_fixed_size: 0
    .sgpr_count:     74
    .sgpr_spill_count: 0
    .symbol:         _ZL26rocblas_hemvn_kernel_upperILb0ELi64ELi4ELi33ELi32ELi16ElfPKfPfEviT6_lT7_lT5_lS4_lS5_lS3_lT8_i.kd
    .uniform_work_group_size: 1
    .uses_dynamic_stack: false
    .vgpr_count:     144
    .vgpr_spill_count: 0
    .wavefront_size: 32
  - .args:
      - .offset:         0
        .size:           4
        .value_kind:     by_value
      - .offset:         4
        .size:           4
        .value_kind:     by_value
      - .offset:         8
        .size:           8
        .value_kind:     by_value
      - .offset:         16
        .size:           4
        .value_kind:     by_value
      - .offset:         24
        .size:           8
        .value_kind:     by_value
      - .address_space:  global
        .offset:         32
        .size:           8
        .value_kind:     global_buffer
      - .offset:         40
        .size:           8
        .value_kind:     by_value
      - .offset:         48
        .size:           8
        .value_kind:     by_value
      - .offset:         56
        .size:           8
        .value_kind:     by_value
      - .address_space:  global
        .offset:         64
        .size:           8
        .value_kind:     global_buffer
      - .offset:         72
        .size:           4
        .value_kind:     by_value
      - .offset:         80
        .size:           4
        .value_kind:     hidden_block_count_x
      - .offset:         84
        .size:           4
        .value_kind:     hidden_block_count_y
      - .offset:         88
        .size:           4
        .value_kind:     hidden_block_count_z
      - .offset:         92
        .size:           2
        .value_kind:     hidden_group_size_x
      - .offset:         94
        .size:           2
        .value_kind:     hidden_group_size_y
      - .offset:         96
        .size:           2
        .value_kind:     hidden_group_size_z
      - .offset:         98
        .size:           2
        .value_kind:     hidden_remainder_x
      - .offset:         100
        .size:           2
        .value_kind:     hidden_remainder_y
      - .offset:         102
        .size:           2
        .value_kind:     hidden_remainder_z
      - .offset:         120
        .size:           8
        .value_kind:     hidden_global_offset_x
      - .offset:         128
        .size:           8
        .value_kind:     hidden_global_offset_y
      - .offset:         136
        .size:           8
        .value_kind:     hidden_global_offset_z
      - .offset:         144
        .size:           2
        .value_kind:     hidden_grid_dims
    .group_segment_fixed_size: 0
    .kernarg_segment_align: 8
    .kernarg_segment_size: 336
    .language:       OpenCL C
    .language_version:
      - 2
      - 0
    .max_flat_workgroup_size: 64
    .name:           _ZL36rocblas_hemvn_kernel_upper_block_sumILi64ElfPffEviT1_lS1_lT2_lT0_lPT3_i
    .private_segment_fixed_size: 0
    .sgpr_count:     30
    .sgpr_spill_count: 0
    .symbol:         _ZL36rocblas_hemvn_kernel_upper_block_sumILi64ElfPffEviT1_lS1_lT2_lT0_lPT3_i.kd
    .uniform_work_group_size: 1
    .uses_dynamic_stack: false
    .vgpr_count:     8
    .vgpr_spill_count: 0
    .wavefront_size: 32
  - .args:
      - .offset:         0
        .size:           4
        .value_kind:     by_value
      - .offset:         4
        .size:           4
        .value_kind:     by_value
      - .offset:         8
        .size:           8
        .value_kind:     by_value
      - .address_space:  global
        .offset:         16
        .size:           8
        .value_kind:     global_buffer
      - .offset:         24
        .size:           8
        .value_kind:     by_value
      - .offset:         32
        .size:           4
        .value_kind:     by_value
      - .offset:         40
        .size:           8
        .value_kind:     by_value
      - .address_space:  global
        .offset:         48
        .size:           8
        .value_kind:     global_buffer
      - .offset:         56
        .size:           8
        .value_kind:     by_value
      - .offset:         64
        .size:           4
        .value_kind:     by_value
      - .offset:         72
        .size:           8
        .value_kind:     by_value
      - .offset:         80
        .size:           4
        .value_kind:     by_value
      - .offset:         88
        .size:           8
        .value_kind:     by_value
      - .address_space:  global
        .offset:         96
        .size:           8
        .value_kind:     global_buffer
      - .offset:         104
        .size:           4
        .value_kind:     by_value
      - .offset:         112
        .size:           4
        .value_kind:     hidden_block_count_x
      - .offset:         116
        .size:           4
        .value_kind:     hidden_block_count_y
      - .offset:         120
        .size:           4
        .value_kind:     hidden_block_count_z
      - .offset:         124
        .size:           2
        .value_kind:     hidden_group_size_x
      - .offset:         126
        .size:           2
        .value_kind:     hidden_group_size_y
      - .offset:         128
        .size:           2
        .value_kind:     hidden_group_size_z
      - .offset:         130
        .size:           2
        .value_kind:     hidden_remainder_x
      - .offset:         132
        .size:           2
        .value_kind:     hidden_remainder_y
      - .offset:         134
        .size:           2
        .value_kind:     hidden_remainder_z
      - .offset:         152
        .size:           8
        .value_kind:     hidden_global_offset_x
      - .offset:         160
        .size:           8
        .value_kind:     hidden_global_offset_y
      - .offset:         168
        .size:           8
        .value_kind:     hidden_global_offset_z
      - .offset:         176
        .size:           2
        .value_kind:     hidden_grid_dims
    .group_segment_fixed_size: 4800
    .kernarg_segment_align: 8
    .kernarg_segment_size: 368
    .language:       OpenCL C
    .language_version:
      - 2
      - 0
    .max_flat_workgroup_size: 256
    .name:           _ZL26rocblas_hemvn_kernel_upperILb0ELi64ELi4ELi33ELi32ELi16EifPKfPfEviT6_lT7_lT5_lS4_lS5_lS3_lT8_i
    .private_segment_fixed_size: 0
    .sgpr_count:     102
    .sgpr_spill_count: 0
    .symbol:         _ZL26rocblas_hemvn_kernel_upperILb0ELi64ELi4ELi33ELi32ELi16EifPKfPfEviT6_lT7_lT5_lS4_lS5_lS3_lT8_i.kd
    .uniform_work_group_size: 1
    .uses_dynamic_stack: false
    .vgpr_count:     160
    .vgpr_spill_count: 0
    .wavefront_size: 32
  - .args:
      - .offset:         0
        .size:           4
        .value_kind:     by_value
      - .offset:         4
        .size:           4
        .value_kind:     by_value
      - .offset:         8
        .size:           8
        .value_kind:     by_value
      - .offset:         16
        .size:           4
        .value_kind:     by_value
      - .offset:         24
        .size:           8
        .value_kind:     by_value
      - .address_space:  global
        .offset:         32
        .size:           8
        .value_kind:     global_buffer
      - .offset:         40
        .size:           8
        .value_kind:     by_value
      - .offset:         48
        .size:           4
        .value_kind:     by_value
      - .offset:         56
        .size:           8
        .value_kind:     by_value
      - .address_space:  global
        .offset:         64
        .size:           8
        .value_kind:     global_buffer
      - .offset:         72
        .size:           4
        .value_kind:     by_value
      - .offset:         80
        .size:           4
        .value_kind:     hidden_block_count_x
      - .offset:         84
        .size:           4
        .value_kind:     hidden_block_count_y
      - .offset:         88
        .size:           4
        .value_kind:     hidden_block_count_z
      - .offset:         92
        .size:           2
        .value_kind:     hidden_group_size_x
      - .offset:         94
        .size:           2
        .value_kind:     hidden_group_size_y
      - .offset:         96
        .size:           2
        .value_kind:     hidden_group_size_z
      - .offset:         98
        .size:           2
        .value_kind:     hidden_remainder_x
      - .offset:         100
        .size:           2
        .value_kind:     hidden_remainder_y
      - .offset:         102
        .size:           2
        .value_kind:     hidden_remainder_z
      - .offset:         120
        .size:           8
        .value_kind:     hidden_global_offset_x
      - .offset:         128
        .size:           8
        .value_kind:     hidden_global_offset_y
      - .offset:         136
        .size:           8
        .value_kind:     hidden_global_offset_z
      - .offset:         144
        .size:           2
        .value_kind:     hidden_grid_dims
    .group_segment_fixed_size: 0
    .kernarg_segment_align: 8
    .kernarg_segment_size: 336
    .language:       OpenCL C
    .language_version:
      - 2
      - 0
    .max_flat_workgroup_size: 64
    .name:           _ZL36rocblas_hemvn_kernel_upper_block_sumILi64EifPffEviT1_lS1_lT2_lT0_lPT3_i
    .private_segment_fixed_size: 0
    .sgpr_count:     30
    .sgpr_spill_count: 0
    .symbol:         _ZL36rocblas_hemvn_kernel_upper_block_sumILi64EifPffEviT1_lS1_lT2_lT0_lPT3_i.kd
    .uniform_work_group_size: 1
    .uses_dynamic_stack: false
    .vgpr_count:     8
    .vgpr_spill_count: 0
    .wavefront_size: 32
  - .args:
      - .offset:         0
        .size:           1
        .value_kind:     by_value
      - .offset:         4
        .size:           4
        .value_kind:     by_value
      - .offset:         8
        .size:           8
        .value_kind:     by_value
      - .offset:         16
        .size:           8
        .value_kind:     by_value
      - .address_space:  global
        .offset:         24
        .size:           8
        .value_kind:     global_buffer
      - .offset:         32
        .size:           8
        .value_kind:     by_value
      - .offset:         40
        .size:           8
        .value_kind:     by_value
      - .offset:         48
        .size:           8
        .value_kind:     by_value
      - .address_space:  global
        .offset:         56
        .size:           8
        .value_kind:     global_buffer
      - .offset:         64
        .size:           8
        .value_kind:     by_value
      - .offset:         72
        .size:           8
        .value_kind:     by_value
      - .offset:         80
        .size:           8
        .value_kind:     by_value
      - .offset:         88
        .size:           8
        .value_kind:     by_value
      - .offset:         96
        .size:           8
        .value_kind:     by_value
      - .address_space:  global
        .offset:         104
        .size:           8
        .value_kind:     global_buffer
      - .offset:         112
        .size:           8
        .value_kind:     by_value
      - .offset:         120
        .size:           8
        .value_kind:     by_value
      - .offset:         128
        .size:           8
        .value_kind:     by_value
      - .offset:         136
        .size:           4
        .value_kind:     by_value
    .group_segment_fixed_size: 7296
    .kernarg_segment_align: 8
    .kernarg_segment_size: 140
    .language:       OpenCL C
    .language_version:
      - 2
      - 0
    .max_flat_workgroup_size: 128
    .name:           _ZL50rocblas_symv_kernel_lower_double_buffered_diagonalILi32ELi4E24rocblas_internal_val_ptrIfEPKfPfEvbiT1_lT2_lllS6_lllS5_lT3_llli
    .private_segment_fixed_size: 0
    .sgpr_count:     44
    .sgpr_spill_count: 0
    .symbol:         _ZL50rocblas_symv_kernel_lower_double_buffered_diagonalILi32ELi4E24rocblas_internal_val_ptrIfEPKfPfEvbiT1_lT2_lllS6_lllS5_lT3_llli.kd
    .uniform_work_group_size: 1
    .uses_dynamic_stack: false
    .vgpr_count:     38
    .vgpr_spill_count: 0
    .wavefront_size: 32
  - .args:
      - .offset:         0
        .size:           1
        .value_kind:     by_value
      - .offset:         4
        .size:           4
        .value_kind:     by_value
      - .offset:         8
        .size:           8
        .value_kind:     by_value
      - .offset:         16
        .size:           8
        .value_kind:     by_value
      - .address_space:  global
        .offset:         24
        .size:           8
        .value_kind:     global_buffer
      - .offset:         32
        .size:           8
        .value_kind:     by_value
      - .offset:         40
        .size:           8
        .value_kind:     by_value
      - .offset:         48
        .size:           8
        .value_kind:     by_value
      - .address_space:  global
        .offset:         56
        .size:           8
        .value_kind:     global_buffer
      - .offset:         64
        .size:           8
        .value_kind:     by_value
      - .offset:         72
        .size:           8
        .value_kind:     by_value
      - .offset:         80
        .size:           8
        .value_kind:     by_value
      - .address_space:  global
        .offset:         88
        .size:           8
        .value_kind:     global_buffer
      - .offset:         96
        .size:           8
        .value_kind:     by_value
      - .offset:         104
        .size:           8
        .value_kind:     by_value
      - .offset:         112
        .size:           8
        .value_kind:     by_value
      - .offset:         120
        .size:           4
        .value_kind:     by_value
      - .offset:         128
        .size:           4
        .value_kind:     hidden_block_count_x
      - .offset:         132
        .size:           4
        .value_kind:     hidden_block_count_y
      - .offset:         136
        .size:           4
        .value_kind:     hidden_block_count_z
      - .offset:         140
        .size:           2
        .value_kind:     hidden_group_size_x
      - .offset:         142
        .size:           2
        .value_kind:     hidden_group_size_y
      - .offset:         144
        .size:           2
        .value_kind:     hidden_group_size_z
      - .offset:         146
        .size:           2
        .value_kind:     hidden_remainder_x
      - .offset:         148
        .size:           2
        .value_kind:     hidden_remainder_y
      - .offset:         150
        .size:           2
        .value_kind:     hidden_remainder_z
      - .offset:         168
        .size:           8
        .value_kind:     hidden_global_offset_x
      - .offset:         176
        .size:           8
        .value_kind:     hidden_global_offset_y
      - .offset:         184
        .size:           8
        .value_kind:     hidden_global_offset_z
      - .offset:         192
        .size:           2
        .value_kind:     hidden_grid_dims
    .group_segment_fixed_size: 4224
    .kernarg_segment_align: 8
    .kernarg_segment_size: 384
    .language:       OpenCL C
    .language_version:
      - 2
      - 0
    .max_flat_workgroup_size: 128
    .name:           _ZL54rocblas_symv_kernel_lower_double_buffered_non_diagonalILi32ELi4ELi4E24rocblas_internal_val_ptrIfEPKfPfEvbiT2_lT3_lllS6_lllT4_llli
    .private_segment_fixed_size: 0
    .sgpr_count:     72
    .sgpr_spill_count: 0
    .symbol:         _ZL54rocblas_symv_kernel_lower_double_buffered_non_diagonalILi32ELi4ELi4E24rocblas_internal_val_ptrIfEPKfPfEvbiT2_lT3_lllS6_lllT4_llli.kd
    .uniform_work_group_size: 1
    .uses_dynamic_stack: false
    .vgpr_count:     80
    .vgpr_spill_count: 0
    .wavefront_size: 32
  - .args:
      - .offset:         0
        .size:           1
        .value_kind:     by_value
      - .offset:         4
        .size:           4
        .value_kind:     by_value
      - .offset:         8
        .size:           8
        .value_kind:     by_value
      - .offset:         16
        .size:           8
        .value_kind:     by_value
      - .address_space:  global
        .offset:         24
        .size:           8
        .value_kind:     global_buffer
      - .offset:         32
        .size:           8
        .value_kind:     by_value
      - .offset:         40
        .size:           8
        .value_kind:     by_value
      - .offset:         48
        .size:           8
        .value_kind:     by_value
      - .address_space:  global
        .offset:         56
        .size:           8
        .value_kind:     global_buffer
      - .offset:         64
        .size:           8
        .value_kind:     by_value
      - .offset:         72
        .size:           8
        .value_kind:     by_value
      - .offset:         80
        .size:           8
        .value_kind:     by_value
      - .offset:         88
        .size:           8
        .value_kind:     by_value
      - .offset:         96
        .size:           8
        .value_kind:     by_value
      - .address_space:  global
        .offset:         104
        .size:           8
        .value_kind:     global_buffer
      - .offset:         112
        .size:           8
        .value_kind:     by_value
      - .offset:         120
        .size:           8
        .value_kind:     by_value
      - .offset:         128
        .size:           8
        .value_kind:     by_value
      - .offset:         136
        .size:           4
        .value_kind:     by_value
      - .offset:         140
        .size:           4
        .value_kind:     by_value
      - .offset:         144
        .size:           4
        .value_kind:     hidden_block_count_x
      - .offset:         148
        .size:           4
        .value_kind:     hidden_block_count_y
      - .offset:         152
        .size:           4
        .value_kind:     hidden_block_count_z
      - .offset:         156
        .size:           2
        .value_kind:     hidden_group_size_x
      - .offset:         158
        .size:           2
        .value_kind:     hidden_group_size_y
      - .offset:         160
        .size:           2
        .value_kind:     hidden_group_size_z
      - .offset:         162
        .size:           2
        .value_kind:     hidden_remainder_x
      - .offset:         164
        .size:           2
        .value_kind:     hidden_remainder_y
      - .offset:         166
        .size:           2
        .value_kind:     hidden_remainder_z
      - .offset:         184
        .size:           8
        .value_kind:     hidden_global_offset_x
      - .offset:         192
        .size:           8
        .value_kind:     hidden_global_offset_y
      - .offset:         200
        .size:           8
        .value_kind:     hidden_global_offset_z
      - .offset:         208
        .size:           2
        .value_kind:     hidden_grid_dims
    .group_segment_fixed_size: 7296
    .kernarg_segment_align: 8
    .kernarg_segment_size: 400
    .language:       OpenCL C
    .language_version:
      - 2
      - 0
    .max_flat_workgroup_size: 128
    .name:           _ZL58rocblas_symv_kernel_lower_double_buffered_diagonal_genericILi32ELi4E24rocblas_internal_val_ptrIfEPKfPfEvbiT1_lT2_lllS6_lllS5_lT3_lllii
    .private_segment_fixed_size: 0
    .sgpr_count:     64
    .sgpr_spill_count: 0
    .symbol:         _ZL58rocblas_symv_kernel_lower_double_buffered_diagonal_genericILi32ELi4E24rocblas_internal_val_ptrIfEPKfPfEvbiT1_lT2_lllS6_lllS5_lT3_lllii.kd
    .uniform_work_group_size: 1
    .uses_dynamic_stack: false
    .vgpr_count:     52
    .vgpr_spill_count: 0
    .wavefront_size: 32
  - .args:
      - .offset:         0
        .size:           1
        .value_kind:     by_value
      - .offset:         4
        .size:           4
        .value_kind:     by_value
      - .offset:         8
        .size:           8
        .value_kind:     by_value
      - .offset:         16
        .size:           8
        .value_kind:     by_value
      - .address_space:  global
        .offset:         24
        .size:           8
        .value_kind:     global_buffer
      - .offset:         32
        .size:           8
        .value_kind:     by_value
      - .offset:         40
        .size:           8
        .value_kind:     by_value
      - .offset:         48
        .size:           8
        .value_kind:     by_value
      - .address_space:  global
        .offset:         56
        .size:           8
        .value_kind:     global_buffer
      - .offset:         64
        .size:           8
        .value_kind:     by_value
      - .offset:         72
        .size:           8
        .value_kind:     by_value
      - .offset:         80
        .size:           8
        .value_kind:     by_value
      - .address_space:  global
        .offset:         88
        .size:           8
        .value_kind:     global_buffer
      - .offset:         96
        .size:           8
        .value_kind:     by_value
      - .offset:         104
        .size:           8
        .value_kind:     by_value
      - .offset:         112
        .size:           8
        .value_kind:     by_value
      - .offset:         120
        .size:           4
        .value_kind:     by_value
      - .offset:         124
        .size:           4
        .value_kind:     by_value
      - .offset:         128
        .size:           4
        .value_kind:     hidden_block_count_x
      - .offset:         132
        .size:           4
        .value_kind:     hidden_block_count_y
      - .offset:         136
        .size:           4
        .value_kind:     hidden_block_count_z
      - .offset:         140
        .size:           2
        .value_kind:     hidden_group_size_x
      - .offset:         142
        .size:           2
        .value_kind:     hidden_group_size_y
      - .offset:         144
        .size:           2
        .value_kind:     hidden_group_size_z
      - .offset:         146
        .size:           2
        .value_kind:     hidden_remainder_x
      - .offset:         148
        .size:           2
        .value_kind:     hidden_remainder_y
      - .offset:         150
        .size:           2
        .value_kind:     hidden_remainder_z
      - .offset:         168
        .size:           8
        .value_kind:     hidden_global_offset_x
      - .offset:         176
        .size:           8
        .value_kind:     hidden_global_offset_y
      - .offset:         184
        .size:           8
        .value_kind:     hidden_global_offset_z
      - .offset:         192
        .size:           2
        .value_kind:     hidden_grid_dims
    .group_segment_fixed_size: 4224
    .kernarg_segment_align: 8
    .kernarg_segment_size: 384
    .language:       OpenCL C
    .language_version:
      - 2
      - 0
    .max_flat_workgroup_size: 128
    .name:           _ZL62rocblas_symv_kernel_lower_double_buffered_non_diagonal_genericILi32ELi4ELi4E24rocblas_internal_val_ptrIfEPKfPfEvbiT2_lT3_lllS6_lllT4_lllii
    .private_segment_fixed_size: 0
    .sgpr_count:     78
    .sgpr_spill_count: 0
    .symbol:         _ZL62rocblas_symv_kernel_lower_double_buffered_non_diagonal_genericILi32ELi4ELi4E24rocblas_internal_val_ptrIfEPKfPfEvbiT2_lT3_lllS6_lllT4_lllii.kd
    .uniform_work_group_size: 1
    .uses_dynamic_stack: false
    .vgpr_count:     78
    .vgpr_spill_count: 0
    .wavefront_size: 32
  - .args:
      - .offset:         0
        .size:           4
        .value_kind:     by_value
      - .address_space:  global
        .offset:         8
        .size:           8
        .value_kind:     global_buffer
      - .offset:         16
        .size:           8
        .value_kind:     by_value
      - .address_space:  global
        .offset:         24
        .size:           8
        .value_kind:     global_buffer
      - .offset:         32
        .size:           8
        .value_kind:     by_value
      - .offset:         40
        .size:           8
        .value_kind:     by_value
      - .offset:         48
        .size:           8
        .value_kind:     by_value
      - .address_space:  global
        .offset:         56
        .size:           8
        .value_kind:     global_buffer
      - .offset:         64
        .size:           8
        .value_kind:     by_value
      - .offset:         72
        .size:           8
        .value_kind:     by_value
      - .offset:         80
        .size:           8
        .value_kind:     by_value
      - .address_space:  global
        .offset:         88
        .size:           8
        .value_kind:     global_buffer
      - .offset:         96
        .size:           8
        .value_kind:     by_value
      - .address_space:  global
        .offset:         104
        .size:           8
        .value_kind:     global_buffer
      - .offset:         112
        .size:           4
        .value_kind:     by_value
      - .offset:         120
        .size:           4
        .value_kind:     hidden_block_count_x
      - .offset:         124
        .size:           4
        .value_kind:     hidden_block_count_y
      - .offset:         128
        .size:           4
        .value_kind:     hidden_block_count_z
      - .offset:         132
        .size:           2
        .value_kind:     hidden_group_size_x
      - .offset:         134
        .size:           2
        .value_kind:     hidden_group_size_y
      - .offset:         136
        .size:           2
        .value_kind:     hidden_group_size_z
      - .offset:         138
        .size:           2
        .value_kind:     hidden_remainder_x
      - .offset:         140
        .size:           2
        .value_kind:     hidden_remainder_y
      - .offset:         142
        .size:           2
        .value_kind:     hidden_remainder_z
      - .offset:         160
        .size:           8
        .value_kind:     hidden_global_offset_x
      - .offset:         168
        .size:           8
        .value_kind:     hidden_global_offset_y
      - .offset:         176
        .size:           8
        .value_kind:     hidden_global_offset_z
      - .offset:         184
        .size:           2
        .value_kind:     hidden_grid_dims
    .group_segment_fixed_size: 4800
    .kernarg_segment_align: 8
    .kernarg_segment_size: 376
    .language:       OpenCL C
    .language_version:
      - 2
      - 0
    .max_flat_workgroup_size: 256
    .name:           _ZL26rocblas_hemvn_kernel_lowerILb0ELi64ELi4ELi33ELi32ELi16ElPKfS1_PfEviT6_lT7_lT5_lS4_lS5_lS3_lT8_i
    .private_segment_fixed_size: 0
    .sgpr_count:     104
    .sgpr_spill_count: 0
    .symbol:         _ZL26rocblas_hemvn_kernel_lowerILb0ELi64ELi4ELi33ELi32ELi16ElPKfS1_PfEviT6_lT7_lT5_lS4_lS5_lS3_lT8_i.kd
    .uniform_work_group_size: 1
    .uses_dynamic_stack: false
    .vgpr_count:     79
    .vgpr_spill_count: 0
    .wavefront_size: 32
  - .args:
      - .offset:         0
        .size:           4
        .value_kind:     by_value
      - .address_space:  global
        .offset:         8
        .size:           8
        .value_kind:     global_buffer
      - .offset:         16
        .size:           8
        .value_kind:     by_value
      - .address_space:  global
        .offset:         24
        .size:           8
        .value_kind:     global_buffer
      - .offset:         32
        .size:           8
        .value_kind:     by_value
      - .address_space:  global
        .offset:         40
        .size:           8
        .value_kind:     global_buffer
      - .offset:         48
        .size:           8
        .value_kind:     by_value
      - .offset:         56
        .size:           8
        .value_kind:     by_value
      - .offset:         64
        .size:           8
        .value_kind:     by_value
      - .actual_access:  read_only
        .address_space:  global
        .offset:         72
        .size:           8
        .value_kind:     global_buffer
      - .offset:         80
        .size:           4
        .value_kind:     by_value
      - .offset:         88
        .size:           4
        .value_kind:     hidden_block_count_x
      - .offset:         92
        .size:           4
        .value_kind:     hidden_block_count_y
      - .offset:         96
        .size:           4
        .value_kind:     hidden_block_count_z
      - .offset:         100
        .size:           2
        .value_kind:     hidden_group_size_x
      - .offset:         102
        .size:           2
        .value_kind:     hidden_group_size_y
      - .offset:         104
        .size:           2
        .value_kind:     hidden_group_size_z
      - .offset:         106
        .size:           2
        .value_kind:     hidden_remainder_x
      - .offset:         108
        .size:           2
        .value_kind:     hidden_remainder_y
      - .offset:         110
        .size:           2
        .value_kind:     hidden_remainder_z
      - .offset:         128
        .size:           8
        .value_kind:     hidden_global_offset_x
      - .offset:         136
        .size:           8
        .value_kind:     hidden_global_offset_y
      - .offset:         144
        .size:           8
        .value_kind:     hidden_global_offset_z
      - .offset:         152
        .size:           2
        .value_kind:     hidden_grid_dims
    .group_segment_fixed_size: 0
    .kernarg_segment_align: 8
    .kernarg_segment_size: 344
    .language:       OpenCL C
    .language_version:
      - 2
      - 0
    .max_flat_workgroup_size: 64
    .name:           _ZL36rocblas_hemvn_kernel_lower_block_sumILi64ElPKfPffEviT1_lS3_lT2_lT0_lPT3_i
    .private_segment_fixed_size: 0
    .sgpr_count:     34
    .sgpr_spill_count: 0
    .symbol:         _ZL36rocblas_hemvn_kernel_lower_block_sumILi64ElPKfPffEviT1_lS3_lT2_lT0_lPT3_i.kd
    .uniform_work_group_size: 1
    .uses_dynamic_stack: false
    .vgpr_count:     8
    .vgpr_spill_count: 0
    .wavefront_size: 32
  - .args:
      - .offset:         0
        .size:           4
        .value_kind:     by_value
      - .address_space:  global
        .offset:         8
        .size:           8
        .value_kind:     global_buffer
      - .offset:         16
        .size:           8
        .value_kind:     by_value
      - .address_space:  global
        .offset:         24
        .size:           8
        .value_kind:     global_buffer
      - .offset:         32
        .size:           8
        .value_kind:     by_value
      - .offset:         40
        .size:           4
        .value_kind:     by_value
      - .offset:         48
        .size:           8
        .value_kind:     by_value
      - .address_space:  global
        .offset:         56
        .size:           8
        .value_kind:     global_buffer
      - .offset:         64
        .size:           8
        .value_kind:     by_value
      - .offset:         72
        .size:           4
        .value_kind:     by_value
      - .offset:         80
        .size:           8
        .value_kind:     by_value
      - .address_space:  global
        .offset:         88
        .size:           8
        .value_kind:     global_buffer
      - .offset:         96
        .size:           8
        .value_kind:     by_value
      - .address_space:  global
        .offset:         104
        .size:           8
        .value_kind:     global_buffer
      - .offset:         112
        .size:           4
        .value_kind:     by_value
      - .offset:         120
        .size:           4
        .value_kind:     hidden_block_count_x
      - .offset:         124
        .size:           4
        .value_kind:     hidden_block_count_y
      - .offset:         128
        .size:           4
        .value_kind:     hidden_block_count_z
      - .offset:         132
        .size:           2
        .value_kind:     hidden_group_size_x
      - .offset:         134
        .size:           2
        .value_kind:     hidden_group_size_y
      - .offset:         136
        .size:           2
        .value_kind:     hidden_group_size_z
      - .offset:         138
        .size:           2
        .value_kind:     hidden_remainder_x
      - .offset:         140
        .size:           2
        .value_kind:     hidden_remainder_y
      - .offset:         142
        .size:           2
        .value_kind:     hidden_remainder_z
      - .offset:         160
        .size:           8
        .value_kind:     hidden_global_offset_x
      - .offset:         168
        .size:           8
        .value_kind:     hidden_global_offset_y
      - .offset:         176
        .size:           8
        .value_kind:     hidden_global_offset_z
      - .offset:         184
        .size:           2
        .value_kind:     hidden_grid_dims
    .group_segment_fixed_size: 4800
    .kernarg_segment_align: 8
    .kernarg_segment_size: 376
    .language:       OpenCL C
    .language_version:
      - 2
      - 0
    .max_flat_workgroup_size: 256
    .name:           _ZL26rocblas_hemvn_kernel_lowerILb0ELi64ELi4ELi33ELi32ELi16EiPKfS1_PfEviT6_lT7_lT5_lS4_lS5_lS3_lT8_i
    .private_segment_fixed_size: 0
    .sgpr_count:     107
    .sgpr_spill_count: 0
    .symbol:         _ZL26rocblas_hemvn_kernel_lowerILb0ELi64ELi4ELi33ELi32ELi16EiPKfS1_PfEviT6_lT7_lT5_lS4_lS5_lS3_lT8_i.kd
    .uniform_work_group_size: 1
    .uses_dynamic_stack: false
    .vgpr_count:     92
    .vgpr_spill_count: 0
    .wavefront_size: 32
  - .args:
      - .offset:         0
        .size:           4
        .value_kind:     by_value
      - .address_space:  global
        .offset:         8
        .size:           8
        .value_kind:     global_buffer
      - .offset:         16
        .size:           8
        .value_kind:     by_value
      - .address_space:  global
        .offset:         24
        .size:           8
        .value_kind:     global_buffer
      - .offset:         32
        .size:           8
        .value_kind:     by_value
      - .address_space:  global
        .offset:         40
        .size:           8
        .value_kind:     global_buffer
      - .offset:         48
        .size:           8
        .value_kind:     by_value
      - .offset:         56
        .size:           4
        .value_kind:     by_value
      - .offset:         64
        .size:           8
        .value_kind:     by_value
      - .actual_access:  read_only
        .address_space:  global
        .offset:         72
        .size:           8
        .value_kind:     global_buffer
      - .offset:         80
        .size:           4
        .value_kind:     by_value
      - .offset:         88
        .size:           4
        .value_kind:     hidden_block_count_x
      - .offset:         92
        .size:           4
        .value_kind:     hidden_block_count_y
      - .offset:         96
        .size:           4
        .value_kind:     hidden_block_count_z
      - .offset:         100
        .size:           2
        .value_kind:     hidden_group_size_x
      - .offset:         102
        .size:           2
        .value_kind:     hidden_group_size_y
      - .offset:         104
        .size:           2
        .value_kind:     hidden_group_size_z
      - .offset:         106
        .size:           2
        .value_kind:     hidden_remainder_x
      - .offset:         108
        .size:           2
        .value_kind:     hidden_remainder_y
      - .offset:         110
        .size:           2
        .value_kind:     hidden_remainder_z
      - .offset:         128
        .size:           8
        .value_kind:     hidden_global_offset_x
      - .offset:         136
        .size:           8
        .value_kind:     hidden_global_offset_y
      - .offset:         144
        .size:           8
        .value_kind:     hidden_global_offset_z
      - .offset:         152
        .size:           2
        .value_kind:     hidden_grid_dims
    .group_segment_fixed_size: 0
    .kernarg_segment_align: 8
    .kernarg_segment_size: 344
    .language:       OpenCL C
    .language_version:
      - 2
      - 0
    .max_flat_workgroup_size: 64
    .name:           _ZL36rocblas_hemvn_kernel_lower_block_sumILi64EiPKfPffEviT1_lS3_lT2_lT0_lPT3_i
    .private_segment_fixed_size: 0
    .sgpr_count:     34
    .sgpr_spill_count: 0
    .symbol:         _ZL36rocblas_hemvn_kernel_lower_block_sumILi64EiPKfPffEviT1_lS3_lT2_lT0_lPT3_i.kd
    .uniform_work_group_size: 1
    .uses_dynamic_stack: false
    .vgpr_count:     8
    .vgpr_spill_count: 0
    .wavefront_size: 32
  - .args:
      - .offset:         0
        .size:           4
        .value_kind:     by_value
      - .offset:         4
        .size:           4
        .value_kind:     by_value
      - .offset:         8
        .size:           8
        .value_kind:     by_value
      - .address_space:  global
        .offset:         16
        .size:           8
        .value_kind:     global_buffer
      - .offset:         24
        .size:           8
        .value_kind:     by_value
      - .offset:         32
        .size:           8
        .value_kind:     by_value
      - .offset:         40
        .size:           8
        .value_kind:     by_value
      - .address_space:  global
        .offset:         48
        .size:           8
        .value_kind:     global_buffer
      - .offset:         56
        .size:           8
        .value_kind:     by_value
      - .offset:         64
        .size:           8
        .value_kind:     by_value
      - .offset:         72
        .size:           8
        .value_kind:     by_value
      - .offset:         80
        .size:           4
        .value_kind:     by_value
      - .offset:         88
        .size:           8
        .value_kind:     by_value
      - .address_space:  global
        .offset:         96
        .size:           8
        .value_kind:     global_buffer
      - .offset:         104
        .size:           4
        .value_kind:     by_value
      - .offset:         112
        .size:           4
        .value_kind:     hidden_block_count_x
      - .offset:         116
        .size:           4
        .value_kind:     hidden_block_count_y
      - .offset:         120
        .size:           4
        .value_kind:     hidden_block_count_z
      - .offset:         124
        .size:           2
        .value_kind:     hidden_group_size_x
      - .offset:         126
        .size:           2
        .value_kind:     hidden_group_size_y
      - .offset:         128
        .size:           2
        .value_kind:     hidden_group_size_z
      - .offset:         130
        .size:           2
        .value_kind:     hidden_remainder_x
      - .offset:         132
        .size:           2
        .value_kind:     hidden_remainder_y
      - .offset:         134
        .size:           2
        .value_kind:     hidden_remainder_z
      - .offset:         152
        .size:           8
        .value_kind:     hidden_global_offset_x
      - .offset:         160
        .size:           8
        .value_kind:     hidden_global_offset_y
      - .offset:         168
        .size:           8
        .value_kind:     hidden_global_offset_z
      - .offset:         176
        .size:           2
        .value_kind:     hidden_grid_dims
    .group_segment_fixed_size: 4800
    .kernarg_segment_align: 8
    .kernarg_segment_size: 368
    .language:       OpenCL C
    .language_version:
      - 2
      - 0
    .max_flat_workgroup_size: 256
    .name:           _ZL26rocblas_hemvn_kernel_lowerILb0ELi64ELi4ELi33ELi32ELi16ElfPKfPfEviT6_lT7_lT5_lS4_lS5_lS3_lT8_i
    .private_segment_fixed_size: 0
    .sgpr_count:     98
    .sgpr_spill_count: 0
    .symbol:         _ZL26rocblas_hemvn_kernel_lowerILb0ELi64ELi4ELi33ELi32ELi16ElfPKfPfEviT6_lT7_lT5_lS4_lS5_lS3_lT8_i.kd
    .uniform_work_group_size: 1
    .uses_dynamic_stack: false
    .vgpr_count:     90
    .vgpr_spill_count: 0
    .wavefront_size: 32
  - .args:
      - .offset:         0
        .size:           4
        .value_kind:     by_value
      - .offset:         4
        .size:           4
        .value_kind:     by_value
      - .offset:         8
        .size:           8
        .value_kind:     by_value
      - .offset:         16
        .size:           4
        .value_kind:     by_value
      - .offset:         24
        .size:           8
        .value_kind:     by_value
      - .address_space:  global
        .offset:         32
        .size:           8
        .value_kind:     global_buffer
      - .offset:         40
        .size:           8
        .value_kind:     by_value
      - .offset:         48
        .size:           8
        .value_kind:     by_value
      - .offset:         56
        .size:           8
        .value_kind:     by_value
      - .actual_access:  read_only
        .address_space:  global
        .offset:         64
        .size:           8
        .value_kind:     global_buffer
      - .offset:         72
        .size:           4
        .value_kind:     by_value
      - .offset:         80
        .size:           4
        .value_kind:     hidden_block_count_x
      - .offset:         84
        .size:           4
        .value_kind:     hidden_block_count_y
      - .offset:         88
        .size:           4
        .value_kind:     hidden_block_count_z
      - .offset:         92
        .size:           2
        .value_kind:     hidden_group_size_x
      - .offset:         94
        .size:           2
        .value_kind:     hidden_group_size_y
      - .offset:         96
        .size:           2
        .value_kind:     hidden_group_size_z
      - .offset:         98
        .size:           2
        .value_kind:     hidden_remainder_x
      - .offset:         100
        .size:           2
        .value_kind:     hidden_remainder_y
      - .offset:         102
        .size:           2
        .value_kind:     hidden_remainder_z
      - .offset:         120
        .size:           8
        .value_kind:     hidden_global_offset_x
      - .offset:         128
        .size:           8
        .value_kind:     hidden_global_offset_y
      - .offset:         136
        .size:           8
        .value_kind:     hidden_global_offset_z
      - .offset:         144
        .size:           2
        .value_kind:     hidden_grid_dims
    .group_segment_fixed_size: 0
    .kernarg_segment_align: 8
    .kernarg_segment_size: 336
    .language:       OpenCL C
    .language_version:
      - 2
      - 0
    .max_flat_workgroup_size: 64
    .name:           _ZL36rocblas_hemvn_kernel_lower_block_sumILi64ElfPffEviT1_lS1_lT2_lT0_lPT3_i
    .private_segment_fixed_size: 0
    .sgpr_count:     30
    .sgpr_spill_count: 0
    .symbol:         _ZL36rocblas_hemvn_kernel_lower_block_sumILi64ElfPffEviT1_lS1_lT2_lT0_lPT3_i.kd
    .uniform_work_group_size: 1
    .uses_dynamic_stack: false
    .vgpr_count:     8
    .vgpr_spill_count: 0
    .wavefront_size: 32
  - .args:
      - .offset:         0
        .size:           4
        .value_kind:     by_value
      - .offset:         4
        .size:           4
        .value_kind:     by_value
      - .offset:         8
        .size:           8
        .value_kind:     by_value
      - .address_space:  global
        .offset:         16
        .size:           8
        .value_kind:     global_buffer
      - .offset:         24
        .size:           8
        .value_kind:     by_value
      - .offset:         32
        .size:           4
        .value_kind:     by_value
      - .offset:         40
        .size:           8
        .value_kind:     by_value
      - .address_space:  global
        .offset:         48
        .size:           8
        .value_kind:     global_buffer
      - .offset:         56
        .size:           8
        .value_kind:     by_value
      - .offset:         64
        .size:           4
        .value_kind:     by_value
      - .offset:         72
        .size:           8
        .value_kind:     by_value
      - .offset:         80
        .size:           4
        .value_kind:     by_value
      - .offset:         88
        .size:           8
        .value_kind:     by_value
      - .address_space:  global
        .offset:         96
        .size:           8
        .value_kind:     global_buffer
      - .offset:         104
        .size:           4
        .value_kind:     by_value
      - .offset:         112
        .size:           4
        .value_kind:     hidden_block_count_x
      - .offset:         116
        .size:           4
        .value_kind:     hidden_block_count_y
      - .offset:         120
        .size:           4
        .value_kind:     hidden_block_count_z
      - .offset:         124
        .size:           2
        .value_kind:     hidden_group_size_x
      - .offset:         126
        .size:           2
        .value_kind:     hidden_group_size_y
      - .offset:         128
        .size:           2
        .value_kind:     hidden_group_size_z
      - .offset:         130
        .size:           2
        .value_kind:     hidden_remainder_x
      - .offset:         132
        .size:           2
        .value_kind:     hidden_remainder_y
      - .offset:         134
        .size:           2
        .value_kind:     hidden_remainder_z
      - .offset:         152
        .size:           8
        .value_kind:     hidden_global_offset_x
      - .offset:         160
        .size:           8
        .value_kind:     hidden_global_offset_y
      - .offset:         168
        .size:           8
        .value_kind:     hidden_global_offset_z
      - .offset:         176
        .size:           2
        .value_kind:     hidden_grid_dims
    .group_segment_fixed_size: 4800
    .kernarg_segment_align: 8
    .kernarg_segment_size: 368
    .language:       OpenCL C
    .language_version:
      - 2
      - 0
    .max_flat_workgroup_size: 256
    .name:           _ZL26rocblas_hemvn_kernel_lowerILb0ELi64ELi4ELi33ELi32ELi16EifPKfPfEviT6_lT7_lT5_lS4_lS5_lS3_lT8_i
    .private_segment_fixed_size: 0
    .sgpr_count:     102
    .sgpr_spill_count: 0
    .symbol:         _ZL26rocblas_hemvn_kernel_lowerILb0ELi64ELi4ELi33ELi32ELi16EifPKfPfEviT6_lT7_lT5_lS4_lS5_lS3_lT8_i.kd
    .uniform_work_group_size: 1
    .uses_dynamic_stack: false
    .vgpr_count:     92
    .vgpr_spill_count: 0
    .wavefront_size: 32
  - .args:
      - .offset:         0
        .size:           4
        .value_kind:     by_value
      - .offset:         4
        .size:           4
        .value_kind:     by_value
      - .offset:         8
        .size:           8
        .value_kind:     by_value
      - .offset:         16
        .size:           4
        .value_kind:     by_value
      - .offset:         24
        .size:           8
        .value_kind:     by_value
      - .address_space:  global
        .offset:         32
        .size:           8
        .value_kind:     global_buffer
      - .offset:         40
        .size:           8
        .value_kind:     by_value
      - .offset:         48
        .size:           4
        .value_kind:     by_value
      - .offset:         56
        .size:           8
        .value_kind:     by_value
      - .actual_access:  read_only
        .address_space:  global
        .offset:         64
        .size:           8
        .value_kind:     global_buffer
      - .offset:         72
        .size:           4
        .value_kind:     by_value
      - .offset:         80
        .size:           4
        .value_kind:     hidden_block_count_x
      - .offset:         84
        .size:           4
        .value_kind:     hidden_block_count_y
      - .offset:         88
        .size:           4
        .value_kind:     hidden_block_count_z
      - .offset:         92
        .size:           2
        .value_kind:     hidden_group_size_x
      - .offset:         94
        .size:           2
        .value_kind:     hidden_group_size_y
      - .offset:         96
        .size:           2
        .value_kind:     hidden_group_size_z
      - .offset:         98
        .size:           2
        .value_kind:     hidden_remainder_x
      - .offset:         100
        .size:           2
        .value_kind:     hidden_remainder_y
      - .offset:         102
        .size:           2
        .value_kind:     hidden_remainder_z
      - .offset:         120
        .size:           8
        .value_kind:     hidden_global_offset_x
      - .offset:         128
        .size:           8
        .value_kind:     hidden_global_offset_y
      - .offset:         136
        .size:           8
        .value_kind:     hidden_global_offset_z
      - .offset:         144
        .size:           2
        .value_kind:     hidden_grid_dims
    .group_segment_fixed_size: 0
    .kernarg_segment_align: 8
    .kernarg_segment_size: 336
    .language:       OpenCL C
    .language_version:
      - 2
      - 0
    .max_flat_workgroup_size: 64
    .name:           _ZL36rocblas_hemvn_kernel_lower_block_sumILi64EifPffEviT1_lS1_lT2_lT0_lPT3_i
    .private_segment_fixed_size: 0
    .sgpr_count:     30
    .sgpr_spill_count: 0
    .symbol:         _ZL36rocblas_hemvn_kernel_lower_block_sumILi64EifPffEviT1_lS1_lT2_lT0_lPT3_i.kd
    .uniform_work_group_size: 1
    .uses_dynamic_stack: false
    .vgpr_count:     8
    .vgpr_spill_count: 0
    .wavefront_size: 32
  - .args:
      - .offset:         0
        .size:           1
        .value_kind:     by_value
      - .offset:         4
        .size:           4
        .value_kind:     by_value
      - .offset:         8
        .size:           8
        .value_kind:     by_value
      - .offset:         16
        .size:           8
        .value_kind:     by_value
      - .address_space:  global
        .offset:         24
        .size:           8
        .value_kind:     global_buffer
      - .offset:         32
        .size:           8
        .value_kind:     by_value
      - .offset:         40
        .size:           8
        .value_kind:     by_value
      - .offset:         48
        .size:           8
        .value_kind:     by_value
      - .address_space:  global
        .offset:         56
        .size:           8
        .value_kind:     global_buffer
      - .offset:         64
        .size:           8
        .value_kind:     by_value
      - .offset:         72
        .size:           8
        .value_kind:     by_value
      - .offset:         80
        .size:           8
        .value_kind:     by_value
      - .offset:         88
        .size:           8
        .value_kind:     by_value
      - .offset:         96
        .size:           8
        .value_kind:     by_value
      - .address_space:  global
        .offset:         104
        .size:           8
        .value_kind:     global_buffer
      - .offset:         112
        .size:           8
        .value_kind:     by_value
      - .offset:         120
        .size:           8
        .value_kind:     by_value
      - .offset:         128
        .size:           8
        .value_kind:     by_value
      - .offset:         136
        .size:           4
        .value_kind:     by_value
    .group_segment_fixed_size: 12544
    .kernarg_segment_align: 8
    .kernarg_segment_size: 140
    .language:       OpenCL C
    .language_version:
      - 2
      - 0
    .max_flat_workgroup_size: 128
    .name:           _ZL50rocblas_symv_kernel_upper_double_buffered_diagonalILi32ELi4E24rocblas_internal_val_ptrIdEPKdPdEvbiT1_lT2_lllS6_lllS5_lT3_llli
    .private_segment_fixed_size: 0
    .sgpr_count:     42
    .sgpr_spill_count: 0
    .symbol:         _ZL50rocblas_symv_kernel_upper_double_buffered_diagonalILi32ELi4E24rocblas_internal_val_ptrIdEPKdPdEvbiT1_lT2_lllS6_lllS5_lT3_llli.kd
    .uniform_work_group_size: 1
    .uses_dynamic_stack: false
    .vgpr_count:     46
    .vgpr_spill_count: 0
    .wavefront_size: 32
  - .args:
      - .offset:         0
        .size:           1
        .value_kind:     by_value
      - .offset:         4
        .size:           4
        .value_kind:     by_value
      - .offset:         8
        .size:           8
        .value_kind:     by_value
      - .offset:         16
        .size:           8
        .value_kind:     by_value
      - .address_space:  global
        .offset:         24
        .size:           8
        .value_kind:     global_buffer
      - .offset:         32
        .size:           8
        .value_kind:     by_value
      - .offset:         40
        .size:           8
        .value_kind:     by_value
      - .offset:         48
        .size:           8
        .value_kind:     by_value
      - .address_space:  global
        .offset:         56
        .size:           8
        .value_kind:     global_buffer
      - .offset:         64
        .size:           8
        .value_kind:     by_value
      - .offset:         72
        .size:           8
        .value_kind:     by_value
      - .offset:         80
        .size:           8
        .value_kind:     by_value
      - .address_space:  global
        .offset:         88
        .size:           8
        .value_kind:     global_buffer
      - .offset:         96
        .size:           8
        .value_kind:     by_value
      - .offset:         104
        .size:           8
        .value_kind:     by_value
      - .offset:         112
        .size:           8
        .value_kind:     by_value
      - .offset:         120
        .size:           4
        .value_kind:     by_value
      - .offset:         128
        .size:           4
        .value_kind:     hidden_block_count_x
      - .offset:         132
        .size:           4
        .value_kind:     hidden_block_count_y
      - .offset:         136
        .size:           4
        .value_kind:     hidden_block_count_z
      - .offset:         140
        .size:           2
        .value_kind:     hidden_group_size_x
      - .offset:         142
        .size:           2
        .value_kind:     hidden_group_size_y
      - .offset:         144
        .size:           2
        .value_kind:     hidden_group_size_z
      - .offset:         146
        .size:           2
        .value_kind:     hidden_remainder_x
      - .offset:         148
        .size:           2
        .value_kind:     hidden_remainder_y
      - .offset:         150
        .size:           2
        .value_kind:     hidden_remainder_z
      - .offset:         168
        .size:           8
        .value_kind:     hidden_global_offset_x
      - .offset:         176
        .size:           8
        .value_kind:     hidden_global_offset_y
      - .offset:         184
        .size:           8
        .value_kind:     hidden_global_offset_z
      - .offset:         192
        .size:           2
        .value_kind:     hidden_grid_dims
    .group_segment_fixed_size: 7424
    .kernarg_segment_align: 8
    .kernarg_segment_size: 384
    .language:       OpenCL C
    .language_version:
      - 2
      - 0
    .max_flat_workgroup_size: 128
    .name:           _ZL54rocblas_symv_kernel_upper_double_buffered_non_diagonalILi32ELi4ELi4E24rocblas_internal_val_ptrIdEPKdPdEvbiT2_lT3_lllS6_lllT4_llli
    .private_segment_fixed_size: 0
    .sgpr_count:     73
    .sgpr_spill_count: 0
    .symbol:         _ZL54rocblas_symv_kernel_upper_double_buffered_non_diagonalILi32ELi4ELi4E24rocblas_internal_val_ptrIdEPKdPdEvbiT2_lT3_lllS6_lllT4_llli.kd
    .uniform_work_group_size: 1
    .uses_dynamic_stack: false
    .vgpr_count:     110
    .vgpr_spill_count: 0
    .wavefront_size: 32
  - .args:
      - .offset:         0
        .size:           1
        .value_kind:     by_value
      - .offset:         4
        .size:           4
        .value_kind:     by_value
      - .offset:         8
        .size:           8
        .value_kind:     by_value
      - .offset:         16
        .size:           8
        .value_kind:     by_value
      - .address_space:  global
        .offset:         24
        .size:           8
        .value_kind:     global_buffer
      - .offset:         32
        .size:           8
        .value_kind:     by_value
      - .offset:         40
        .size:           8
        .value_kind:     by_value
      - .offset:         48
        .size:           8
        .value_kind:     by_value
      - .address_space:  global
        .offset:         56
        .size:           8
        .value_kind:     global_buffer
      - .offset:         64
        .size:           8
        .value_kind:     by_value
      - .offset:         72
        .size:           8
        .value_kind:     by_value
      - .offset:         80
        .size:           8
        .value_kind:     by_value
      - .offset:         88
        .size:           8
        .value_kind:     by_value
      - .offset:         96
        .size:           8
        .value_kind:     by_value
      - .address_space:  global
        .offset:         104
        .size:           8
        .value_kind:     global_buffer
      - .offset:         112
        .size:           8
        .value_kind:     by_value
      - .offset:         120
        .size:           8
        .value_kind:     by_value
      - .offset:         128
        .size:           8
        .value_kind:     by_value
      - .offset:         136
        .size:           4
        .value_kind:     by_value
      - .offset:         140
        .size:           4
        .value_kind:     by_value
      - .offset:         144
        .size:           4
        .value_kind:     hidden_block_count_x
      - .offset:         148
        .size:           4
        .value_kind:     hidden_block_count_y
      - .offset:         152
        .size:           4
        .value_kind:     hidden_block_count_z
      - .offset:         156
        .size:           2
        .value_kind:     hidden_group_size_x
      - .offset:         158
        .size:           2
        .value_kind:     hidden_group_size_y
      - .offset:         160
        .size:           2
        .value_kind:     hidden_group_size_z
      - .offset:         162
        .size:           2
        .value_kind:     hidden_remainder_x
      - .offset:         164
        .size:           2
        .value_kind:     hidden_remainder_y
      - .offset:         166
        .size:           2
        .value_kind:     hidden_remainder_z
      - .offset:         184
        .size:           8
        .value_kind:     hidden_global_offset_x
      - .offset:         192
        .size:           8
        .value_kind:     hidden_global_offset_y
      - .offset:         200
        .size:           8
        .value_kind:     hidden_global_offset_z
      - .offset:         208
        .size:           2
        .value_kind:     hidden_grid_dims
    .group_segment_fixed_size: 16640
    .kernarg_segment_align: 8
    .kernarg_segment_size: 400
    .language:       OpenCL C
    .language_version:
      - 2
      - 0
    .max_flat_workgroup_size: 256
    .name:           _ZL58rocblas_symv_kernel_upper_double_buffered_diagonal_genericILi32ELi8E24rocblas_internal_val_ptrIdEPKdPdEvbiT1_lT2_lllS6_lllS5_lT3_lllii
    .private_segment_fixed_size: 0
    .sgpr_count:     53
    .sgpr_spill_count: 0
    .symbol:         _ZL58rocblas_symv_kernel_upper_double_buffered_diagonal_genericILi32ELi8E24rocblas_internal_val_ptrIdEPKdPdEvbiT1_lT2_lllS6_lllS5_lT3_lllii.kd
    .uniform_work_group_size: 1
    .uses_dynamic_stack: false
    .vgpr_count:     44
    .vgpr_spill_count: 0
    .wavefront_size: 32
  - .args:
      - .offset:         0
        .size:           1
        .value_kind:     by_value
      - .offset:         4
        .size:           4
        .value_kind:     by_value
      - .offset:         8
        .size:           8
        .value_kind:     by_value
      - .offset:         16
        .size:           8
        .value_kind:     by_value
      - .address_space:  global
        .offset:         24
        .size:           8
        .value_kind:     global_buffer
      - .offset:         32
        .size:           8
        .value_kind:     by_value
      - .offset:         40
        .size:           8
        .value_kind:     by_value
      - .offset:         48
        .size:           8
        .value_kind:     by_value
      - .address_space:  global
        .offset:         56
        .size:           8
        .value_kind:     global_buffer
      - .offset:         64
        .size:           8
        .value_kind:     by_value
      - .offset:         72
        .size:           8
        .value_kind:     by_value
      - .offset:         80
        .size:           8
        .value_kind:     by_value
      - .address_space:  global
        .offset:         88
        .size:           8
        .value_kind:     global_buffer
      - .offset:         96
        .size:           8
        .value_kind:     by_value
      - .offset:         104
        .size:           8
        .value_kind:     by_value
      - .offset:         112
        .size:           8
        .value_kind:     by_value
      - .offset:         120
        .size:           4
        .value_kind:     by_value
      - .offset:         124
        .size:           4
        .value_kind:     by_value
      - .offset:         128
        .size:           4
        .value_kind:     hidden_block_count_x
      - .offset:         132
        .size:           4
        .value_kind:     hidden_block_count_y
      - .offset:         136
        .size:           4
        .value_kind:     hidden_block_count_z
      - .offset:         140
        .size:           2
        .value_kind:     hidden_group_size_x
      - .offset:         142
        .size:           2
        .value_kind:     hidden_group_size_y
      - .offset:         144
        .size:           2
        .value_kind:     hidden_group_size_z
      - .offset:         146
        .size:           2
        .value_kind:     hidden_remainder_x
      - .offset:         148
        .size:           2
        .value_kind:     hidden_remainder_y
      - .offset:         150
        .size:           2
        .value_kind:     hidden_remainder_z
      - .offset:         168
        .size:           8
        .value_kind:     hidden_global_offset_x
      - .offset:         176
        .size:           8
        .value_kind:     hidden_global_offset_y
      - .offset:         184
        .size:           8
        .value_kind:     hidden_global_offset_z
      - .offset:         192
        .size:           2
        .value_kind:     hidden_grid_dims
    .group_segment_fixed_size: 10496
    .kernarg_segment_align: 8
    .kernarg_segment_size: 384
    .language:       OpenCL C
    .language_version:
      - 2
      - 0
    .max_flat_workgroup_size: 256
    .name:           _ZL62rocblas_symv_kernel_upper_double_buffered_non_diagonal_genericILi32ELi8ELi2ELi0E24rocblas_internal_val_ptrIdEPKdPdEvbiT3_lT4_lllS6_lllT5_lllii
    .private_segment_fixed_size: 0
    .sgpr_count:     75
    .sgpr_spill_count: 0
    .symbol:         _ZL62rocblas_symv_kernel_upper_double_buffered_non_diagonal_genericILi32ELi8ELi2ELi0E24rocblas_internal_val_ptrIdEPKdPdEvbiT3_lT4_lllS6_lllT5_lllii.kd
    .uniform_work_group_size: 1
    .uses_dynamic_stack: false
    .vgpr_count:     86
    .vgpr_spill_count: 0
    .wavefront_size: 32
  - .args:
      - .offset:         0
        .size:           1
        .value_kind:     by_value
      - .offset:         4
        .size:           4
        .value_kind:     by_value
      - .offset:         8
        .size:           8
        .value_kind:     by_value
      - .offset:         16
        .size:           8
        .value_kind:     by_value
      - .address_space:  global
        .offset:         24
        .size:           8
        .value_kind:     global_buffer
      - .offset:         32
        .size:           8
        .value_kind:     by_value
      - .offset:         40
        .size:           8
        .value_kind:     by_value
      - .offset:         48
        .size:           8
        .value_kind:     by_value
      - .address_space:  global
        .offset:         56
        .size:           8
        .value_kind:     global_buffer
      - .offset:         64
        .size:           8
        .value_kind:     by_value
      - .offset:         72
        .size:           8
        .value_kind:     by_value
      - .offset:         80
        .size:           8
        .value_kind:     by_value
      - .address_space:  global
        .offset:         88
        .size:           8
        .value_kind:     global_buffer
      - .offset:         96
        .size:           8
        .value_kind:     by_value
      - .offset:         104
        .size:           8
        .value_kind:     by_value
      - .offset:         112
        .size:           8
        .value_kind:     by_value
      - .offset:         120
        .size:           4
        .value_kind:     by_value
      - .offset:         124
        .size:           4
        .value_kind:     by_value
      - .offset:         128
        .size:           4
        .value_kind:     hidden_block_count_x
      - .offset:         132
        .size:           4
        .value_kind:     hidden_block_count_y
      - .offset:         136
        .size:           4
        .value_kind:     hidden_block_count_z
      - .offset:         140
        .size:           2
        .value_kind:     hidden_group_size_x
      - .offset:         142
        .size:           2
        .value_kind:     hidden_group_size_y
      - .offset:         144
        .size:           2
        .value_kind:     hidden_group_size_z
      - .offset:         146
        .size:           2
        .value_kind:     hidden_remainder_x
      - .offset:         148
        .size:           2
        .value_kind:     hidden_remainder_y
      - .offset:         150
        .size:           2
        .value_kind:     hidden_remainder_z
      - .offset:         168
        .size:           8
        .value_kind:     hidden_global_offset_x
      - .offset:         176
        .size:           8
        .value_kind:     hidden_global_offset_y
      - .offset:         184
        .size:           8
        .value_kind:     hidden_global_offset_z
      - .offset:         192
        .size:           2
        .value_kind:     hidden_grid_dims
    .group_segment_fixed_size: 10496
    .kernarg_segment_align: 8
    .kernarg_segment_size: 384
    .language:       OpenCL C
    .language_version:
      - 2
      - 0
    .max_flat_workgroup_size: 256
    .name:           _ZL62rocblas_symv_kernel_upper_double_buffered_non_diagonal_genericILi32ELi8ELi2ELi1E24rocblas_internal_val_ptrIdEPKdPdEvbiT3_lT4_lllS6_lllT5_lllii
    .private_segment_fixed_size: 0
    .sgpr_count:     73
    .sgpr_spill_count: 0
    .symbol:         _ZL62rocblas_symv_kernel_upper_double_buffered_non_diagonal_genericILi32ELi8ELi2ELi1E24rocblas_internal_val_ptrIdEPKdPdEvbiT3_lT4_lllS6_lllT5_lllii.kd
    .uniform_work_group_size: 1
    .uses_dynamic_stack: false
    .vgpr_count:     88
    .vgpr_spill_count: 0
    .wavefront_size: 32
  - .args:
      - .offset:         0
        .size:           4
        .value_kind:     by_value
      - .address_space:  global
        .offset:         8
        .size:           8
        .value_kind:     global_buffer
      - .offset:         16
        .size:           8
        .value_kind:     by_value
      - .address_space:  global
        .offset:         24
        .size:           8
        .value_kind:     global_buffer
      - .offset:         32
        .size:           8
        .value_kind:     by_value
      - .offset:         40
        .size:           8
        .value_kind:     by_value
      - .offset:         48
        .size:           8
        .value_kind:     by_value
      - .address_space:  global
        .offset:         56
        .size:           8
        .value_kind:     global_buffer
      - .offset:         64
        .size:           8
        .value_kind:     by_value
      - .offset:         72
        .size:           8
        .value_kind:     by_value
      - .offset:         80
        .size:           8
        .value_kind:     by_value
      - .address_space:  global
        .offset:         88
        .size:           8
        .value_kind:     global_buffer
      - .offset:         96
        .size:           8
        .value_kind:     by_value
      - .address_space:  global
        .offset:         104
        .size:           8
        .value_kind:     global_buffer
      - .offset:         112
        .size:           4
        .value_kind:     by_value
      - .offset:         120
        .size:           4
        .value_kind:     hidden_block_count_x
      - .offset:         124
        .size:           4
        .value_kind:     hidden_block_count_y
      - .offset:         128
        .size:           4
        .value_kind:     hidden_block_count_z
      - .offset:         132
        .size:           2
        .value_kind:     hidden_group_size_x
      - .offset:         134
        .size:           2
        .value_kind:     hidden_group_size_y
      - .offset:         136
        .size:           2
        .value_kind:     hidden_group_size_z
      - .offset:         138
        .size:           2
        .value_kind:     hidden_remainder_x
      - .offset:         140
        .size:           2
        .value_kind:     hidden_remainder_y
      - .offset:         142
        .size:           2
        .value_kind:     hidden_remainder_z
      - .offset:         160
        .size:           8
        .value_kind:     hidden_global_offset_x
      - .offset:         168
        .size:           8
        .value_kind:     hidden_global_offset_y
      - .offset:         176
        .size:           8
        .value_kind:     hidden_global_offset_z
      - .offset:         184
        .size:           2
        .value_kind:     hidden_grid_dims
    .group_segment_fixed_size: 9600
    .kernarg_segment_align: 8
    .kernarg_segment_size: 376
    .language:       OpenCL C
    .language_version:
      - 2
      - 0
    .max_flat_workgroup_size: 256
    .name:           _ZL26rocblas_hemvn_kernel_upperILb0ELi64ELi4ELi33ELi32ELi16ElPKdS1_PdEviT6_lT7_lT5_lS4_lS5_lS3_lT8_i
    .private_segment_fixed_size: 0
    .sgpr_count:     82
    .sgpr_spill_count: 0
    .symbol:         _ZL26rocblas_hemvn_kernel_upperILb0ELi64ELi4ELi33ELi32ELi16ElPKdS1_PdEviT6_lT7_lT5_lS4_lS5_lS3_lT8_i.kd
    .uniform_work_group_size: 1
    .uses_dynamic_stack: false
    .vgpr_count:     214
    .vgpr_spill_count: 0
    .wavefront_size: 32
  - .args:
      - .offset:         0
        .size:           4
        .value_kind:     by_value
      - .address_space:  global
        .offset:         8
        .size:           8
        .value_kind:     global_buffer
      - .offset:         16
        .size:           8
        .value_kind:     by_value
      - .address_space:  global
        .offset:         24
        .size:           8
        .value_kind:     global_buffer
      - .offset:         32
        .size:           8
        .value_kind:     by_value
      - .address_space:  global
        .offset:         40
        .size:           8
        .value_kind:     global_buffer
      - .offset:         48
        .size:           8
        .value_kind:     by_value
      - .offset:         56
        .size:           8
        .value_kind:     by_value
      - .offset:         64
        .size:           8
        .value_kind:     by_value
      - .address_space:  global
        .offset:         72
        .size:           8
        .value_kind:     global_buffer
      - .offset:         80
        .size:           4
        .value_kind:     by_value
      - .offset:         88
        .size:           4
        .value_kind:     hidden_block_count_x
      - .offset:         92
        .size:           4
        .value_kind:     hidden_block_count_y
      - .offset:         96
        .size:           4
        .value_kind:     hidden_block_count_z
      - .offset:         100
        .size:           2
        .value_kind:     hidden_group_size_x
      - .offset:         102
        .size:           2
        .value_kind:     hidden_group_size_y
      - .offset:         104
        .size:           2
        .value_kind:     hidden_group_size_z
      - .offset:         106
        .size:           2
        .value_kind:     hidden_remainder_x
      - .offset:         108
        .size:           2
        .value_kind:     hidden_remainder_y
      - .offset:         110
        .size:           2
        .value_kind:     hidden_remainder_z
      - .offset:         128
        .size:           8
        .value_kind:     hidden_global_offset_x
      - .offset:         136
        .size:           8
        .value_kind:     hidden_global_offset_y
      - .offset:         144
        .size:           8
        .value_kind:     hidden_global_offset_z
      - .offset:         152
        .size:           2
        .value_kind:     hidden_grid_dims
    .group_segment_fixed_size: 0
    .kernarg_segment_align: 8
    .kernarg_segment_size: 344
    .language:       OpenCL C
    .language_version:
      - 2
      - 0
    .max_flat_workgroup_size: 64
    .name:           _ZL36rocblas_hemvn_kernel_upper_block_sumILi64ElPKdPddEviT1_lS3_lT2_lT0_lPT3_i
    .private_segment_fixed_size: 0
    .sgpr_count:     34
    .sgpr_spill_count: 0
    .symbol:         _ZL36rocblas_hemvn_kernel_upper_block_sumILi64ElPKdPddEviT1_lS3_lT2_lT0_lPT3_i.kd
    .uniform_work_group_size: 1
    .uses_dynamic_stack: false
    .vgpr_count:     10
    .vgpr_spill_count: 0
    .wavefront_size: 32
  - .args:
      - .offset:         0
        .size:           4
        .value_kind:     by_value
      - .address_space:  global
        .offset:         8
        .size:           8
        .value_kind:     global_buffer
      - .offset:         16
        .size:           8
        .value_kind:     by_value
      - .address_space:  global
        .offset:         24
        .size:           8
        .value_kind:     global_buffer
      - .offset:         32
        .size:           8
        .value_kind:     by_value
      - .offset:         40
        .size:           4
        .value_kind:     by_value
      - .offset:         48
        .size:           8
        .value_kind:     by_value
      - .address_space:  global
        .offset:         56
        .size:           8
        .value_kind:     global_buffer
      - .offset:         64
        .size:           8
        .value_kind:     by_value
      - .offset:         72
        .size:           4
        .value_kind:     by_value
      - .offset:         80
        .size:           8
        .value_kind:     by_value
      - .address_space:  global
        .offset:         88
        .size:           8
        .value_kind:     global_buffer
      - .offset:         96
        .size:           8
        .value_kind:     by_value
      - .address_space:  global
        .offset:         104
        .size:           8
        .value_kind:     global_buffer
      - .offset:         112
        .size:           4
        .value_kind:     by_value
      - .offset:         120
        .size:           4
        .value_kind:     hidden_block_count_x
      - .offset:         124
        .size:           4
        .value_kind:     hidden_block_count_y
      - .offset:         128
        .size:           4
        .value_kind:     hidden_block_count_z
      - .offset:         132
        .size:           2
        .value_kind:     hidden_group_size_x
      - .offset:         134
        .size:           2
        .value_kind:     hidden_group_size_y
      - .offset:         136
        .size:           2
        .value_kind:     hidden_group_size_z
      - .offset:         138
        .size:           2
        .value_kind:     hidden_remainder_x
      - .offset:         140
        .size:           2
        .value_kind:     hidden_remainder_y
      - .offset:         142
        .size:           2
        .value_kind:     hidden_remainder_z
      - .offset:         160
        .size:           8
        .value_kind:     hidden_global_offset_x
      - .offset:         168
        .size:           8
        .value_kind:     hidden_global_offset_y
      - .offset:         176
        .size:           8
        .value_kind:     hidden_global_offset_z
      - .offset:         184
        .size:           2
        .value_kind:     hidden_grid_dims
    .group_segment_fixed_size: 9600
    .kernarg_segment_align: 8
    .kernarg_segment_size: 376
    .language:       OpenCL C
    .language_version:
      - 2
      - 0
    .max_flat_workgroup_size: 256
    .name:           _ZL26rocblas_hemvn_kernel_upperILb0ELi64ELi4ELi33ELi32ELi16EiPKdS1_PdEviT6_lT7_lT5_lS4_lS5_lS3_lT8_i
    .private_segment_fixed_size: 0
    .sgpr_count:     106
    .sgpr_spill_count: 0
    .symbol:         _ZL26rocblas_hemvn_kernel_upperILb0ELi64ELi4ELi33ELi32ELi16EiPKdS1_PdEviT6_lT7_lT5_lS4_lS5_lS3_lT8_i.kd
    .uniform_work_group_size: 1
    .uses_dynamic_stack: false
    .vgpr_count:     220
    .vgpr_spill_count: 0
    .wavefront_size: 32
  - .args:
      - .offset:         0
        .size:           4
        .value_kind:     by_value
      - .address_space:  global
        .offset:         8
        .size:           8
        .value_kind:     global_buffer
      - .offset:         16
        .size:           8
        .value_kind:     by_value
      - .address_space:  global
        .offset:         24
        .size:           8
        .value_kind:     global_buffer
      - .offset:         32
        .size:           8
        .value_kind:     by_value
      - .address_space:  global
        .offset:         40
        .size:           8
        .value_kind:     global_buffer
      - .offset:         48
        .size:           8
        .value_kind:     by_value
      - .offset:         56
        .size:           4
        .value_kind:     by_value
      - .offset:         64
        .size:           8
        .value_kind:     by_value
      - .address_space:  global
        .offset:         72
        .size:           8
        .value_kind:     global_buffer
      - .offset:         80
        .size:           4
        .value_kind:     by_value
      - .offset:         88
        .size:           4
        .value_kind:     hidden_block_count_x
      - .offset:         92
        .size:           4
        .value_kind:     hidden_block_count_y
      - .offset:         96
        .size:           4
        .value_kind:     hidden_block_count_z
      - .offset:         100
        .size:           2
        .value_kind:     hidden_group_size_x
      - .offset:         102
        .size:           2
        .value_kind:     hidden_group_size_y
      - .offset:         104
        .size:           2
        .value_kind:     hidden_group_size_z
      - .offset:         106
        .size:           2
        .value_kind:     hidden_remainder_x
      - .offset:         108
        .size:           2
        .value_kind:     hidden_remainder_y
      - .offset:         110
        .size:           2
        .value_kind:     hidden_remainder_z
      - .offset:         128
        .size:           8
        .value_kind:     hidden_global_offset_x
      - .offset:         136
        .size:           8
        .value_kind:     hidden_global_offset_y
      - .offset:         144
        .size:           8
        .value_kind:     hidden_global_offset_z
      - .offset:         152
        .size:           2
        .value_kind:     hidden_grid_dims
    .group_segment_fixed_size: 0
    .kernarg_segment_align: 8
    .kernarg_segment_size: 344
    .language:       OpenCL C
    .language_version:
      - 2
      - 0
    .max_flat_workgroup_size: 64
    .name:           _ZL36rocblas_hemvn_kernel_upper_block_sumILi64EiPKdPddEviT1_lS3_lT2_lT0_lPT3_i
    .private_segment_fixed_size: 0
    .sgpr_count:     34
    .sgpr_spill_count: 0
    .symbol:         _ZL36rocblas_hemvn_kernel_upper_block_sumILi64EiPKdPddEviT1_lS3_lT2_lT0_lPT3_i.kd
    .uniform_work_group_size: 1
    .uses_dynamic_stack: false
    .vgpr_count:     10
    .vgpr_spill_count: 0
    .wavefront_size: 32
  - .args:
      - .offset:         0
        .size:           4
        .value_kind:     by_value
      - .offset:         8
        .size:           8
        .value_kind:     by_value
      - .offset:         16
        .size:           8
        .value_kind:     by_value
      - .address_space:  global
        .offset:         24
        .size:           8
        .value_kind:     global_buffer
      - .offset:         32
        .size:           8
        .value_kind:     by_value
      - .offset:         40
        .size:           8
        .value_kind:     by_value
      - .offset:         48
        .size:           8
        .value_kind:     by_value
      - .address_space:  global
        .offset:         56
        .size:           8
        .value_kind:     global_buffer
      - .offset:         64
        .size:           8
        .value_kind:     by_value
      - .offset:         72
        .size:           8
        .value_kind:     by_value
      - .offset:         80
        .size:           8
        .value_kind:     by_value
      - .offset:         88
        .size:           8
        .value_kind:     by_value
      - .offset:         96
        .size:           8
        .value_kind:     by_value
      - .address_space:  global
        .offset:         104
        .size:           8
        .value_kind:     global_buffer
      - .offset:         112
        .size:           4
        .value_kind:     by_value
      - .offset:         120
        .size:           4
        .value_kind:     hidden_block_count_x
      - .offset:         124
        .size:           4
        .value_kind:     hidden_block_count_y
      - .offset:         128
        .size:           4
        .value_kind:     hidden_block_count_z
      - .offset:         132
        .size:           2
        .value_kind:     hidden_group_size_x
      - .offset:         134
        .size:           2
        .value_kind:     hidden_group_size_y
      - .offset:         136
        .size:           2
        .value_kind:     hidden_group_size_z
      - .offset:         138
        .size:           2
        .value_kind:     hidden_remainder_x
      - .offset:         140
        .size:           2
        .value_kind:     hidden_remainder_y
      - .offset:         142
        .size:           2
        .value_kind:     hidden_remainder_z
      - .offset:         160
        .size:           8
        .value_kind:     hidden_global_offset_x
      - .offset:         168
        .size:           8
        .value_kind:     hidden_global_offset_y
      - .offset:         176
        .size:           8
        .value_kind:     hidden_global_offset_z
      - .offset:         184
        .size:           2
        .value_kind:     hidden_grid_dims
    .group_segment_fixed_size: 9600
    .kernarg_segment_align: 8
    .kernarg_segment_size: 376
    .language:       OpenCL C
    .language_version:
      - 2
      - 0
    .max_flat_workgroup_size: 256
    .name:           _ZL26rocblas_hemvn_kernel_upperILb0ELi64ELi4ELi33ELi32ELi16EldPKdPdEviT6_lT7_lT5_lS4_lS5_lS3_lT8_i
    .private_segment_fixed_size: 0
    .sgpr_count:     74
    .sgpr_spill_count: 0
    .symbol:         _ZL26rocblas_hemvn_kernel_upperILb0ELi64ELi4ELi33ELi32ELi16EldPKdPdEviT6_lT7_lT5_lS4_lS5_lS3_lT8_i.kd
    .uniform_work_group_size: 1
    .uses_dynamic_stack: false
    .vgpr_count:     214
    .vgpr_spill_count: 0
    .wavefront_size: 32
  - .args:
      - .offset:         0
        .size:           4
        .value_kind:     by_value
      - .offset:         8
        .size:           8
        .value_kind:     by_value
      - .offset:         16
        .size:           8
        .value_kind:     by_value
      - .offset:         24
        .size:           8
        .value_kind:     by_value
      - .offset:         32
        .size:           8
        .value_kind:     by_value
      - .address_space:  global
        .offset:         40
        .size:           8
        .value_kind:     global_buffer
      - .offset:         48
        .size:           8
        .value_kind:     by_value
      - .offset:         56
        .size:           8
        .value_kind:     by_value
      - .offset:         64
        .size:           8
        .value_kind:     by_value
      - .address_space:  global
        .offset:         72
        .size:           8
        .value_kind:     global_buffer
      - .offset:         80
        .size:           4
        .value_kind:     by_value
      - .offset:         88
        .size:           4
        .value_kind:     hidden_block_count_x
      - .offset:         92
        .size:           4
        .value_kind:     hidden_block_count_y
      - .offset:         96
        .size:           4
        .value_kind:     hidden_block_count_z
      - .offset:         100
        .size:           2
        .value_kind:     hidden_group_size_x
      - .offset:         102
        .size:           2
        .value_kind:     hidden_group_size_y
      - .offset:         104
        .size:           2
        .value_kind:     hidden_group_size_z
      - .offset:         106
        .size:           2
        .value_kind:     hidden_remainder_x
      - .offset:         108
        .size:           2
        .value_kind:     hidden_remainder_y
      - .offset:         110
        .size:           2
        .value_kind:     hidden_remainder_z
      - .offset:         128
        .size:           8
        .value_kind:     hidden_global_offset_x
      - .offset:         136
        .size:           8
        .value_kind:     hidden_global_offset_y
      - .offset:         144
        .size:           8
        .value_kind:     hidden_global_offset_z
      - .offset:         152
        .size:           2
        .value_kind:     hidden_grid_dims
    .group_segment_fixed_size: 0
    .kernarg_segment_align: 8
    .kernarg_segment_size: 344
    .language:       OpenCL C
    .language_version:
      - 2
      - 0
    .max_flat_workgroup_size: 64
    .name:           _ZL36rocblas_hemvn_kernel_upper_block_sumILi64EldPddEviT1_lS1_lT2_lT0_lPT3_i
    .private_segment_fixed_size: 0
    .sgpr_count:     30
    .sgpr_spill_count: 0
    .symbol:         _ZL36rocblas_hemvn_kernel_upper_block_sumILi64EldPddEviT1_lS1_lT2_lT0_lPT3_i.kd
    .uniform_work_group_size: 1
    .uses_dynamic_stack: false
    .vgpr_count:     10
    .vgpr_spill_count: 0
    .wavefront_size: 32
  - .args:
      - .offset:         0
        .size:           4
        .value_kind:     by_value
      - .offset:         8
        .size:           8
        .value_kind:     by_value
      - .offset:         16
        .size:           8
        .value_kind:     by_value
      - .address_space:  global
        .offset:         24
        .size:           8
        .value_kind:     global_buffer
      - .offset:         32
        .size:           8
        .value_kind:     by_value
      - .offset:         40
        .size:           4
        .value_kind:     by_value
      - .offset:         48
        .size:           8
        .value_kind:     by_value
      - .address_space:  global
        .offset:         56
        .size:           8
        .value_kind:     global_buffer
      - .offset:         64
        .size:           8
        .value_kind:     by_value
      - .offset:         72
        .size:           4
        .value_kind:     by_value
      - .offset:         80
        .size:           8
        .value_kind:     by_value
      - .offset:         88
        .size:           8
        .value_kind:     by_value
      - .offset:         96
        .size:           8
        .value_kind:     by_value
      - .address_space:  global
        .offset:         104
        .size:           8
        .value_kind:     global_buffer
      - .offset:         112
        .size:           4
        .value_kind:     by_value
      - .offset:         120
        .size:           4
        .value_kind:     hidden_block_count_x
      - .offset:         124
        .size:           4
        .value_kind:     hidden_block_count_y
      - .offset:         128
        .size:           4
        .value_kind:     hidden_block_count_z
      - .offset:         132
        .size:           2
        .value_kind:     hidden_group_size_x
      - .offset:         134
        .size:           2
        .value_kind:     hidden_group_size_y
      - .offset:         136
        .size:           2
        .value_kind:     hidden_group_size_z
      - .offset:         138
        .size:           2
        .value_kind:     hidden_remainder_x
      - .offset:         140
        .size:           2
        .value_kind:     hidden_remainder_y
      - .offset:         142
        .size:           2
        .value_kind:     hidden_remainder_z
      - .offset:         160
        .size:           8
        .value_kind:     hidden_global_offset_x
      - .offset:         168
        .size:           8
        .value_kind:     hidden_global_offset_y
      - .offset:         176
        .size:           8
        .value_kind:     hidden_global_offset_z
      - .offset:         184
        .size:           2
        .value_kind:     hidden_grid_dims
    .group_segment_fixed_size: 9600
    .kernarg_segment_align: 8
    .kernarg_segment_size: 376
    .language:       OpenCL C
    .language_version:
      - 2
      - 0
    .max_flat_workgroup_size: 256
    .name:           _ZL26rocblas_hemvn_kernel_upperILb0ELi64ELi4ELi33ELi32ELi16EidPKdPdEviT6_lT7_lT5_lS4_lS5_lS3_lT8_i
    .private_segment_fixed_size: 0
    .sgpr_count:     101
    .sgpr_spill_count: 0
    .symbol:         _ZL26rocblas_hemvn_kernel_upperILb0ELi64ELi4ELi33ELi32ELi16EidPKdPdEviT6_lT7_lT5_lS4_lS5_lS3_lT8_i.kd
    .uniform_work_group_size: 1
    .uses_dynamic_stack: false
    .vgpr_count:     220
    .vgpr_spill_count: 0
    .wavefront_size: 32
  - .args:
      - .offset:         0
        .size:           4
        .value_kind:     by_value
      - .offset:         8
        .size:           8
        .value_kind:     by_value
      - .offset:         16
        .size:           8
        .value_kind:     by_value
      - .offset:         24
        .size:           8
        .value_kind:     by_value
      - .offset:         32
        .size:           8
        .value_kind:     by_value
      - .address_space:  global
        .offset:         40
        .size:           8
        .value_kind:     global_buffer
      - .offset:         48
        .size:           8
        .value_kind:     by_value
      - .offset:         56
        .size:           4
        .value_kind:     by_value
      - .offset:         64
        .size:           8
        .value_kind:     by_value
      - .address_space:  global
        .offset:         72
        .size:           8
        .value_kind:     global_buffer
      - .offset:         80
        .size:           4
        .value_kind:     by_value
      - .offset:         88
        .size:           4
        .value_kind:     hidden_block_count_x
      - .offset:         92
        .size:           4
        .value_kind:     hidden_block_count_y
      - .offset:         96
        .size:           4
        .value_kind:     hidden_block_count_z
      - .offset:         100
        .size:           2
        .value_kind:     hidden_group_size_x
      - .offset:         102
        .size:           2
        .value_kind:     hidden_group_size_y
      - .offset:         104
        .size:           2
        .value_kind:     hidden_group_size_z
      - .offset:         106
        .size:           2
        .value_kind:     hidden_remainder_x
      - .offset:         108
        .size:           2
        .value_kind:     hidden_remainder_y
      - .offset:         110
        .size:           2
        .value_kind:     hidden_remainder_z
      - .offset:         128
        .size:           8
        .value_kind:     hidden_global_offset_x
      - .offset:         136
        .size:           8
        .value_kind:     hidden_global_offset_y
      - .offset:         144
        .size:           8
        .value_kind:     hidden_global_offset_z
      - .offset:         152
        .size:           2
        .value_kind:     hidden_grid_dims
    .group_segment_fixed_size: 0
    .kernarg_segment_align: 8
    .kernarg_segment_size: 344
    .language:       OpenCL C
    .language_version:
      - 2
      - 0
    .max_flat_workgroup_size: 64
    .name:           _ZL36rocblas_hemvn_kernel_upper_block_sumILi64EidPddEviT1_lS1_lT2_lT0_lPT3_i
    .private_segment_fixed_size: 0
    .sgpr_count:     30
    .sgpr_spill_count: 0
    .symbol:         _ZL36rocblas_hemvn_kernel_upper_block_sumILi64EidPddEviT1_lS1_lT2_lT0_lPT3_i.kd
    .uniform_work_group_size: 1
    .uses_dynamic_stack: false
    .vgpr_count:     10
    .vgpr_spill_count: 0
    .wavefront_size: 32
  - .args:
      - .offset:         0
        .size:           1
        .value_kind:     by_value
      - .offset:         4
        .size:           4
        .value_kind:     by_value
      - .offset:         8
        .size:           8
        .value_kind:     by_value
      - .offset:         16
        .size:           8
        .value_kind:     by_value
      - .address_space:  global
        .offset:         24
        .size:           8
        .value_kind:     global_buffer
      - .offset:         32
        .size:           8
        .value_kind:     by_value
      - .offset:         40
        .size:           8
        .value_kind:     by_value
      - .offset:         48
        .size:           8
        .value_kind:     by_value
      - .address_space:  global
        .offset:         56
        .size:           8
        .value_kind:     global_buffer
      - .offset:         64
        .size:           8
        .value_kind:     by_value
      - .offset:         72
        .size:           8
        .value_kind:     by_value
      - .offset:         80
        .size:           8
        .value_kind:     by_value
      - .offset:         88
        .size:           8
        .value_kind:     by_value
      - .offset:         96
        .size:           8
        .value_kind:     by_value
      - .address_space:  global
        .offset:         104
        .size:           8
        .value_kind:     global_buffer
      - .offset:         112
        .size:           8
        .value_kind:     by_value
      - .offset:         120
        .size:           8
        .value_kind:     by_value
      - .offset:         128
        .size:           8
        .value_kind:     by_value
      - .offset:         136
        .size:           4
        .value_kind:     by_value
    .group_segment_fixed_size: 12544
    .kernarg_segment_align: 8
    .kernarg_segment_size: 140
    .language:       OpenCL C
    .language_version:
      - 2
      - 0
    .max_flat_workgroup_size: 128
    .name:           _ZL50rocblas_symv_kernel_lower_double_buffered_diagonalILi32ELi4E24rocblas_internal_val_ptrIdEPKdPdEvbiT1_lT2_lllS6_lllS5_lT3_llli
    .private_segment_fixed_size: 0
    .sgpr_count:     44
    .sgpr_spill_count: 0
    .symbol:         _ZL50rocblas_symv_kernel_lower_double_buffered_diagonalILi32ELi4E24rocblas_internal_val_ptrIdEPKdPdEvbiT1_lT2_lllS6_lllS5_lT3_llli.kd
    .uniform_work_group_size: 1
    .uses_dynamic_stack: false
    .vgpr_count:     44
    .vgpr_spill_count: 0
    .wavefront_size: 32
  - .args:
      - .offset:         0
        .size:           1
        .value_kind:     by_value
      - .offset:         4
        .size:           4
        .value_kind:     by_value
      - .offset:         8
        .size:           8
        .value_kind:     by_value
      - .offset:         16
        .size:           8
        .value_kind:     by_value
      - .address_space:  global
        .offset:         24
        .size:           8
        .value_kind:     global_buffer
      - .offset:         32
        .size:           8
        .value_kind:     by_value
      - .offset:         40
        .size:           8
        .value_kind:     by_value
      - .offset:         48
        .size:           8
        .value_kind:     by_value
      - .address_space:  global
        .offset:         56
        .size:           8
        .value_kind:     global_buffer
      - .offset:         64
        .size:           8
        .value_kind:     by_value
      - .offset:         72
        .size:           8
        .value_kind:     by_value
      - .offset:         80
        .size:           8
        .value_kind:     by_value
      - .address_space:  global
        .offset:         88
        .size:           8
        .value_kind:     global_buffer
      - .offset:         96
        .size:           8
        .value_kind:     by_value
      - .offset:         104
        .size:           8
        .value_kind:     by_value
      - .offset:         112
        .size:           8
        .value_kind:     by_value
      - .offset:         120
        .size:           4
        .value_kind:     by_value
      - .offset:         128
        .size:           4
        .value_kind:     hidden_block_count_x
      - .offset:         132
        .size:           4
        .value_kind:     hidden_block_count_y
      - .offset:         136
        .size:           4
        .value_kind:     hidden_block_count_z
      - .offset:         140
        .size:           2
        .value_kind:     hidden_group_size_x
      - .offset:         142
        .size:           2
        .value_kind:     hidden_group_size_y
      - .offset:         144
        .size:           2
        .value_kind:     hidden_group_size_z
      - .offset:         146
        .size:           2
        .value_kind:     hidden_remainder_x
      - .offset:         148
        .size:           2
        .value_kind:     hidden_remainder_y
      - .offset:         150
        .size:           2
        .value_kind:     hidden_remainder_z
      - .offset:         168
        .size:           8
        .value_kind:     hidden_global_offset_x
      - .offset:         176
        .size:           8
        .value_kind:     hidden_global_offset_y
      - .offset:         184
        .size:           8
        .value_kind:     hidden_global_offset_z
      - .offset:         192
        .size:           2
        .value_kind:     hidden_grid_dims
    .group_segment_fixed_size: 7424
    .kernarg_segment_align: 8
    .kernarg_segment_size: 384
    .language:       OpenCL C
    .language_version:
      - 2
      - 0
    .max_flat_workgroup_size: 128
    .name:           _ZL54rocblas_symv_kernel_lower_double_buffered_non_diagonalILi32ELi4ELi4E24rocblas_internal_val_ptrIdEPKdPdEvbiT2_lT3_lllS6_lllT4_llli
    .private_segment_fixed_size: 0
    .sgpr_count:     70
    .sgpr_spill_count: 0
    .symbol:         _ZL54rocblas_symv_kernel_lower_double_buffered_non_diagonalILi32ELi4ELi4E24rocblas_internal_val_ptrIdEPKdPdEvbiT2_lT3_lllS6_lllT4_llli.kd
    .uniform_work_group_size: 1
    .uses_dynamic_stack: false
    .vgpr_count:     100
    .vgpr_spill_count: 0
    .wavefront_size: 32
  - .args:
      - .offset:         0
        .size:           1
        .value_kind:     by_value
      - .offset:         4
        .size:           4
        .value_kind:     by_value
      - .offset:         8
        .size:           8
        .value_kind:     by_value
      - .offset:         16
        .size:           8
        .value_kind:     by_value
      - .address_space:  global
        .offset:         24
        .size:           8
        .value_kind:     global_buffer
      - .offset:         32
        .size:           8
        .value_kind:     by_value
      - .offset:         40
        .size:           8
        .value_kind:     by_value
      - .offset:         48
        .size:           8
        .value_kind:     by_value
      - .address_space:  global
        .offset:         56
        .size:           8
        .value_kind:     global_buffer
      - .offset:         64
        .size:           8
        .value_kind:     by_value
      - .offset:         72
        .size:           8
        .value_kind:     by_value
      - .offset:         80
        .size:           8
        .value_kind:     by_value
      - .offset:         88
        .size:           8
        .value_kind:     by_value
      - .offset:         96
        .size:           8
        .value_kind:     by_value
      - .address_space:  global
        .offset:         104
        .size:           8
        .value_kind:     global_buffer
      - .offset:         112
        .size:           8
        .value_kind:     by_value
      - .offset:         120
        .size:           8
        .value_kind:     by_value
      - .offset:         128
        .size:           8
        .value_kind:     by_value
      - .offset:         136
        .size:           4
        .value_kind:     by_value
      - .offset:         140
        .size:           4
        .value_kind:     by_value
      - .offset:         144
        .size:           4
        .value_kind:     hidden_block_count_x
      - .offset:         148
        .size:           4
        .value_kind:     hidden_block_count_y
      - .offset:         152
        .size:           4
        .value_kind:     hidden_block_count_z
      - .offset:         156
        .size:           2
        .value_kind:     hidden_group_size_x
      - .offset:         158
        .size:           2
        .value_kind:     hidden_group_size_y
      - .offset:         160
        .size:           2
        .value_kind:     hidden_group_size_z
      - .offset:         162
        .size:           2
        .value_kind:     hidden_remainder_x
      - .offset:         164
        .size:           2
        .value_kind:     hidden_remainder_y
      - .offset:         166
        .size:           2
        .value_kind:     hidden_remainder_z
      - .offset:         184
        .size:           8
        .value_kind:     hidden_global_offset_x
      - .offset:         192
        .size:           8
        .value_kind:     hidden_global_offset_y
      - .offset:         200
        .size:           8
        .value_kind:     hidden_global_offset_z
      - .offset:         208
        .size:           2
        .value_kind:     hidden_grid_dims
    .group_segment_fixed_size: 12544
    .kernarg_segment_align: 8
    .kernarg_segment_size: 400
    .language:       OpenCL C
    .language_version:
      - 2
      - 0
    .max_flat_workgroup_size: 128
    .name:           _ZL58rocblas_symv_kernel_lower_double_buffered_diagonal_genericILi32ELi4E24rocblas_internal_val_ptrIdEPKdPdEvbiT1_lT2_lllS6_lllS5_lT3_lllii
    .private_segment_fixed_size: 0
    .sgpr_count:     52
    .sgpr_spill_count: 0
    .symbol:         _ZL58rocblas_symv_kernel_lower_double_buffered_diagonal_genericILi32ELi4E24rocblas_internal_val_ptrIdEPKdPdEvbiT1_lT2_lllS6_lllS5_lT3_lllii.kd
    .uniform_work_group_size: 1
    .uses_dynamic_stack: false
    .vgpr_count:     64
    .vgpr_spill_count: 0
    .wavefront_size: 32
  - .args:
      - .offset:         0
        .size:           1
        .value_kind:     by_value
      - .offset:         4
        .size:           4
        .value_kind:     by_value
      - .offset:         8
        .size:           8
        .value_kind:     by_value
      - .offset:         16
        .size:           8
        .value_kind:     by_value
      - .address_space:  global
        .offset:         24
        .size:           8
        .value_kind:     global_buffer
      - .offset:         32
        .size:           8
        .value_kind:     by_value
      - .offset:         40
        .size:           8
        .value_kind:     by_value
      - .offset:         48
        .size:           8
        .value_kind:     by_value
      - .address_space:  global
        .offset:         56
        .size:           8
        .value_kind:     global_buffer
      - .offset:         64
        .size:           8
        .value_kind:     by_value
      - .offset:         72
        .size:           8
        .value_kind:     by_value
      - .offset:         80
        .size:           8
        .value_kind:     by_value
      - .address_space:  global
        .offset:         88
        .size:           8
        .value_kind:     global_buffer
      - .offset:         96
        .size:           8
        .value_kind:     by_value
      - .offset:         104
        .size:           8
        .value_kind:     by_value
      - .offset:         112
        .size:           8
        .value_kind:     by_value
      - .offset:         120
        .size:           4
        .value_kind:     by_value
      - .offset:         124
        .size:           4
        .value_kind:     by_value
      - .offset:         128
        .size:           4
        .value_kind:     hidden_block_count_x
      - .offset:         132
        .size:           4
        .value_kind:     hidden_block_count_y
      - .offset:         136
        .size:           4
        .value_kind:     hidden_block_count_z
      - .offset:         140
        .size:           2
        .value_kind:     hidden_group_size_x
      - .offset:         142
        .size:           2
        .value_kind:     hidden_group_size_y
      - .offset:         144
        .size:           2
        .value_kind:     hidden_group_size_z
      - .offset:         146
        .size:           2
        .value_kind:     hidden_remainder_x
      - .offset:         148
        .size:           2
        .value_kind:     hidden_remainder_y
      - .offset:         150
        .size:           2
        .value_kind:     hidden_remainder_z
      - .offset:         168
        .size:           8
        .value_kind:     hidden_global_offset_x
      - .offset:         176
        .size:           8
        .value_kind:     hidden_global_offset_y
      - .offset:         184
        .size:           8
        .value_kind:     hidden_global_offset_z
      - .offset:         192
        .size:           2
        .value_kind:     hidden_grid_dims
    .group_segment_fixed_size: 7424
    .kernarg_segment_align: 8
    .kernarg_segment_size: 384
    .language:       OpenCL C
    .language_version:
      - 2
      - 0
    .max_flat_workgroup_size: 128
    .name:           _ZL62rocblas_symv_kernel_lower_double_buffered_non_diagonal_genericILi32ELi4ELi4E24rocblas_internal_val_ptrIdEPKdPdEvbiT2_lT3_lllS6_lllT4_lllii
    .private_segment_fixed_size: 0
    .sgpr_count:     78
    .sgpr_spill_count: 0
    .symbol:         _ZL62rocblas_symv_kernel_lower_double_buffered_non_diagonal_genericILi32ELi4ELi4E24rocblas_internal_val_ptrIdEPKdPdEvbiT2_lT3_lllS6_lllT4_lllii.kd
    .uniform_work_group_size: 1
    .uses_dynamic_stack: false
    .vgpr_count:     100
    .vgpr_spill_count: 0
    .wavefront_size: 32
  - .args:
      - .offset:         0
        .size:           4
        .value_kind:     by_value
      - .address_space:  global
        .offset:         8
        .size:           8
        .value_kind:     global_buffer
      - .offset:         16
        .size:           8
        .value_kind:     by_value
      - .address_space:  global
        .offset:         24
        .size:           8
        .value_kind:     global_buffer
      - .offset:         32
        .size:           8
        .value_kind:     by_value
      - .offset:         40
        .size:           8
        .value_kind:     by_value
      - .offset:         48
        .size:           8
        .value_kind:     by_value
      - .address_space:  global
        .offset:         56
        .size:           8
        .value_kind:     global_buffer
      - .offset:         64
        .size:           8
        .value_kind:     by_value
      - .offset:         72
        .size:           8
        .value_kind:     by_value
      - .offset:         80
        .size:           8
        .value_kind:     by_value
      - .address_space:  global
        .offset:         88
        .size:           8
        .value_kind:     global_buffer
      - .offset:         96
        .size:           8
        .value_kind:     by_value
      - .address_space:  global
        .offset:         104
        .size:           8
        .value_kind:     global_buffer
      - .offset:         112
        .size:           4
        .value_kind:     by_value
      - .offset:         120
        .size:           4
        .value_kind:     hidden_block_count_x
      - .offset:         124
        .size:           4
        .value_kind:     hidden_block_count_y
      - .offset:         128
        .size:           4
        .value_kind:     hidden_block_count_z
      - .offset:         132
        .size:           2
        .value_kind:     hidden_group_size_x
      - .offset:         134
        .size:           2
        .value_kind:     hidden_group_size_y
      - .offset:         136
        .size:           2
        .value_kind:     hidden_group_size_z
      - .offset:         138
        .size:           2
        .value_kind:     hidden_remainder_x
      - .offset:         140
        .size:           2
        .value_kind:     hidden_remainder_y
      - .offset:         142
        .size:           2
        .value_kind:     hidden_remainder_z
      - .offset:         160
        .size:           8
        .value_kind:     hidden_global_offset_x
      - .offset:         168
        .size:           8
        .value_kind:     hidden_global_offset_y
      - .offset:         176
        .size:           8
        .value_kind:     hidden_global_offset_z
      - .offset:         184
        .size:           2
        .value_kind:     hidden_grid_dims
    .group_segment_fixed_size: 9600
    .kernarg_segment_align: 8
    .kernarg_segment_size: 376
    .language:       OpenCL C
    .language_version:
      - 2
      - 0
    .max_flat_workgroup_size: 256
    .name:           _ZL26rocblas_hemvn_kernel_lowerILb0ELi64ELi4ELi33ELi32ELi16ElPKdS1_PdEviT6_lT7_lT5_lS4_lS5_lS3_lT8_i
    .private_segment_fixed_size: 0
    .sgpr_count:     106
    .sgpr_spill_count: 0
    .symbol:         _ZL26rocblas_hemvn_kernel_lowerILb0ELi64ELi4ELi33ELi32ELi16ElPKdS1_PdEviT6_lT7_lT5_lS4_lS5_lS3_lT8_i.kd
    .uniform_work_group_size: 1
    .uses_dynamic_stack: false
    .vgpr_count:     124
    .vgpr_spill_count: 0
    .wavefront_size: 32
  - .args:
      - .offset:         0
        .size:           4
        .value_kind:     by_value
      - .address_space:  global
        .offset:         8
        .size:           8
        .value_kind:     global_buffer
      - .offset:         16
        .size:           8
        .value_kind:     by_value
      - .address_space:  global
        .offset:         24
        .size:           8
        .value_kind:     global_buffer
      - .offset:         32
        .size:           8
        .value_kind:     by_value
      - .address_space:  global
        .offset:         40
        .size:           8
        .value_kind:     global_buffer
      - .offset:         48
        .size:           8
        .value_kind:     by_value
      - .offset:         56
        .size:           8
        .value_kind:     by_value
      - .offset:         64
        .size:           8
        .value_kind:     by_value
      - .actual_access:  read_only
        .address_space:  global
        .offset:         72
        .size:           8
        .value_kind:     global_buffer
      - .offset:         80
        .size:           4
        .value_kind:     by_value
      - .offset:         88
        .size:           4
        .value_kind:     hidden_block_count_x
      - .offset:         92
        .size:           4
        .value_kind:     hidden_block_count_y
      - .offset:         96
        .size:           4
        .value_kind:     hidden_block_count_z
      - .offset:         100
        .size:           2
        .value_kind:     hidden_group_size_x
      - .offset:         102
        .size:           2
        .value_kind:     hidden_group_size_y
      - .offset:         104
        .size:           2
        .value_kind:     hidden_group_size_z
      - .offset:         106
        .size:           2
        .value_kind:     hidden_remainder_x
      - .offset:         108
        .size:           2
        .value_kind:     hidden_remainder_y
      - .offset:         110
        .size:           2
        .value_kind:     hidden_remainder_z
      - .offset:         128
        .size:           8
        .value_kind:     hidden_global_offset_x
      - .offset:         136
        .size:           8
        .value_kind:     hidden_global_offset_y
      - .offset:         144
        .size:           8
        .value_kind:     hidden_global_offset_z
      - .offset:         152
        .size:           2
        .value_kind:     hidden_grid_dims
    .group_segment_fixed_size: 0
    .kernarg_segment_align: 8
    .kernarg_segment_size: 344
    .language:       OpenCL C
    .language_version:
      - 2
      - 0
    .max_flat_workgroup_size: 64
    .name:           _ZL36rocblas_hemvn_kernel_lower_block_sumILi64ElPKdPddEviT1_lS3_lT2_lT0_lPT3_i
    .private_segment_fixed_size: 0
    .sgpr_count:     38
    .sgpr_spill_count: 0
    .symbol:         _ZL36rocblas_hemvn_kernel_lower_block_sumILi64ElPKdPddEviT1_lS3_lT2_lT0_lPT3_i.kd
    .uniform_work_group_size: 1
    .uses_dynamic_stack: false
    .vgpr_count:     10
    .vgpr_spill_count: 0
    .wavefront_size: 32
  - .args:
      - .offset:         0
        .size:           4
        .value_kind:     by_value
      - .address_space:  global
        .offset:         8
        .size:           8
        .value_kind:     global_buffer
      - .offset:         16
        .size:           8
        .value_kind:     by_value
      - .address_space:  global
        .offset:         24
        .size:           8
        .value_kind:     global_buffer
      - .offset:         32
        .size:           8
        .value_kind:     by_value
      - .offset:         40
        .size:           4
        .value_kind:     by_value
      - .offset:         48
        .size:           8
        .value_kind:     by_value
      - .address_space:  global
        .offset:         56
        .size:           8
        .value_kind:     global_buffer
      - .offset:         64
        .size:           8
        .value_kind:     by_value
      - .offset:         72
        .size:           4
        .value_kind:     by_value
      - .offset:         80
        .size:           8
        .value_kind:     by_value
      - .address_space:  global
        .offset:         88
        .size:           8
        .value_kind:     global_buffer
      - .offset:         96
        .size:           8
        .value_kind:     by_value
      - .address_space:  global
        .offset:         104
        .size:           8
        .value_kind:     global_buffer
      - .offset:         112
        .size:           4
        .value_kind:     by_value
      - .offset:         120
        .size:           4
        .value_kind:     hidden_block_count_x
      - .offset:         124
        .size:           4
        .value_kind:     hidden_block_count_y
      - .offset:         128
        .size:           4
        .value_kind:     hidden_block_count_z
      - .offset:         132
        .size:           2
        .value_kind:     hidden_group_size_x
      - .offset:         134
        .size:           2
        .value_kind:     hidden_group_size_y
      - .offset:         136
        .size:           2
        .value_kind:     hidden_group_size_z
      - .offset:         138
        .size:           2
        .value_kind:     hidden_remainder_x
      - .offset:         140
        .size:           2
        .value_kind:     hidden_remainder_y
      - .offset:         142
        .size:           2
        .value_kind:     hidden_remainder_z
      - .offset:         160
        .size:           8
        .value_kind:     hidden_global_offset_x
      - .offset:         168
        .size:           8
        .value_kind:     hidden_global_offset_y
      - .offset:         176
        .size:           8
        .value_kind:     hidden_global_offset_z
      - .offset:         184
        .size:           2
        .value_kind:     hidden_grid_dims
    .group_segment_fixed_size: 9600
    .kernarg_segment_align: 8
    .kernarg_segment_size: 376
    .language:       OpenCL C
    .language_version:
      - 2
      - 0
    .max_flat_workgroup_size: 256
    .name:           _ZL26rocblas_hemvn_kernel_lowerILb0ELi64ELi4ELi33ELi32ELi16EiPKdS1_PdEviT6_lT7_lT5_lS4_lS5_lS3_lT8_i
    .private_segment_fixed_size: 0
    .sgpr_count:     107
    .sgpr_spill_count: 0
    .symbol:         _ZL26rocblas_hemvn_kernel_lowerILb0ELi64ELi4ELi33ELi32ELi16EiPKdS1_PdEviT6_lT7_lT5_lS4_lS5_lS3_lT8_i.kd
    .uniform_work_group_size: 1
    .uses_dynamic_stack: false
    .vgpr_count:     122
    .vgpr_spill_count: 0
    .wavefront_size: 32
  - .args:
      - .offset:         0
        .size:           4
        .value_kind:     by_value
      - .address_space:  global
        .offset:         8
        .size:           8
        .value_kind:     global_buffer
      - .offset:         16
        .size:           8
        .value_kind:     by_value
      - .address_space:  global
        .offset:         24
        .size:           8
        .value_kind:     global_buffer
      - .offset:         32
        .size:           8
        .value_kind:     by_value
      - .address_space:  global
        .offset:         40
        .size:           8
        .value_kind:     global_buffer
      - .offset:         48
        .size:           8
        .value_kind:     by_value
      - .offset:         56
        .size:           4
        .value_kind:     by_value
      - .offset:         64
        .size:           8
        .value_kind:     by_value
      - .actual_access:  read_only
        .address_space:  global
        .offset:         72
        .size:           8
        .value_kind:     global_buffer
      - .offset:         80
        .size:           4
        .value_kind:     by_value
      - .offset:         88
        .size:           4
        .value_kind:     hidden_block_count_x
      - .offset:         92
        .size:           4
        .value_kind:     hidden_block_count_y
      - .offset:         96
        .size:           4
        .value_kind:     hidden_block_count_z
      - .offset:         100
        .size:           2
        .value_kind:     hidden_group_size_x
      - .offset:         102
        .size:           2
        .value_kind:     hidden_group_size_y
      - .offset:         104
        .size:           2
        .value_kind:     hidden_group_size_z
      - .offset:         106
        .size:           2
        .value_kind:     hidden_remainder_x
      - .offset:         108
        .size:           2
        .value_kind:     hidden_remainder_y
      - .offset:         110
        .size:           2
        .value_kind:     hidden_remainder_z
      - .offset:         128
        .size:           8
        .value_kind:     hidden_global_offset_x
      - .offset:         136
        .size:           8
        .value_kind:     hidden_global_offset_y
      - .offset:         144
        .size:           8
        .value_kind:     hidden_global_offset_z
      - .offset:         152
        .size:           2
        .value_kind:     hidden_grid_dims
    .group_segment_fixed_size: 0
    .kernarg_segment_align: 8
    .kernarg_segment_size: 344
    .language:       OpenCL C
    .language_version:
      - 2
      - 0
    .max_flat_workgroup_size: 64
    .name:           _ZL36rocblas_hemvn_kernel_lower_block_sumILi64EiPKdPddEviT1_lS3_lT2_lT0_lPT3_i
    .private_segment_fixed_size: 0
    .sgpr_count:     38
    .sgpr_spill_count: 0
    .symbol:         _ZL36rocblas_hemvn_kernel_lower_block_sumILi64EiPKdPddEviT1_lS3_lT2_lT0_lPT3_i.kd
    .uniform_work_group_size: 1
    .uses_dynamic_stack: false
    .vgpr_count:     10
    .vgpr_spill_count: 0
    .wavefront_size: 32
  - .args:
      - .offset:         0
        .size:           4
        .value_kind:     by_value
      - .offset:         8
        .size:           8
        .value_kind:     by_value
      - .offset:         16
        .size:           8
        .value_kind:     by_value
      - .address_space:  global
        .offset:         24
        .size:           8
        .value_kind:     global_buffer
      - .offset:         32
        .size:           8
        .value_kind:     by_value
      - .offset:         40
        .size:           8
        .value_kind:     by_value
      - .offset:         48
        .size:           8
        .value_kind:     by_value
      - .address_space:  global
        .offset:         56
        .size:           8
        .value_kind:     global_buffer
      - .offset:         64
        .size:           8
        .value_kind:     by_value
      - .offset:         72
        .size:           8
        .value_kind:     by_value
      - .offset:         80
        .size:           8
        .value_kind:     by_value
      - .offset:         88
        .size:           8
        .value_kind:     by_value
      - .offset:         96
        .size:           8
        .value_kind:     by_value
      - .address_space:  global
        .offset:         104
        .size:           8
        .value_kind:     global_buffer
      - .offset:         112
        .size:           4
        .value_kind:     by_value
      - .offset:         120
        .size:           4
        .value_kind:     hidden_block_count_x
      - .offset:         124
        .size:           4
        .value_kind:     hidden_block_count_y
      - .offset:         128
        .size:           4
        .value_kind:     hidden_block_count_z
      - .offset:         132
        .size:           2
        .value_kind:     hidden_group_size_x
      - .offset:         134
        .size:           2
        .value_kind:     hidden_group_size_y
      - .offset:         136
        .size:           2
        .value_kind:     hidden_group_size_z
      - .offset:         138
        .size:           2
        .value_kind:     hidden_remainder_x
      - .offset:         140
        .size:           2
        .value_kind:     hidden_remainder_y
      - .offset:         142
        .size:           2
        .value_kind:     hidden_remainder_z
      - .offset:         160
        .size:           8
        .value_kind:     hidden_global_offset_x
      - .offset:         168
        .size:           8
        .value_kind:     hidden_global_offset_y
      - .offset:         176
        .size:           8
        .value_kind:     hidden_global_offset_z
      - .offset:         184
        .size:           2
        .value_kind:     hidden_grid_dims
    .group_segment_fixed_size: 9600
    .kernarg_segment_align: 8
    .kernarg_segment_size: 376
    .language:       OpenCL C
    .language_version:
      - 2
      - 0
    .max_flat_workgroup_size: 256
    .name:           _ZL26rocblas_hemvn_kernel_lowerILb0ELi64ELi4ELi33ELi32ELi16EldPKdPdEviT6_lT7_lT5_lS4_lS5_lS3_lT8_i
    .private_segment_fixed_size: 0
    .sgpr_count:     100
    .sgpr_spill_count: 0
    .symbol:         _ZL26rocblas_hemvn_kernel_lowerILb0ELi64ELi4ELi33ELi32ELi16EldPKdPdEviT6_lT7_lT5_lS4_lS5_lS3_lT8_i.kd
    .uniform_work_group_size: 1
    .uses_dynamic_stack: false
    .vgpr_count:     126
    .vgpr_spill_count: 0
    .wavefront_size: 32
  - .args:
      - .offset:         0
        .size:           4
        .value_kind:     by_value
      - .offset:         8
        .size:           8
        .value_kind:     by_value
      - .offset:         16
        .size:           8
        .value_kind:     by_value
      - .offset:         24
        .size:           8
        .value_kind:     by_value
      - .offset:         32
        .size:           8
        .value_kind:     by_value
      - .address_space:  global
        .offset:         40
        .size:           8
        .value_kind:     global_buffer
      - .offset:         48
        .size:           8
        .value_kind:     by_value
      - .offset:         56
        .size:           8
        .value_kind:     by_value
      - .offset:         64
        .size:           8
        .value_kind:     by_value
      - .actual_access:  read_only
        .address_space:  global
        .offset:         72
        .size:           8
        .value_kind:     global_buffer
      - .offset:         80
        .size:           4
        .value_kind:     by_value
      - .offset:         88
        .size:           4
        .value_kind:     hidden_block_count_x
      - .offset:         92
        .size:           4
        .value_kind:     hidden_block_count_y
      - .offset:         96
        .size:           4
        .value_kind:     hidden_block_count_z
      - .offset:         100
        .size:           2
        .value_kind:     hidden_group_size_x
      - .offset:         102
        .size:           2
        .value_kind:     hidden_group_size_y
      - .offset:         104
        .size:           2
        .value_kind:     hidden_group_size_z
      - .offset:         106
        .size:           2
        .value_kind:     hidden_remainder_x
      - .offset:         108
        .size:           2
        .value_kind:     hidden_remainder_y
      - .offset:         110
        .size:           2
        .value_kind:     hidden_remainder_z
      - .offset:         128
        .size:           8
        .value_kind:     hidden_global_offset_x
      - .offset:         136
        .size:           8
        .value_kind:     hidden_global_offset_y
      - .offset:         144
        .size:           8
        .value_kind:     hidden_global_offset_z
      - .offset:         152
        .size:           2
        .value_kind:     hidden_grid_dims
    .group_segment_fixed_size: 0
    .kernarg_segment_align: 8
    .kernarg_segment_size: 344
    .language:       OpenCL C
    .language_version:
      - 2
      - 0
    .max_flat_workgroup_size: 64
    .name:           _ZL36rocblas_hemvn_kernel_lower_block_sumILi64EldPddEviT1_lS1_lT2_lT0_lPT3_i
    .private_segment_fixed_size: 0
    .sgpr_count:     32
    .sgpr_spill_count: 0
    .symbol:         _ZL36rocblas_hemvn_kernel_lower_block_sumILi64EldPddEviT1_lS1_lT2_lT0_lPT3_i.kd
    .uniform_work_group_size: 1
    .uses_dynamic_stack: false
    .vgpr_count:     10
    .vgpr_spill_count: 0
    .wavefront_size: 32
  - .args:
      - .offset:         0
        .size:           4
        .value_kind:     by_value
      - .offset:         8
        .size:           8
        .value_kind:     by_value
      - .offset:         16
        .size:           8
        .value_kind:     by_value
      - .address_space:  global
        .offset:         24
        .size:           8
        .value_kind:     global_buffer
      - .offset:         32
        .size:           8
        .value_kind:     by_value
      - .offset:         40
        .size:           4
        .value_kind:     by_value
      - .offset:         48
        .size:           8
        .value_kind:     by_value
      - .address_space:  global
        .offset:         56
        .size:           8
        .value_kind:     global_buffer
      - .offset:         64
        .size:           8
        .value_kind:     by_value
      - .offset:         72
        .size:           4
        .value_kind:     by_value
      - .offset:         80
        .size:           8
        .value_kind:     by_value
      - .offset:         88
        .size:           8
        .value_kind:     by_value
      - .offset:         96
        .size:           8
        .value_kind:     by_value
      - .address_space:  global
        .offset:         104
        .size:           8
        .value_kind:     global_buffer
      - .offset:         112
        .size:           4
        .value_kind:     by_value
      - .offset:         120
        .size:           4
        .value_kind:     hidden_block_count_x
      - .offset:         124
        .size:           4
        .value_kind:     hidden_block_count_y
      - .offset:         128
        .size:           4
        .value_kind:     hidden_block_count_z
      - .offset:         132
        .size:           2
        .value_kind:     hidden_group_size_x
      - .offset:         134
        .size:           2
        .value_kind:     hidden_group_size_y
      - .offset:         136
        .size:           2
        .value_kind:     hidden_group_size_z
      - .offset:         138
        .size:           2
        .value_kind:     hidden_remainder_x
      - .offset:         140
        .size:           2
        .value_kind:     hidden_remainder_y
      - .offset:         142
        .size:           2
        .value_kind:     hidden_remainder_z
      - .offset:         160
        .size:           8
        .value_kind:     hidden_global_offset_x
      - .offset:         168
        .size:           8
        .value_kind:     hidden_global_offset_y
      - .offset:         176
        .size:           8
        .value_kind:     hidden_global_offset_z
      - .offset:         184
        .size:           2
        .value_kind:     hidden_grid_dims
    .group_segment_fixed_size: 9600
    .kernarg_segment_align: 8
    .kernarg_segment_size: 376
    .language:       OpenCL C
    .language_version:
      - 2
      - 0
    .max_flat_workgroup_size: 256
    .name:           _ZL26rocblas_hemvn_kernel_lowerILb0ELi64ELi4ELi33ELi32ELi16EidPKdPdEviT6_lT7_lT5_lS4_lS5_lS3_lT8_i
    .private_segment_fixed_size: 0
    .sgpr_count:     101
    .sgpr_spill_count: 0
    .symbol:         _ZL26rocblas_hemvn_kernel_lowerILb0ELi64ELi4ELi33ELi32ELi16EidPKdPdEviT6_lT7_lT5_lS4_lS5_lS3_lT8_i.kd
    .uniform_work_group_size: 1
    .uses_dynamic_stack: false
    .vgpr_count:     122
    .vgpr_spill_count: 0
    .wavefront_size: 32
  - .args:
      - .offset:         0
        .size:           4
        .value_kind:     by_value
      - .offset:         8
        .size:           8
        .value_kind:     by_value
      - .offset:         16
        .size:           8
        .value_kind:     by_value
      - .offset:         24
        .size:           8
        .value_kind:     by_value
      - .offset:         32
        .size:           8
        .value_kind:     by_value
      - .address_space:  global
        .offset:         40
        .size:           8
        .value_kind:     global_buffer
      - .offset:         48
        .size:           8
        .value_kind:     by_value
      - .offset:         56
        .size:           4
        .value_kind:     by_value
      - .offset:         64
        .size:           8
        .value_kind:     by_value
      - .actual_access:  read_only
        .address_space:  global
        .offset:         72
        .size:           8
        .value_kind:     global_buffer
      - .offset:         80
        .size:           4
        .value_kind:     by_value
      - .offset:         88
        .size:           4
        .value_kind:     hidden_block_count_x
      - .offset:         92
        .size:           4
        .value_kind:     hidden_block_count_y
      - .offset:         96
        .size:           4
        .value_kind:     hidden_block_count_z
      - .offset:         100
        .size:           2
        .value_kind:     hidden_group_size_x
      - .offset:         102
        .size:           2
        .value_kind:     hidden_group_size_y
      - .offset:         104
        .size:           2
        .value_kind:     hidden_group_size_z
      - .offset:         106
        .size:           2
        .value_kind:     hidden_remainder_x
      - .offset:         108
        .size:           2
        .value_kind:     hidden_remainder_y
      - .offset:         110
        .size:           2
        .value_kind:     hidden_remainder_z
      - .offset:         128
        .size:           8
        .value_kind:     hidden_global_offset_x
      - .offset:         136
        .size:           8
        .value_kind:     hidden_global_offset_y
      - .offset:         144
        .size:           8
        .value_kind:     hidden_global_offset_z
      - .offset:         152
        .size:           2
        .value_kind:     hidden_grid_dims
    .group_segment_fixed_size: 0
    .kernarg_segment_align: 8
    .kernarg_segment_size: 344
    .language:       OpenCL C
    .language_version:
      - 2
      - 0
    .max_flat_workgroup_size: 64
    .name:           _ZL36rocblas_hemvn_kernel_lower_block_sumILi64EidPddEviT1_lS1_lT2_lT0_lPT3_i
    .private_segment_fixed_size: 0
    .sgpr_count:     32
    .sgpr_spill_count: 0
    .symbol:         _ZL36rocblas_hemvn_kernel_lower_block_sumILi64EidPddEviT1_lS1_lT2_lT0_lPT3_i.kd
    .uniform_work_group_size: 1
    .uses_dynamic_stack: false
    .vgpr_count:     10
    .vgpr_spill_count: 0
    .wavefront_size: 32
  - .args:
      - .offset:         0
        .size:           4
        .value_kind:     by_value
      - .address_space:  global
        .offset:         8
        .size:           8
        .value_kind:     global_buffer
      - .offset:         16
        .size:           8
        .value_kind:     by_value
      - .address_space:  global
        .offset:         24
        .size:           8
        .value_kind:     global_buffer
      - .offset:         32
        .size:           8
        .value_kind:     by_value
      - .offset:         40
        .size:           8
        .value_kind:     by_value
      - .offset:         48
        .size:           8
        .value_kind:     by_value
      - .address_space:  global
        .offset:         56
        .size:           8
        .value_kind:     global_buffer
      - .offset:         64
        .size:           8
        .value_kind:     by_value
      - .offset:         72
        .size:           8
        .value_kind:     by_value
      - .offset:         80
        .size:           8
        .value_kind:     by_value
      - .address_space:  global
        .offset:         88
        .size:           8
        .value_kind:     global_buffer
      - .offset:         96
        .size:           8
        .value_kind:     by_value
      - .address_space:  global
        .offset:         104
        .size:           8
        .value_kind:     global_buffer
      - .offset:         112
        .size:           4
        .value_kind:     by_value
      - .offset:         120
        .size:           4
        .value_kind:     hidden_block_count_x
      - .offset:         124
        .size:           4
        .value_kind:     hidden_block_count_y
      - .offset:         128
        .size:           4
        .value_kind:     hidden_block_count_z
      - .offset:         132
        .size:           2
        .value_kind:     hidden_group_size_x
      - .offset:         134
        .size:           2
        .value_kind:     hidden_group_size_y
      - .offset:         136
        .size:           2
        .value_kind:     hidden_group_size_z
      - .offset:         138
        .size:           2
        .value_kind:     hidden_remainder_x
      - .offset:         140
        .size:           2
        .value_kind:     hidden_remainder_y
      - .offset:         142
        .size:           2
        .value_kind:     hidden_remainder_z
      - .offset:         160
        .size:           8
        .value_kind:     hidden_global_offset_x
      - .offset:         168
        .size:           8
        .value_kind:     hidden_global_offset_y
      - .offset:         176
        .size:           8
        .value_kind:     hidden_global_offset_z
      - .offset:         184
        .size:           2
        .value_kind:     hidden_grid_dims
    .group_segment_fixed_size: 9600
    .kernarg_segment_align: 8
    .kernarg_segment_size: 376
    .language:       OpenCL C
    .language_version:
      - 2
      - 0
    .max_flat_workgroup_size: 256
    .name:           _ZL26rocblas_hemvn_kernel_upperILb0ELi64ELi4ELi33ELi32ELi16ElPK19rocblas_complex_numIfES3_PS1_EviT6_lT7_lT5_lS6_lS7_lS5_lT8_i
    .private_segment_fixed_size: 0
    .sgpr_count:     80
    .sgpr_spill_count: 0
    .symbol:         _ZL26rocblas_hemvn_kernel_upperILb0ELi64ELi4ELi33ELi32ELi16ElPK19rocblas_complex_numIfES3_PS1_EviT6_lT7_lT5_lS6_lS7_lS5_lT8_i.kd
    .uniform_work_group_size: 1
    .uses_dynamic_stack: false
    .vgpr_count:     222
    .vgpr_spill_count: 0
    .wavefront_size: 32
  - .args:
      - .offset:         0
        .size:           4
        .value_kind:     by_value
      - .address_space:  global
        .offset:         8
        .size:           8
        .value_kind:     global_buffer
      - .offset:         16
        .size:           8
        .value_kind:     by_value
      - .address_space:  global
        .offset:         24
        .size:           8
        .value_kind:     global_buffer
      - .offset:         32
        .size:           8
        .value_kind:     by_value
      - .offset:         40
        .size:           4
        .value_kind:     by_value
      - .offset:         48
        .size:           8
        .value_kind:     by_value
      - .address_space:  global
        .offset:         56
        .size:           8
        .value_kind:     global_buffer
      - .offset:         64
        .size:           8
        .value_kind:     by_value
      - .offset:         72
        .size:           4
        .value_kind:     by_value
      - .offset:         80
        .size:           8
        .value_kind:     by_value
      - .address_space:  global
        .offset:         88
        .size:           8
        .value_kind:     global_buffer
      - .offset:         96
        .size:           8
        .value_kind:     by_value
      - .address_space:  global
        .offset:         104
        .size:           8
        .value_kind:     global_buffer
      - .offset:         112
        .size:           4
        .value_kind:     by_value
      - .offset:         120
        .size:           4
        .value_kind:     hidden_block_count_x
      - .offset:         124
        .size:           4
        .value_kind:     hidden_block_count_y
      - .offset:         128
        .size:           4
        .value_kind:     hidden_block_count_z
      - .offset:         132
        .size:           2
        .value_kind:     hidden_group_size_x
      - .offset:         134
        .size:           2
        .value_kind:     hidden_group_size_y
      - .offset:         136
        .size:           2
        .value_kind:     hidden_group_size_z
      - .offset:         138
        .size:           2
        .value_kind:     hidden_remainder_x
      - .offset:         140
        .size:           2
        .value_kind:     hidden_remainder_y
      - .offset:         142
        .size:           2
        .value_kind:     hidden_remainder_z
      - .offset:         160
        .size:           8
        .value_kind:     hidden_global_offset_x
      - .offset:         168
        .size:           8
        .value_kind:     hidden_global_offset_y
      - .offset:         176
        .size:           8
        .value_kind:     hidden_global_offset_z
      - .offset:         184
        .size:           2
        .value_kind:     hidden_grid_dims
    .group_segment_fixed_size: 9600
    .kernarg_segment_align: 8
    .kernarg_segment_size: 376
    .language:       OpenCL C
    .language_version:
      - 2
      - 0
    .max_flat_workgroup_size: 256
    .name:           _ZL26rocblas_hemvn_kernel_upperILb0ELi64ELi4ELi33ELi32ELi16EiPK19rocblas_complex_numIfES3_PS1_EviT6_lT7_lT5_lS6_lS7_lS5_lT8_i
    .private_segment_fixed_size: 0
    .sgpr_count:     84
    .sgpr_spill_count: 0
    .symbol:         _ZL26rocblas_hemvn_kernel_upperILb0ELi64ELi4ELi33ELi32ELi16EiPK19rocblas_complex_numIfES3_PS1_EviT6_lT7_lT5_lS6_lS7_lS5_lT8_i.kd
    .uniform_work_group_size: 1
    .uses_dynamic_stack: false
    .vgpr_count:     240
    .vgpr_spill_count: 0
    .wavefront_size: 32
  - .args:
      - .offset:         0
        .size:           4
        .value_kind:     by_value
      - .offset:         4
        .size:           8
        .value_kind:     by_value
      - .offset:         16
        .size:           8
        .value_kind:     by_value
      - .address_space:  global
        .offset:         24
        .size:           8
        .value_kind:     global_buffer
      - .offset:         32
        .size:           8
        .value_kind:     by_value
      - .offset:         40
        .size:           8
        .value_kind:     by_value
      - .offset:         48
        .size:           8
        .value_kind:     by_value
      - .address_space:  global
        .offset:         56
        .size:           8
        .value_kind:     global_buffer
      - .offset:         64
        .size:           8
        .value_kind:     by_value
      - .offset:         72
        .size:           8
        .value_kind:     by_value
      - .offset:         80
        .size:           8
        .value_kind:     by_value
      - .offset:         88
        .size:           8
        .value_kind:     by_value
      - .offset:         96
        .size:           8
        .value_kind:     by_value
      - .address_space:  global
        .offset:         104
        .size:           8
        .value_kind:     global_buffer
      - .offset:         112
        .size:           4
        .value_kind:     by_value
      - .offset:         120
        .size:           4
        .value_kind:     hidden_block_count_x
      - .offset:         124
        .size:           4
        .value_kind:     hidden_block_count_y
      - .offset:         128
        .size:           4
        .value_kind:     hidden_block_count_z
      - .offset:         132
        .size:           2
        .value_kind:     hidden_group_size_x
      - .offset:         134
        .size:           2
        .value_kind:     hidden_group_size_y
      - .offset:         136
        .size:           2
        .value_kind:     hidden_group_size_z
      - .offset:         138
        .size:           2
        .value_kind:     hidden_remainder_x
      - .offset:         140
        .size:           2
        .value_kind:     hidden_remainder_y
      - .offset:         142
        .size:           2
        .value_kind:     hidden_remainder_z
      - .offset:         160
        .size:           8
        .value_kind:     hidden_global_offset_x
      - .offset:         168
        .size:           8
        .value_kind:     hidden_global_offset_y
      - .offset:         176
        .size:           8
        .value_kind:     hidden_global_offset_z
      - .offset:         184
        .size:           2
        .value_kind:     hidden_grid_dims
    .group_segment_fixed_size: 9600
    .kernarg_segment_align: 8
    .kernarg_segment_size: 376
    .language:       OpenCL C
    .language_version:
      - 2
      - 0
    .max_flat_workgroup_size: 256
    .name:           _ZL26rocblas_hemvn_kernel_upperILb0ELi64ELi4ELi33ELi32ELi16El19rocblas_complex_numIfEPKS1_PS1_EviT6_lT7_lT5_lS6_lS7_lS5_lT8_i
    .private_segment_fixed_size: 0
    .sgpr_count:     74
    .sgpr_spill_count: 0
    .symbol:         _ZL26rocblas_hemvn_kernel_upperILb0ELi64ELi4ELi33ELi32ELi16El19rocblas_complex_numIfEPKS1_PS1_EviT6_lT7_lT5_lS6_lS7_lS5_lT8_i.kd
    .uniform_work_group_size: 1
    .uses_dynamic_stack: false
    .vgpr_count:     224
    .vgpr_spill_count: 0
    .wavefront_size: 32
  - .args:
      - .offset:         0
        .size:           4
        .value_kind:     by_value
      - .offset:         4
        .size:           8
        .value_kind:     by_value
      - .offset:         16
        .size:           8
        .value_kind:     by_value
      - .address_space:  global
        .offset:         24
        .size:           8
        .value_kind:     global_buffer
      - .offset:         32
        .size:           8
        .value_kind:     by_value
      - .offset:         40
        .size:           4
        .value_kind:     by_value
      - .offset:         48
        .size:           8
        .value_kind:     by_value
      - .address_space:  global
        .offset:         56
        .size:           8
        .value_kind:     global_buffer
      - .offset:         64
        .size:           8
        .value_kind:     by_value
      - .offset:         72
        .size:           4
        .value_kind:     by_value
      - .offset:         80
        .size:           8
        .value_kind:     by_value
      - .offset:         88
        .size:           8
        .value_kind:     by_value
      - .offset:         96
        .size:           8
        .value_kind:     by_value
      - .address_space:  global
        .offset:         104
        .size:           8
        .value_kind:     global_buffer
      - .offset:         112
        .size:           4
        .value_kind:     by_value
      - .offset:         120
        .size:           4
        .value_kind:     hidden_block_count_x
      - .offset:         124
        .size:           4
        .value_kind:     hidden_block_count_y
      - .offset:         128
        .size:           4
        .value_kind:     hidden_block_count_z
      - .offset:         132
        .size:           2
        .value_kind:     hidden_group_size_x
      - .offset:         134
        .size:           2
        .value_kind:     hidden_group_size_y
      - .offset:         136
        .size:           2
        .value_kind:     hidden_group_size_z
      - .offset:         138
        .size:           2
        .value_kind:     hidden_remainder_x
      - .offset:         140
        .size:           2
        .value_kind:     hidden_remainder_y
      - .offset:         142
        .size:           2
        .value_kind:     hidden_remainder_z
      - .offset:         160
        .size:           8
        .value_kind:     hidden_global_offset_x
      - .offset:         168
        .size:           8
        .value_kind:     hidden_global_offset_y
      - .offset:         176
        .size:           8
        .value_kind:     hidden_global_offset_z
      - .offset:         184
        .size:           2
        .value_kind:     hidden_grid_dims
    .group_segment_fixed_size: 9600
    .kernarg_segment_align: 8
    .kernarg_segment_size: 376
    .language:       OpenCL C
    .language_version:
      - 2
      - 0
    .max_flat_workgroup_size: 256
    .name:           _ZL26rocblas_hemvn_kernel_upperILb0ELi64ELi4ELi33ELi32ELi16Ei19rocblas_complex_numIfEPKS1_PS1_EviT6_lT7_lT5_lS6_lS7_lS5_lT8_i
    .private_segment_fixed_size: 0
    .sgpr_count:     78
    .sgpr_spill_count: 0
    .symbol:         _ZL26rocblas_hemvn_kernel_upperILb0ELi64ELi4ELi33ELi32ELi16Ei19rocblas_complex_numIfEPKS1_PS1_EviT6_lT7_lT5_lS6_lS7_lS5_lT8_i.kd
    .uniform_work_group_size: 1
    .uses_dynamic_stack: false
    .vgpr_count:     242
    .vgpr_spill_count: 0
    .wavefront_size: 32
  - .args:
      - .offset:         0
        .size:           4
        .value_kind:     by_value
      - .address_space:  global
        .offset:         8
        .size:           8
        .value_kind:     global_buffer
      - .offset:         16
        .size:           8
        .value_kind:     by_value
      - .address_space:  global
        .offset:         24
        .size:           8
        .value_kind:     global_buffer
      - .offset:         32
        .size:           8
        .value_kind:     by_value
      - .offset:         40
        .size:           8
        .value_kind:     by_value
      - .offset:         48
        .size:           8
        .value_kind:     by_value
      - .address_space:  global
        .offset:         56
        .size:           8
        .value_kind:     global_buffer
      - .offset:         64
        .size:           8
        .value_kind:     by_value
      - .offset:         72
        .size:           8
        .value_kind:     by_value
      - .offset:         80
        .size:           8
        .value_kind:     by_value
      - .address_space:  global
        .offset:         88
        .size:           8
        .value_kind:     global_buffer
      - .offset:         96
        .size:           8
        .value_kind:     by_value
      - .address_space:  global
        .offset:         104
        .size:           8
        .value_kind:     global_buffer
      - .offset:         112
        .size:           4
        .value_kind:     by_value
      - .offset:         120
        .size:           4
        .value_kind:     hidden_block_count_x
      - .offset:         124
        .size:           4
        .value_kind:     hidden_block_count_y
      - .offset:         128
        .size:           4
        .value_kind:     hidden_block_count_z
      - .offset:         132
        .size:           2
        .value_kind:     hidden_group_size_x
      - .offset:         134
        .size:           2
        .value_kind:     hidden_group_size_y
      - .offset:         136
        .size:           2
        .value_kind:     hidden_group_size_z
      - .offset:         138
        .size:           2
        .value_kind:     hidden_remainder_x
      - .offset:         140
        .size:           2
        .value_kind:     hidden_remainder_y
      - .offset:         142
        .size:           2
        .value_kind:     hidden_remainder_z
      - .offset:         160
        .size:           8
        .value_kind:     hidden_global_offset_x
      - .offset:         168
        .size:           8
        .value_kind:     hidden_global_offset_y
      - .offset:         176
        .size:           8
        .value_kind:     hidden_global_offset_z
      - .offset:         184
        .size:           2
        .value_kind:     hidden_grid_dims
    .group_segment_fixed_size: 9600
    .kernarg_segment_align: 8
    .kernarg_segment_size: 376
    .language:       OpenCL C
    .language_version:
      - 2
      - 0
    .max_flat_workgroup_size: 256
    .name:           _ZL26rocblas_hemvn_kernel_lowerILb0ELi64ELi4ELi33ELi32ELi16ElPK19rocblas_complex_numIfES3_PS1_EviT6_lT7_lT5_lS6_lS7_lS5_lT8_i
    .private_segment_fixed_size: 0
    .sgpr_count:     106
    .sgpr_spill_count: 0
    .symbol:         _ZL26rocblas_hemvn_kernel_lowerILb0ELi64ELi4ELi33ELi32ELi16ElPK19rocblas_complex_numIfES3_PS1_EviT6_lT7_lT5_lS6_lS7_lS5_lT8_i.kd
    .uniform_work_group_size: 1
    .uses_dynamic_stack: false
    .vgpr_count:     140
    .vgpr_spill_count: 0
    .wavefront_size: 32
  - .args:
      - .offset:         0
        .size:           4
        .value_kind:     by_value
      - .address_space:  global
        .offset:         8
        .size:           8
        .value_kind:     global_buffer
      - .offset:         16
        .size:           8
        .value_kind:     by_value
      - .address_space:  global
        .offset:         24
        .size:           8
        .value_kind:     global_buffer
      - .offset:         32
        .size:           8
        .value_kind:     by_value
      - .offset:         40
        .size:           4
        .value_kind:     by_value
      - .offset:         48
        .size:           8
        .value_kind:     by_value
      - .address_space:  global
        .offset:         56
        .size:           8
        .value_kind:     global_buffer
      - .offset:         64
        .size:           8
        .value_kind:     by_value
      - .offset:         72
        .size:           4
        .value_kind:     by_value
      - .offset:         80
        .size:           8
        .value_kind:     by_value
      - .address_space:  global
        .offset:         88
        .size:           8
        .value_kind:     global_buffer
      - .offset:         96
        .size:           8
        .value_kind:     by_value
      - .address_space:  global
        .offset:         104
        .size:           8
        .value_kind:     global_buffer
      - .offset:         112
        .size:           4
        .value_kind:     by_value
      - .offset:         120
        .size:           4
        .value_kind:     hidden_block_count_x
      - .offset:         124
        .size:           4
        .value_kind:     hidden_block_count_y
      - .offset:         128
        .size:           4
        .value_kind:     hidden_block_count_z
      - .offset:         132
        .size:           2
        .value_kind:     hidden_group_size_x
      - .offset:         134
        .size:           2
        .value_kind:     hidden_group_size_y
      - .offset:         136
        .size:           2
        .value_kind:     hidden_group_size_z
      - .offset:         138
        .size:           2
        .value_kind:     hidden_remainder_x
      - .offset:         140
        .size:           2
        .value_kind:     hidden_remainder_y
      - .offset:         142
        .size:           2
        .value_kind:     hidden_remainder_z
      - .offset:         160
        .size:           8
        .value_kind:     hidden_global_offset_x
      - .offset:         168
        .size:           8
        .value_kind:     hidden_global_offset_y
      - .offset:         176
        .size:           8
        .value_kind:     hidden_global_offset_z
      - .offset:         184
        .size:           2
        .value_kind:     hidden_grid_dims
    .group_segment_fixed_size: 9600
    .kernarg_segment_align: 8
    .kernarg_segment_size: 376
    .language:       OpenCL C
    .language_version:
      - 2
      - 0
    .max_flat_workgroup_size: 256
    .name:           _ZL26rocblas_hemvn_kernel_lowerILb0ELi64ELi4ELi33ELi32ELi16EiPK19rocblas_complex_numIfES3_PS1_EviT6_lT7_lT5_lS6_lS7_lS5_lT8_i
    .private_segment_fixed_size: 0
    .sgpr_count:     107
    .sgpr_spill_count: 0
    .symbol:         _ZL26rocblas_hemvn_kernel_lowerILb0ELi64ELi4ELi33ELi32ELi16EiPK19rocblas_complex_numIfES3_PS1_EviT6_lT7_lT5_lS6_lS7_lS5_lT8_i.kd
    .uniform_work_group_size: 1
    .uses_dynamic_stack: false
    .vgpr_count:     128
    .vgpr_spill_count: 0
    .wavefront_size: 32
  - .args:
      - .offset:         0
        .size:           4
        .value_kind:     by_value
      - .offset:         4
        .size:           8
        .value_kind:     by_value
      - .offset:         16
        .size:           8
        .value_kind:     by_value
      - .address_space:  global
        .offset:         24
        .size:           8
        .value_kind:     global_buffer
      - .offset:         32
        .size:           8
        .value_kind:     by_value
      - .offset:         40
        .size:           8
        .value_kind:     by_value
      - .offset:         48
        .size:           8
        .value_kind:     by_value
      - .address_space:  global
        .offset:         56
        .size:           8
        .value_kind:     global_buffer
      - .offset:         64
        .size:           8
        .value_kind:     by_value
      - .offset:         72
        .size:           8
        .value_kind:     by_value
      - .offset:         80
        .size:           8
        .value_kind:     by_value
      - .offset:         88
        .size:           8
        .value_kind:     by_value
      - .offset:         96
        .size:           8
        .value_kind:     by_value
      - .address_space:  global
        .offset:         104
        .size:           8
        .value_kind:     global_buffer
      - .offset:         112
        .size:           4
        .value_kind:     by_value
      - .offset:         120
        .size:           4
        .value_kind:     hidden_block_count_x
      - .offset:         124
        .size:           4
        .value_kind:     hidden_block_count_y
      - .offset:         128
        .size:           4
        .value_kind:     hidden_block_count_z
      - .offset:         132
        .size:           2
        .value_kind:     hidden_group_size_x
      - .offset:         134
        .size:           2
        .value_kind:     hidden_group_size_y
      - .offset:         136
        .size:           2
        .value_kind:     hidden_group_size_z
      - .offset:         138
        .size:           2
        .value_kind:     hidden_remainder_x
      - .offset:         140
        .size:           2
        .value_kind:     hidden_remainder_y
      - .offset:         142
        .size:           2
        .value_kind:     hidden_remainder_z
      - .offset:         160
        .size:           8
        .value_kind:     hidden_global_offset_x
      - .offset:         168
        .size:           8
        .value_kind:     hidden_global_offset_y
      - .offset:         176
        .size:           8
        .value_kind:     hidden_global_offset_z
      - .offset:         184
        .size:           2
        .value_kind:     hidden_grid_dims
    .group_segment_fixed_size: 9600
    .kernarg_segment_align: 8
    .kernarg_segment_size: 376
    .language:       OpenCL C
    .language_version:
      - 2
      - 0
    .max_flat_workgroup_size: 256
    .name:           _ZL26rocblas_hemvn_kernel_lowerILb0ELi64ELi4ELi33ELi32ELi16El19rocblas_complex_numIfEPKS1_PS1_EviT6_lT7_lT5_lS6_lS7_lS5_lT8_i
    .private_segment_fixed_size: 0
    .sgpr_count:     100
    .sgpr_spill_count: 0
    .symbol:         _ZL26rocblas_hemvn_kernel_lowerILb0ELi64ELi4ELi33ELi32ELi16El19rocblas_complex_numIfEPKS1_PS1_EviT6_lT7_lT5_lS6_lS7_lS5_lT8_i.kd
    .uniform_work_group_size: 1
    .uses_dynamic_stack: false
    .vgpr_count:     140
    .vgpr_spill_count: 0
    .wavefront_size: 32
  - .args:
      - .offset:         0
        .size:           4
        .value_kind:     by_value
      - .offset:         4
        .size:           8
        .value_kind:     by_value
      - .offset:         16
        .size:           8
        .value_kind:     by_value
      - .address_space:  global
        .offset:         24
        .size:           8
        .value_kind:     global_buffer
      - .offset:         32
        .size:           8
        .value_kind:     by_value
      - .offset:         40
        .size:           4
        .value_kind:     by_value
      - .offset:         48
        .size:           8
        .value_kind:     by_value
      - .address_space:  global
        .offset:         56
        .size:           8
        .value_kind:     global_buffer
      - .offset:         64
        .size:           8
        .value_kind:     by_value
      - .offset:         72
        .size:           4
        .value_kind:     by_value
      - .offset:         80
        .size:           8
        .value_kind:     by_value
      - .offset:         88
        .size:           8
        .value_kind:     by_value
      - .offset:         96
        .size:           8
        .value_kind:     by_value
      - .address_space:  global
        .offset:         104
        .size:           8
        .value_kind:     global_buffer
      - .offset:         112
        .size:           4
        .value_kind:     by_value
      - .offset:         120
        .size:           4
        .value_kind:     hidden_block_count_x
      - .offset:         124
        .size:           4
        .value_kind:     hidden_block_count_y
      - .offset:         128
        .size:           4
        .value_kind:     hidden_block_count_z
      - .offset:         132
        .size:           2
        .value_kind:     hidden_group_size_x
      - .offset:         134
        .size:           2
        .value_kind:     hidden_group_size_y
      - .offset:         136
        .size:           2
        .value_kind:     hidden_group_size_z
      - .offset:         138
        .size:           2
        .value_kind:     hidden_remainder_x
      - .offset:         140
        .size:           2
        .value_kind:     hidden_remainder_y
      - .offset:         142
        .size:           2
        .value_kind:     hidden_remainder_z
      - .offset:         160
        .size:           8
        .value_kind:     hidden_global_offset_x
      - .offset:         168
        .size:           8
        .value_kind:     hidden_global_offset_y
      - .offset:         176
        .size:           8
        .value_kind:     hidden_global_offset_z
      - .offset:         184
        .size:           2
        .value_kind:     hidden_grid_dims
    .group_segment_fixed_size: 9600
    .kernarg_segment_align: 8
    .kernarg_segment_size: 376
    .language:       OpenCL C
    .language_version:
      - 2
      - 0
    .max_flat_workgroup_size: 256
    .name:           _ZL26rocblas_hemvn_kernel_lowerILb0ELi64ELi4ELi33ELi32ELi16Ei19rocblas_complex_numIfEPKS1_PS1_EviT6_lT7_lT5_lS6_lS7_lS5_lT8_i
    .private_segment_fixed_size: 0
    .sgpr_count:     101
    .sgpr_spill_count: 0
    .symbol:         _ZL26rocblas_hemvn_kernel_lowerILb0ELi64ELi4ELi33ELi32ELi16Ei19rocblas_complex_numIfEPKS1_PS1_EviT6_lT7_lT5_lS6_lS7_lS5_lT8_i.kd
    .uniform_work_group_size: 1
    .uses_dynamic_stack: false
    .vgpr_count:     126
    .vgpr_spill_count: 0
    .wavefront_size: 32
  - .args:
      - .offset:         0
        .size:           4
        .value_kind:     by_value
      - .address_space:  global
        .offset:         8
        .size:           8
        .value_kind:     global_buffer
      - .offset:         16
        .size:           8
        .value_kind:     by_value
      - .address_space:  global
        .offset:         24
        .size:           8
        .value_kind:     global_buffer
      - .offset:         32
        .size:           8
        .value_kind:     by_value
      - .offset:         40
        .size:           8
        .value_kind:     by_value
      - .offset:         48
        .size:           8
        .value_kind:     by_value
      - .address_space:  global
        .offset:         56
        .size:           8
        .value_kind:     global_buffer
      - .offset:         64
        .size:           8
        .value_kind:     by_value
      - .offset:         72
        .size:           8
        .value_kind:     by_value
      - .offset:         80
        .size:           8
        .value_kind:     by_value
      - .address_space:  global
        .offset:         88
        .size:           8
        .value_kind:     global_buffer
      - .offset:         96
        .size:           8
        .value_kind:     by_value
      - .address_space:  global
        .offset:         104
        .size:           8
        .value_kind:     global_buffer
      - .offset:         112
        .size:           4
        .value_kind:     by_value
      - .offset:         120
        .size:           4
        .value_kind:     hidden_block_count_x
      - .offset:         124
        .size:           4
        .value_kind:     hidden_block_count_y
      - .offset:         128
        .size:           4
        .value_kind:     hidden_block_count_z
      - .offset:         132
        .size:           2
        .value_kind:     hidden_group_size_x
      - .offset:         134
        .size:           2
        .value_kind:     hidden_group_size_y
      - .offset:         136
        .size:           2
        .value_kind:     hidden_group_size_z
      - .offset:         138
        .size:           2
        .value_kind:     hidden_remainder_x
      - .offset:         140
        .size:           2
        .value_kind:     hidden_remainder_y
      - .offset:         142
        .size:           2
        .value_kind:     hidden_remainder_z
      - .offset:         160
        .size:           8
        .value_kind:     hidden_global_offset_x
      - .offset:         168
        .size:           8
        .value_kind:     hidden_global_offset_y
      - .offset:         176
        .size:           8
        .value_kind:     hidden_global_offset_z
      - .offset:         184
        .size:           2
        .value_kind:     hidden_grid_dims
    .group_segment_fixed_size: 19200
    .kernarg_segment_align: 8
    .kernarg_segment_size: 376
    .language:       OpenCL C
    .language_version:
      - 2
      - 0
    .max_flat_workgroup_size: 256
    .name:           _ZL26rocblas_hemvn_kernel_upperILb0ELi64ELi4ELi33ELi32ELi16ElPK19rocblas_complex_numIdES3_PS1_EviT6_lT7_lT5_lS6_lS7_lS5_lT8_i
    .private_segment_fixed_size: 0
    .sgpr_count:     80
    .sgpr_spill_count: 0
    .symbol:         _ZL26rocblas_hemvn_kernel_upperILb0ELi64ELi4ELi33ELi32ELi16ElPK19rocblas_complex_numIdES3_PS1_EviT6_lT7_lT5_lS6_lS7_lS5_lT8_i.kd
    .uniform_work_group_size: 1
    .uses_dynamic_stack: false
    .vgpr_count:     326
    .vgpr_spill_count: 0
    .wavefront_size: 32
  - .args:
      - .offset:         0
        .size:           4
        .value_kind:     by_value
      - .address_space:  global
        .offset:         8
        .size:           8
        .value_kind:     global_buffer
      - .offset:         16
        .size:           8
        .value_kind:     by_value
      - .address_space:  global
        .offset:         24
        .size:           8
        .value_kind:     global_buffer
      - .offset:         32
        .size:           8
        .value_kind:     by_value
      - .offset:         40
        .size:           4
        .value_kind:     by_value
      - .offset:         48
        .size:           8
        .value_kind:     by_value
      - .address_space:  global
        .offset:         56
        .size:           8
        .value_kind:     global_buffer
      - .offset:         64
        .size:           8
        .value_kind:     by_value
      - .offset:         72
        .size:           4
        .value_kind:     by_value
      - .offset:         80
        .size:           8
        .value_kind:     by_value
      - .address_space:  global
        .offset:         88
        .size:           8
        .value_kind:     global_buffer
      - .offset:         96
        .size:           8
        .value_kind:     by_value
      - .address_space:  global
        .offset:         104
        .size:           8
        .value_kind:     global_buffer
      - .offset:         112
        .size:           4
        .value_kind:     by_value
      - .offset:         120
        .size:           4
        .value_kind:     hidden_block_count_x
      - .offset:         124
        .size:           4
        .value_kind:     hidden_block_count_y
      - .offset:         128
        .size:           4
        .value_kind:     hidden_block_count_z
      - .offset:         132
        .size:           2
        .value_kind:     hidden_group_size_x
      - .offset:         134
        .size:           2
        .value_kind:     hidden_group_size_y
      - .offset:         136
        .size:           2
        .value_kind:     hidden_group_size_z
      - .offset:         138
        .size:           2
        .value_kind:     hidden_remainder_x
      - .offset:         140
        .size:           2
        .value_kind:     hidden_remainder_y
      - .offset:         142
        .size:           2
        .value_kind:     hidden_remainder_z
      - .offset:         160
        .size:           8
        .value_kind:     hidden_global_offset_x
      - .offset:         168
        .size:           8
        .value_kind:     hidden_global_offset_y
      - .offset:         176
        .size:           8
        .value_kind:     hidden_global_offset_z
      - .offset:         184
        .size:           2
        .value_kind:     hidden_grid_dims
    .group_segment_fixed_size: 19200
    .kernarg_segment_align: 8
    .kernarg_segment_size: 376
    .language:       OpenCL C
    .language_version:
      - 2
      - 0
    .max_flat_workgroup_size: 256
    .name:           _ZL26rocblas_hemvn_kernel_upperILb0ELi64ELi4ELi33ELi32ELi16EiPK19rocblas_complex_numIdES3_PS1_EviT6_lT7_lT5_lS6_lS7_lS5_lT8_i
    .private_segment_fixed_size: 0
    .sgpr_count:     86
    .sgpr_spill_count: 0
    .symbol:         _ZL26rocblas_hemvn_kernel_upperILb0ELi64ELi4ELi33ELi32ELi16EiPK19rocblas_complex_numIdES3_PS1_EviT6_lT7_lT5_lS6_lS7_lS5_lT8_i.kd
    .uniform_work_group_size: 1
    .uses_dynamic_stack: false
    .vgpr_count:     311
    .vgpr_spill_count: 0
    .wavefront_size: 32
  - .args:
      - .offset:         0
        .size:           4
        .value_kind:     by_value
      - .offset:         8
        .size:           16
        .value_kind:     by_value
      - .offset:         24
        .size:           8
        .value_kind:     by_value
      - .address_space:  global
        .offset:         32
        .size:           8
        .value_kind:     global_buffer
      - .offset:         40
        .size:           8
        .value_kind:     by_value
      - .offset:         48
        .size:           8
        .value_kind:     by_value
      - .offset:         56
        .size:           8
        .value_kind:     by_value
      - .address_space:  global
        .offset:         64
        .size:           8
        .value_kind:     global_buffer
      - .offset:         72
        .size:           8
        .value_kind:     by_value
      - .offset:         80
        .size:           8
        .value_kind:     by_value
      - .offset:         88
        .size:           8
        .value_kind:     by_value
      - .offset:         96
        .size:           16
        .value_kind:     by_value
      - .offset:         112
        .size:           8
        .value_kind:     by_value
      - .address_space:  global
        .offset:         120
        .size:           8
        .value_kind:     global_buffer
      - .offset:         128
        .size:           4
        .value_kind:     by_value
      - .offset:         136
        .size:           4
        .value_kind:     hidden_block_count_x
      - .offset:         140
        .size:           4
        .value_kind:     hidden_block_count_y
      - .offset:         144
        .size:           4
        .value_kind:     hidden_block_count_z
      - .offset:         148
        .size:           2
        .value_kind:     hidden_group_size_x
      - .offset:         150
        .size:           2
        .value_kind:     hidden_group_size_y
      - .offset:         152
        .size:           2
        .value_kind:     hidden_group_size_z
      - .offset:         154
        .size:           2
        .value_kind:     hidden_remainder_x
      - .offset:         156
        .size:           2
        .value_kind:     hidden_remainder_y
      - .offset:         158
        .size:           2
        .value_kind:     hidden_remainder_z
      - .offset:         176
        .size:           8
        .value_kind:     hidden_global_offset_x
      - .offset:         184
        .size:           8
        .value_kind:     hidden_global_offset_y
      - .offset:         192
        .size:           8
        .value_kind:     hidden_global_offset_z
      - .offset:         200
        .size:           2
        .value_kind:     hidden_grid_dims
    .group_segment_fixed_size: 19200
    .kernarg_segment_align: 8
    .kernarg_segment_size: 392
    .language:       OpenCL C
    .language_version:
      - 2
      - 0
    .max_flat_workgroup_size: 256
    .name:           _ZL26rocblas_hemvn_kernel_upperILb0ELi64ELi4ELi33ELi32ELi16El19rocblas_complex_numIdEPKS1_PS1_EviT6_lT7_lT5_lS6_lS7_lS5_lT8_i
    .private_segment_fixed_size: 0
    .sgpr_count:     74
    .sgpr_spill_count: 0
    .symbol:         _ZL26rocblas_hemvn_kernel_upperILb0ELi64ELi4ELi33ELi32ELi16El19rocblas_complex_numIdEPKS1_PS1_EviT6_lT7_lT5_lS6_lS7_lS5_lT8_i.kd
    .uniform_work_group_size: 1
    .uses_dynamic_stack: false
    .vgpr_count:     326
    .vgpr_spill_count: 0
    .wavefront_size: 32
  - .args:
      - .offset:         0
        .size:           4
        .value_kind:     by_value
      - .offset:         8
        .size:           16
        .value_kind:     by_value
      - .offset:         24
        .size:           8
        .value_kind:     by_value
      - .address_space:  global
        .offset:         32
        .size:           8
        .value_kind:     global_buffer
      - .offset:         40
        .size:           8
        .value_kind:     by_value
      - .offset:         48
        .size:           4
        .value_kind:     by_value
      - .offset:         56
        .size:           8
        .value_kind:     by_value
      - .address_space:  global
        .offset:         64
        .size:           8
        .value_kind:     global_buffer
      - .offset:         72
        .size:           8
        .value_kind:     by_value
      - .offset:         80
        .size:           4
        .value_kind:     by_value
      - .offset:         88
        .size:           8
        .value_kind:     by_value
      - .offset:         96
        .size:           16
        .value_kind:     by_value
      - .offset:         112
        .size:           8
        .value_kind:     by_value
      - .address_space:  global
        .offset:         120
        .size:           8
        .value_kind:     global_buffer
      - .offset:         128
        .size:           4
        .value_kind:     by_value
      - .offset:         136
        .size:           4
        .value_kind:     hidden_block_count_x
      - .offset:         140
        .size:           4
        .value_kind:     hidden_block_count_y
      - .offset:         144
        .size:           4
        .value_kind:     hidden_block_count_z
      - .offset:         148
        .size:           2
        .value_kind:     hidden_group_size_x
      - .offset:         150
        .size:           2
        .value_kind:     hidden_group_size_y
      - .offset:         152
        .size:           2
        .value_kind:     hidden_group_size_z
      - .offset:         154
        .size:           2
        .value_kind:     hidden_remainder_x
      - .offset:         156
        .size:           2
        .value_kind:     hidden_remainder_y
      - .offset:         158
        .size:           2
        .value_kind:     hidden_remainder_z
      - .offset:         176
        .size:           8
        .value_kind:     hidden_global_offset_x
      - .offset:         184
        .size:           8
        .value_kind:     hidden_global_offset_y
      - .offset:         192
        .size:           8
        .value_kind:     hidden_global_offset_z
      - .offset:         200
        .size:           2
        .value_kind:     hidden_grid_dims
    .group_segment_fixed_size: 19200
    .kernarg_segment_align: 8
    .kernarg_segment_size: 392
    .language:       OpenCL C
    .language_version:
      - 2
      - 0
    .max_flat_workgroup_size: 256
    .name:           _ZL26rocblas_hemvn_kernel_upperILb0ELi64ELi4ELi33ELi32ELi16Ei19rocblas_complex_numIdEPKS1_PS1_EviT6_lT7_lT5_lS6_lS7_lS5_lT8_i
    .private_segment_fixed_size: 0
    .sgpr_count:     80
    .sgpr_spill_count: 0
    .symbol:         _ZL26rocblas_hemvn_kernel_upperILb0ELi64ELi4ELi33ELi32ELi16Ei19rocblas_complex_numIdEPKS1_PS1_EviT6_lT7_lT5_lS6_lS7_lS5_lT8_i.kd
    .uniform_work_group_size: 1
    .uses_dynamic_stack: false
    .vgpr_count:     312
    .vgpr_spill_count: 0
    .wavefront_size: 32
  - .args:
      - .offset:         0
        .size:           4
        .value_kind:     by_value
      - .address_space:  global
        .offset:         8
        .size:           8
        .value_kind:     global_buffer
      - .offset:         16
        .size:           8
        .value_kind:     by_value
      - .address_space:  global
        .offset:         24
        .size:           8
        .value_kind:     global_buffer
      - .offset:         32
        .size:           8
        .value_kind:     by_value
      - .offset:         40
        .size:           8
        .value_kind:     by_value
      - .offset:         48
        .size:           8
        .value_kind:     by_value
      - .address_space:  global
        .offset:         56
        .size:           8
        .value_kind:     global_buffer
      - .offset:         64
        .size:           8
        .value_kind:     by_value
      - .offset:         72
        .size:           8
        .value_kind:     by_value
      - .offset:         80
        .size:           8
        .value_kind:     by_value
      - .address_space:  global
        .offset:         88
        .size:           8
        .value_kind:     global_buffer
      - .offset:         96
        .size:           8
        .value_kind:     by_value
      - .address_space:  global
        .offset:         104
        .size:           8
        .value_kind:     global_buffer
      - .offset:         112
        .size:           4
        .value_kind:     by_value
      - .offset:         120
        .size:           4
        .value_kind:     hidden_block_count_x
      - .offset:         124
        .size:           4
        .value_kind:     hidden_block_count_y
      - .offset:         128
        .size:           4
        .value_kind:     hidden_block_count_z
      - .offset:         132
        .size:           2
        .value_kind:     hidden_group_size_x
      - .offset:         134
        .size:           2
        .value_kind:     hidden_group_size_y
      - .offset:         136
        .size:           2
        .value_kind:     hidden_group_size_z
      - .offset:         138
        .size:           2
        .value_kind:     hidden_remainder_x
      - .offset:         140
        .size:           2
        .value_kind:     hidden_remainder_y
      - .offset:         142
        .size:           2
        .value_kind:     hidden_remainder_z
      - .offset:         160
        .size:           8
        .value_kind:     hidden_global_offset_x
      - .offset:         168
        .size:           8
        .value_kind:     hidden_global_offset_y
      - .offset:         176
        .size:           8
        .value_kind:     hidden_global_offset_z
      - .offset:         184
        .size:           2
        .value_kind:     hidden_grid_dims
    .group_segment_fixed_size: 19200
    .kernarg_segment_align: 8
    .kernarg_segment_size: 376
    .language:       OpenCL C
    .language_version:
      - 2
      - 0
    .max_flat_workgroup_size: 256
    .name:           _ZL26rocblas_hemvn_kernel_lowerILb0ELi64ELi4ELi33ELi32ELi16ElPK19rocblas_complex_numIdES3_PS1_EviT6_lT7_lT5_lS6_lS7_lS5_lT8_i
    .private_segment_fixed_size: 0
    .sgpr_count:     80
    .sgpr_spill_count: 0
    .symbol:         _ZL26rocblas_hemvn_kernel_lowerILb0ELi64ELi4ELi33ELi32ELi16ElPK19rocblas_complex_numIdES3_PS1_EviT6_lT7_lT5_lS6_lS7_lS5_lT8_i.kd
    .uniform_work_group_size: 1
    .uses_dynamic_stack: false
    .vgpr_count:     248
    .vgpr_spill_count: 0
    .wavefront_size: 32
  - .args:
      - .offset:         0
        .size:           4
        .value_kind:     by_value
      - .address_space:  global
        .offset:         8
        .size:           8
        .value_kind:     global_buffer
      - .offset:         16
        .size:           8
        .value_kind:     by_value
      - .address_space:  global
        .offset:         24
        .size:           8
        .value_kind:     global_buffer
      - .offset:         32
        .size:           8
        .value_kind:     by_value
      - .offset:         40
        .size:           4
        .value_kind:     by_value
      - .offset:         48
        .size:           8
        .value_kind:     by_value
      - .address_space:  global
        .offset:         56
        .size:           8
        .value_kind:     global_buffer
      - .offset:         64
        .size:           8
        .value_kind:     by_value
      - .offset:         72
        .size:           4
        .value_kind:     by_value
      - .offset:         80
        .size:           8
        .value_kind:     by_value
      - .address_space:  global
        .offset:         88
        .size:           8
        .value_kind:     global_buffer
      - .offset:         96
        .size:           8
        .value_kind:     by_value
      - .address_space:  global
        .offset:         104
        .size:           8
        .value_kind:     global_buffer
      - .offset:         112
        .size:           4
        .value_kind:     by_value
      - .offset:         120
        .size:           4
        .value_kind:     hidden_block_count_x
      - .offset:         124
        .size:           4
        .value_kind:     hidden_block_count_y
      - .offset:         128
        .size:           4
        .value_kind:     hidden_block_count_z
      - .offset:         132
        .size:           2
        .value_kind:     hidden_group_size_x
      - .offset:         134
        .size:           2
        .value_kind:     hidden_group_size_y
      - .offset:         136
        .size:           2
        .value_kind:     hidden_group_size_z
      - .offset:         138
        .size:           2
        .value_kind:     hidden_remainder_x
      - .offset:         140
        .size:           2
        .value_kind:     hidden_remainder_y
      - .offset:         142
        .size:           2
        .value_kind:     hidden_remainder_z
      - .offset:         160
        .size:           8
        .value_kind:     hidden_global_offset_x
      - .offset:         168
        .size:           8
        .value_kind:     hidden_global_offset_y
      - .offset:         176
        .size:           8
        .value_kind:     hidden_global_offset_z
      - .offset:         184
        .size:           2
        .value_kind:     hidden_grid_dims
    .group_segment_fixed_size: 19200
    .kernarg_segment_align: 8
    .kernarg_segment_size: 376
    .language:       OpenCL C
    .language_version:
      - 2
      - 0
    .max_flat_workgroup_size: 256
    .name:           _ZL26rocblas_hemvn_kernel_lowerILb0ELi64ELi4ELi33ELi32ELi16EiPK19rocblas_complex_numIdES3_PS1_EviT6_lT7_lT5_lS6_lS7_lS5_lT8_i
    .private_segment_fixed_size: 0
    .sgpr_count:     80
    .sgpr_spill_count: 0
    .symbol:         _ZL26rocblas_hemvn_kernel_lowerILb0ELi64ELi4ELi33ELi32ELi16EiPK19rocblas_complex_numIdES3_PS1_EviT6_lT7_lT5_lS6_lS7_lS5_lT8_i.kd
    .uniform_work_group_size: 1
    .uses_dynamic_stack: false
    .vgpr_count:     250
    .vgpr_spill_count: 0
    .wavefront_size: 32
  - .args:
      - .offset:         0
        .size:           4
        .value_kind:     by_value
      - .offset:         8
        .size:           16
        .value_kind:     by_value
      - .offset:         24
        .size:           8
        .value_kind:     by_value
      - .address_space:  global
        .offset:         32
        .size:           8
        .value_kind:     global_buffer
      - .offset:         40
        .size:           8
        .value_kind:     by_value
      - .offset:         48
        .size:           8
        .value_kind:     by_value
      - .offset:         56
        .size:           8
        .value_kind:     by_value
      - .address_space:  global
        .offset:         64
        .size:           8
        .value_kind:     global_buffer
      - .offset:         72
        .size:           8
        .value_kind:     by_value
      - .offset:         80
        .size:           8
        .value_kind:     by_value
      - .offset:         88
        .size:           8
        .value_kind:     by_value
      - .offset:         96
        .size:           16
        .value_kind:     by_value
      - .offset:         112
        .size:           8
        .value_kind:     by_value
      - .address_space:  global
        .offset:         120
        .size:           8
        .value_kind:     global_buffer
      - .offset:         128
        .size:           4
        .value_kind:     by_value
      - .offset:         136
        .size:           4
        .value_kind:     hidden_block_count_x
      - .offset:         140
        .size:           4
        .value_kind:     hidden_block_count_y
      - .offset:         144
        .size:           4
        .value_kind:     hidden_block_count_z
      - .offset:         148
        .size:           2
        .value_kind:     hidden_group_size_x
      - .offset:         150
        .size:           2
        .value_kind:     hidden_group_size_y
      - .offset:         152
        .size:           2
        .value_kind:     hidden_group_size_z
      - .offset:         154
        .size:           2
        .value_kind:     hidden_remainder_x
      - .offset:         156
        .size:           2
        .value_kind:     hidden_remainder_y
      - .offset:         158
        .size:           2
        .value_kind:     hidden_remainder_z
      - .offset:         176
        .size:           8
        .value_kind:     hidden_global_offset_x
      - .offset:         184
        .size:           8
        .value_kind:     hidden_global_offset_y
      - .offset:         192
        .size:           8
        .value_kind:     hidden_global_offset_z
      - .offset:         200
        .size:           2
        .value_kind:     hidden_grid_dims
    .group_segment_fixed_size: 19200
    .kernarg_segment_align: 8
    .kernarg_segment_size: 392
    .language:       OpenCL C
    .language_version:
      - 2
      - 0
    .max_flat_workgroup_size: 256
    .name:           _ZL26rocblas_hemvn_kernel_lowerILb0ELi64ELi4ELi33ELi32ELi16El19rocblas_complex_numIdEPKS1_PS1_EviT6_lT7_lT5_lS6_lS7_lS5_lT8_i
    .private_segment_fixed_size: 0
    .sgpr_count:     74
    .sgpr_spill_count: 0
    .symbol:         _ZL26rocblas_hemvn_kernel_lowerILb0ELi64ELi4ELi33ELi32ELi16El19rocblas_complex_numIdEPKS1_PS1_EviT6_lT7_lT5_lS6_lS7_lS5_lT8_i.kd
    .uniform_work_group_size: 1
    .uses_dynamic_stack: false
    .vgpr_count:     248
    .vgpr_spill_count: 0
    .wavefront_size: 32
  - .args:
      - .offset:         0
        .size:           4
        .value_kind:     by_value
      - .offset:         8
        .size:           16
        .value_kind:     by_value
      - .offset:         24
        .size:           8
        .value_kind:     by_value
      - .address_space:  global
        .offset:         32
        .size:           8
        .value_kind:     global_buffer
      - .offset:         40
        .size:           8
        .value_kind:     by_value
      - .offset:         48
        .size:           4
        .value_kind:     by_value
      - .offset:         56
        .size:           8
        .value_kind:     by_value
      - .address_space:  global
        .offset:         64
        .size:           8
        .value_kind:     global_buffer
      - .offset:         72
        .size:           8
        .value_kind:     by_value
      - .offset:         80
        .size:           4
        .value_kind:     by_value
      - .offset:         88
        .size:           8
        .value_kind:     by_value
      - .offset:         96
        .size:           16
        .value_kind:     by_value
      - .offset:         112
        .size:           8
        .value_kind:     by_value
      - .address_space:  global
        .offset:         120
        .size:           8
        .value_kind:     global_buffer
      - .offset:         128
        .size:           4
        .value_kind:     by_value
      - .offset:         136
        .size:           4
        .value_kind:     hidden_block_count_x
      - .offset:         140
        .size:           4
        .value_kind:     hidden_block_count_y
      - .offset:         144
        .size:           4
        .value_kind:     hidden_block_count_z
      - .offset:         148
        .size:           2
        .value_kind:     hidden_group_size_x
      - .offset:         150
        .size:           2
        .value_kind:     hidden_group_size_y
      - .offset:         152
        .size:           2
        .value_kind:     hidden_group_size_z
      - .offset:         154
        .size:           2
        .value_kind:     hidden_remainder_x
      - .offset:         156
        .size:           2
        .value_kind:     hidden_remainder_y
      - .offset:         158
        .size:           2
        .value_kind:     hidden_remainder_z
      - .offset:         176
        .size:           8
        .value_kind:     hidden_global_offset_x
      - .offset:         184
        .size:           8
        .value_kind:     hidden_global_offset_y
      - .offset:         192
        .size:           8
        .value_kind:     hidden_global_offset_z
      - .offset:         200
        .size:           2
        .value_kind:     hidden_grid_dims
    .group_segment_fixed_size: 19200
    .kernarg_segment_align: 8
    .kernarg_segment_size: 392
    .language:       OpenCL C
    .language_version:
      - 2
      - 0
    .max_flat_workgroup_size: 256
    .name:           _ZL26rocblas_hemvn_kernel_lowerILb0ELi64ELi4ELi33ELi32ELi16Ei19rocblas_complex_numIdEPKS1_PS1_EviT6_lT7_lT5_lS6_lS7_lS5_lT8_i
    .private_segment_fixed_size: 0
    .sgpr_count:     73
    .sgpr_spill_count: 0
    .symbol:         _ZL26rocblas_hemvn_kernel_lowerILb0ELi64ELi4ELi33ELi32ELi16Ei19rocblas_complex_numIdEPKS1_PS1_EviT6_lT7_lT5_lS6_lS7_lS5_lT8_i.kd
    .uniform_work_group_size: 1
    .uses_dynamic_stack: false
    .vgpr_count:     252
    .vgpr_spill_count: 0
    .wavefront_size: 32
  - .args:
      - .offset:         0
        .size:           1
        .value_kind:     by_value
      - .offset:         4
        .size:           4
        .value_kind:     by_value
      - .offset:         8
        .size:           8
        .value_kind:     by_value
      - .offset:         16
        .size:           8
        .value_kind:     by_value
      - .address_space:  global
        .offset:         24
        .size:           8
        .value_kind:     global_buffer
      - .offset:         32
        .size:           8
        .value_kind:     by_value
      - .offset:         40
        .size:           8
        .value_kind:     by_value
      - .offset:         48
        .size:           8
        .value_kind:     by_value
      - .address_space:  global
        .offset:         56
        .size:           8
        .value_kind:     global_buffer
      - .offset:         64
        .size:           8
        .value_kind:     by_value
      - .offset:         72
        .size:           8
        .value_kind:     by_value
      - .offset:         80
        .size:           8
        .value_kind:     by_value
      - .offset:         88
        .size:           8
        .value_kind:     by_value
      - .offset:         96
        .size:           8
        .value_kind:     by_value
      - .actual_access:  read_only
        .address_space:  global
        .offset:         104
        .size:           8
        .value_kind:     global_buffer
      - .offset:         112
        .size:           8
        .value_kind:     by_value
      - .offset:         120
        .size:           8
        .value_kind:     by_value
      - .offset:         128
        .size:           8
        .value_kind:     by_value
      - .offset:         136
        .size:           4
        .value_kind:     by_value
    .group_segment_fixed_size: 7296
    .kernarg_segment_align: 8
    .kernarg_segment_size: 140
    .language:       OpenCL C
    .language_version:
      - 2
      - 0
    .max_flat_workgroup_size: 128
    .name:           _ZL50rocblas_symv_kernel_upper_double_buffered_diagonalILi32ELi4E24rocblas_internal_val_ptrIfEPKPKfPKPfEvbiT1_lT2_lllSA_lllS9_lT3_llli
    .private_segment_fixed_size: 0
    .sgpr_count:     50
    .sgpr_spill_count: 0
    .symbol:         _ZL50rocblas_symv_kernel_upper_double_buffered_diagonalILi32ELi4E24rocblas_internal_val_ptrIfEPKPKfPKPfEvbiT1_lT2_lllSA_lllS9_lT3_llli.kd
    .uniform_work_group_size: 1
    .uses_dynamic_stack: false
    .vgpr_count:     42
    .vgpr_spill_count: 0
    .wavefront_size: 32
  - .args:
      - .offset:         0
        .size:           1
        .value_kind:     by_value
      - .offset:         4
        .size:           4
        .value_kind:     by_value
      - .offset:         8
        .size:           8
        .value_kind:     by_value
      - .offset:         16
        .size:           8
        .value_kind:     by_value
      - .address_space:  global
        .offset:         24
        .size:           8
        .value_kind:     global_buffer
      - .offset:         32
        .size:           8
        .value_kind:     by_value
      - .offset:         40
        .size:           8
        .value_kind:     by_value
      - .offset:         48
        .size:           8
        .value_kind:     by_value
      - .address_space:  global
        .offset:         56
        .size:           8
        .value_kind:     global_buffer
      - .offset:         64
        .size:           8
        .value_kind:     by_value
      - .offset:         72
        .size:           8
        .value_kind:     by_value
      - .offset:         80
        .size:           8
        .value_kind:     by_value
      - .actual_access:  read_only
        .address_space:  global
        .offset:         88
        .size:           8
        .value_kind:     global_buffer
      - .offset:         96
        .size:           8
        .value_kind:     by_value
      - .offset:         104
        .size:           8
        .value_kind:     by_value
      - .offset:         112
        .size:           8
        .value_kind:     by_value
      - .offset:         120
        .size:           4
        .value_kind:     by_value
      - .offset:         128
        .size:           4
        .value_kind:     hidden_block_count_x
      - .offset:         132
        .size:           4
        .value_kind:     hidden_block_count_y
      - .offset:         136
        .size:           4
        .value_kind:     hidden_block_count_z
      - .offset:         140
        .size:           2
        .value_kind:     hidden_group_size_x
      - .offset:         142
        .size:           2
        .value_kind:     hidden_group_size_y
      - .offset:         144
        .size:           2
        .value_kind:     hidden_group_size_z
      - .offset:         146
        .size:           2
        .value_kind:     hidden_remainder_x
      - .offset:         148
        .size:           2
        .value_kind:     hidden_remainder_y
      - .offset:         150
        .size:           2
        .value_kind:     hidden_remainder_z
      - .offset:         168
        .size:           8
        .value_kind:     hidden_global_offset_x
      - .offset:         176
        .size:           8
        .value_kind:     hidden_global_offset_y
      - .offset:         184
        .size:           8
        .value_kind:     hidden_global_offset_z
      - .offset:         192
        .size:           2
        .value_kind:     hidden_grid_dims
    .group_segment_fixed_size: 4224
    .kernarg_segment_align: 8
    .kernarg_segment_size: 384
    .language:       OpenCL C
    .language_version:
      - 2
      - 0
    .max_flat_workgroup_size: 128
    .name:           _ZL54rocblas_symv_kernel_upper_double_buffered_non_diagonalILi32ELi4ELi4E24rocblas_internal_val_ptrIfEPKPKfPKPfEvbiT2_lT3_lllSA_lllT4_llli
    .private_segment_fixed_size: 0
    .sgpr_count:     59
    .sgpr_spill_count: 0
    .symbol:         _ZL54rocblas_symv_kernel_upper_double_buffered_non_diagonalILi32ELi4ELi4E24rocblas_internal_val_ptrIfEPKPKfPKPfEvbiT2_lT3_lllSA_lllT4_llli.kd
    .uniform_work_group_size: 1
    .uses_dynamic_stack: false
    .vgpr_count:     96
    .vgpr_spill_count: 0
    .wavefront_size: 32
  - .args:
      - .offset:         0
        .size:           1
        .value_kind:     by_value
      - .offset:         4
        .size:           4
        .value_kind:     by_value
      - .offset:         8
        .size:           8
        .value_kind:     by_value
      - .offset:         16
        .size:           8
        .value_kind:     by_value
      - .address_space:  global
        .offset:         24
        .size:           8
        .value_kind:     global_buffer
      - .offset:         32
        .size:           8
        .value_kind:     by_value
      - .offset:         40
        .size:           8
        .value_kind:     by_value
      - .offset:         48
        .size:           8
        .value_kind:     by_value
      - .address_space:  global
        .offset:         56
        .size:           8
        .value_kind:     global_buffer
      - .offset:         64
        .size:           8
        .value_kind:     by_value
      - .offset:         72
        .size:           8
        .value_kind:     by_value
      - .offset:         80
        .size:           8
        .value_kind:     by_value
      - .offset:         88
        .size:           8
        .value_kind:     by_value
      - .offset:         96
        .size:           8
        .value_kind:     by_value
      - .actual_access:  read_only
        .address_space:  global
        .offset:         104
        .size:           8
        .value_kind:     global_buffer
      - .offset:         112
        .size:           8
        .value_kind:     by_value
      - .offset:         120
        .size:           8
        .value_kind:     by_value
      - .offset:         128
        .size:           8
        .value_kind:     by_value
      - .offset:         136
        .size:           4
        .value_kind:     by_value
      - .offset:         140
        .size:           4
        .value_kind:     by_value
      - .offset:         144
        .size:           4
        .value_kind:     hidden_block_count_x
      - .offset:         148
        .size:           4
        .value_kind:     hidden_block_count_y
      - .offset:         152
        .size:           4
        .value_kind:     hidden_block_count_z
      - .offset:         156
        .size:           2
        .value_kind:     hidden_group_size_x
      - .offset:         158
        .size:           2
        .value_kind:     hidden_group_size_y
      - .offset:         160
        .size:           2
        .value_kind:     hidden_group_size_z
      - .offset:         162
        .size:           2
        .value_kind:     hidden_remainder_x
      - .offset:         164
        .size:           2
        .value_kind:     hidden_remainder_y
      - .offset:         166
        .size:           2
        .value_kind:     hidden_remainder_z
      - .offset:         184
        .size:           8
        .value_kind:     hidden_global_offset_x
      - .offset:         192
        .size:           8
        .value_kind:     hidden_global_offset_y
      - .offset:         200
        .size:           8
        .value_kind:     hidden_global_offset_z
      - .offset:         208
        .size:           2
        .value_kind:     hidden_grid_dims
    .group_segment_fixed_size: 10368
    .kernarg_segment_align: 8
    .kernarg_segment_size: 400
    .language:       OpenCL C
    .language_version:
      - 2
      - 0
    .max_flat_workgroup_size: 256
    .name:           _ZL58rocblas_symv_kernel_upper_double_buffered_diagonal_genericILi32ELi8E24rocblas_internal_val_ptrIfEPKPKfPKPfEvbiT1_lT2_lllSA_lllS9_lT3_lllii
    .private_segment_fixed_size: 0
    .sgpr_count:     64
    .sgpr_spill_count: 0
    .symbol:         _ZL58rocblas_symv_kernel_upper_double_buffered_diagonal_genericILi32ELi8E24rocblas_internal_val_ptrIfEPKPKfPKPfEvbiT1_lT2_lllSA_lllS9_lT3_lllii.kd
    .uniform_work_group_size: 1
    .uses_dynamic_stack: false
    .vgpr_count:     42
    .vgpr_spill_count: 0
    .wavefront_size: 32
  - .args:
      - .offset:         0
        .size:           1
        .value_kind:     by_value
      - .offset:         4
        .size:           4
        .value_kind:     by_value
      - .offset:         8
        .size:           8
        .value_kind:     by_value
      - .offset:         16
        .size:           8
        .value_kind:     by_value
      - .address_space:  global
        .offset:         24
        .size:           8
        .value_kind:     global_buffer
      - .offset:         32
        .size:           8
        .value_kind:     by_value
      - .offset:         40
        .size:           8
        .value_kind:     by_value
      - .offset:         48
        .size:           8
        .value_kind:     by_value
      - .address_space:  global
        .offset:         56
        .size:           8
        .value_kind:     global_buffer
      - .offset:         64
        .size:           8
        .value_kind:     by_value
      - .offset:         72
        .size:           8
        .value_kind:     by_value
      - .offset:         80
        .size:           8
        .value_kind:     by_value
      - .actual_access:  read_only
        .address_space:  global
        .offset:         88
        .size:           8
        .value_kind:     global_buffer
      - .offset:         96
        .size:           8
        .value_kind:     by_value
      - .offset:         104
        .size:           8
        .value_kind:     by_value
      - .offset:         112
        .size:           8
        .value_kind:     by_value
      - .offset:         120
        .size:           4
        .value_kind:     by_value
      - .offset:         124
        .size:           4
        .value_kind:     by_value
      - .offset:         128
        .size:           4
        .value_kind:     hidden_block_count_x
      - .offset:         132
        .size:           4
        .value_kind:     hidden_block_count_y
      - .offset:         136
        .size:           4
        .value_kind:     hidden_block_count_z
      - .offset:         140
        .size:           2
        .value_kind:     hidden_group_size_x
      - .offset:         142
        .size:           2
        .value_kind:     hidden_group_size_y
      - .offset:         144
        .size:           2
        .value_kind:     hidden_group_size_z
      - .offset:         146
        .size:           2
        .value_kind:     hidden_remainder_x
      - .offset:         148
        .size:           2
        .value_kind:     hidden_remainder_y
      - .offset:         150
        .size:           2
        .value_kind:     hidden_remainder_z
      - .offset:         168
        .size:           8
        .value_kind:     hidden_global_offset_x
      - .offset:         176
        .size:           8
        .value_kind:     hidden_global_offset_y
      - .offset:         184
        .size:           8
        .value_kind:     hidden_global_offset_z
      - .offset:         192
        .size:           2
        .value_kind:     hidden_grid_dims
    .group_segment_fixed_size: 6272
    .kernarg_segment_align: 8
    .kernarg_segment_size: 384
    .language:       OpenCL C
    .language_version:
      - 2
      - 0
    .max_flat_workgroup_size: 256
    .name:           _ZL62rocblas_symv_kernel_upper_double_buffered_non_diagonal_genericILi32ELi8ELi2ELi0E24rocblas_internal_val_ptrIfEPKPKfPKPfEvbiT3_lT4_lllSA_lllT5_lllii
    .private_segment_fixed_size: 0
    .sgpr_count:     61
    .sgpr_spill_count: 0
    .symbol:         _ZL62rocblas_symv_kernel_upper_double_buffered_non_diagonal_genericILi32ELi8ELi2ELi0E24rocblas_internal_val_ptrIfEPKPKfPKPfEvbiT3_lT4_lllSA_lllT5_lllii.kd
    .uniform_work_group_size: 1
    .uses_dynamic_stack: false
    .vgpr_count:     76
    .vgpr_spill_count: 0
    .wavefront_size: 32
  - .args:
      - .offset:         0
        .size:           1
        .value_kind:     by_value
      - .offset:         4
        .size:           4
        .value_kind:     by_value
      - .offset:         8
        .size:           8
        .value_kind:     by_value
      - .offset:         16
        .size:           8
        .value_kind:     by_value
      - .address_space:  global
        .offset:         24
        .size:           8
        .value_kind:     global_buffer
      - .offset:         32
        .size:           8
        .value_kind:     by_value
      - .offset:         40
        .size:           8
        .value_kind:     by_value
      - .offset:         48
        .size:           8
        .value_kind:     by_value
      - .address_space:  global
        .offset:         56
        .size:           8
        .value_kind:     global_buffer
      - .offset:         64
        .size:           8
        .value_kind:     by_value
      - .offset:         72
        .size:           8
        .value_kind:     by_value
      - .offset:         80
        .size:           8
        .value_kind:     by_value
      - .actual_access:  read_only
        .address_space:  global
        .offset:         88
        .size:           8
        .value_kind:     global_buffer
      - .offset:         96
        .size:           8
        .value_kind:     by_value
      - .offset:         104
        .size:           8
        .value_kind:     by_value
      - .offset:         112
        .size:           8
        .value_kind:     by_value
      - .offset:         120
        .size:           4
        .value_kind:     by_value
      - .offset:         124
        .size:           4
        .value_kind:     by_value
      - .offset:         128
        .size:           4
        .value_kind:     hidden_block_count_x
      - .offset:         132
        .size:           4
        .value_kind:     hidden_block_count_y
      - .offset:         136
        .size:           4
        .value_kind:     hidden_block_count_z
      - .offset:         140
        .size:           2
        .value_kind:     hidden_group_size_x
      - .offset:         142
        .size:           2
        .value_kind:     hidden_group_size_y
      - .offset:         144
        .size:           2
        .value_kind:     hidden_group_size_z
      - .offset:         146
        .size:           2
        .value_kind:     hidden_remainder_x
      - .offset:         148
        .size:           2
        .value_kind:     hidden_remainder_y
      - .offset:         150
        .size:           2
        .value_kind:     hidden_remainder_z
      - .offset:         168
        .size:           8
        .value_kind:     hidden_global_offset_x
      - .offset:         176
        .size:           8
        .value_kind:     hidden_global_offset_y
      - .offset:         184
        .size:           8
        .value_kind:     hidden_global_offset_z
      - .offset:         192
        .size:           2
        .value_kind:     hidden_grid_dims
    .group_segment_fixed_size: 6272
    .kernarg_segment_align: 8
    .kernarg_segment_size: 384
    .language:       OpenCL C
    .language_version:
      - 2
      - 0
    .max_flat_workgroup_size: 256
    .name:           _ZL62rocblas_symv_kernel_upper_double_buffered_non_diagonal_genericILi32ELi8ELi2ELi1E24rocblas_internal_val_ptrIfEPKPKfPKPfEvbiT3_lT4_lllSA_lllT5_lllii
    .private_segment_fixed_size: 0
    .sgpr_count:     61
    .sgpr_spill_count: 0
    .symbol:         _ZL62rocblas_symv_kernel_upper_double_buffered_non_diagonal_genericILi32ELi8ELi2ELi1E24rocblas_internal_val_ptrIfEPKPKfPKPfEvbiT3_lT4_lllSA_lllT5_lllii.kd
    .uniform_work_group_size: 1
    .uses_dynamic_stack: false
    .vgpr_count:     80
    .vgpr_spill_count: 0
    .wavefront_size: 32
  - .args:
      - .offset:         0
        .size:           4
        .value_kind:     by_value
      - .address_space:  global
        .offset:         8
        .size:           8
        .value_kind:     global_buffer
      - .offset:         16
        .size:           8
        .value_kind:     by_value
      - .address_space:  global
        .offset:         24
        .size:           8
        .value_kind:     global_buffer
      - .offset:         32
        .size:           8
        .value_kind:     by_value
      - .offset:         40
        .size:           8
        .value_kind:     by_value
      - .offset:         48
        .size:           8
        .value_kind:     by_value
      - .address_space:  global
        .offset:         56
        .size:           8
        .value_kind:     global_buffer
      - .offset:         64
        .size:           8
        .value_kind:     by_value
      - .offset:         72
        .size:           8
        .value_kind:     by_value
      - .offset:         80
        .size:           8
        .value_kind:     by_value
      - .address_space:  global
        .offset:         88
        .size:           8
        .value_kind:     global_buffer
      - .offset:         96
        .size:           8
        .value_kind:     by_value
      - .address_space:  global
        .offset:         104
        .size:           8
        .value_kind:     global_buffer
      - .offset:         112
        .size:           4
        .value_kind:     by_value
      - .offset:         120
        .size:           4
        .value_kind:     hidden_block_count_x
      - .offset:         124
        .size:           4
        .value_kind:     hidden_block_count_y
      - .offset:         128
        .size:           4
        .value_kind:     hidden_block_count_z
      - .offset:         132
        .size:           2
        .value_kind:     hidden_group_size_x
      - .offset:         134
        .size:           2
        .value_kind:     hidden_group_size_y
      - .offset:         136
        .size:           2
        .value_kind:     hidden_group_size_z
      - .offset:         138
        .size:           2
        .value_kind:     hidden_remainder_x
      - .offset:         140
        .size:           2
        .value_kind:     hidden_remainder_y
      - .offset:         142
        .size:           2
        .value_kind:     hidden_remainder_z
      - .offset:         160
        .size:           8
        .value_kind:     hidden_global_offset_x
      - .offset:         168
        .size:           8
        .value_kind:     hidden_global_offset_y
      - .offset:         176
        .size:           8
        .value_kind:     hidden_global_offset_z
      - .offset:         184
        .size:           2
        .value_kind:     hidden_grid_dims
    .group_segment_fixed_size: 4800
    .kernarg_segment_align: 8
    .kernarg_segment_size: 376
    .language:       OpenCL C
    .language_version:
      - 2
      - 0
    .max_flat_workgroup_size: 256
    .name:           _ZL26rocblas_hemvn_kernel_upperILb0ELi64ELi4ELi33ELi32ELi16ElPKfPKS1_PfEviT6_lT7_lT5_lS6_lS7_lS5_lT8_i
    .private_segment_fixed_size: 0
    .sgpr_count:     88
    .sgpr_spill_count: 0
    .symbol:         _ZL26rocblas_hemvn_kernel_upperILb0ELi64ELi4ELi33ELi32ELi16ElPKfPKS1_PfEviT6_lT7_lT5_lS6_lS7_lS5_lT8_i.kd
    .uniform_work_group_size: 1
    .uses_dynamic_stack: false
    .vgpr_count:     160
    .vgpr_spill_count: 0
    .wavefront_size: 32
  - .args:
      - .offset:         0
        .size:           4
        .value_kind:     by_value
      - .address_space:  global
        .offset:         8
        .size:           8
        .value_kind:     global_buffer
      - .offset:         16
        .size:           8
        .value_kind:     by_value
      - .address_space:  global
        .offset:         24
        .size:           8
        .value_kind:     global_buffer
      - .offset:         32
        .size:           8
        .value_kind:     by_value
      - .actual_access:  read_only
        .address_space:  global
        .offset:         40
        .size:           8
        .value_kind:     global_buffer
      - .offset:         48
        .size:           8
        .value_kind:     by_value
      - .offset:         56
        .size:           8
        .value_kind:     by_value
      - .offset:         64
        .size:           8
        .value_kind:     by_value
      - .address_space:  global
        .offset:         72
        .size:           8
        .value_kind:     global_buffer
      - .offset:         80
        .size:           4
        .value_kind:     by_value
      - .offset:         88
        .size:           4
        .value_kind:     hidden_block_count_x
      - .offset:         92
        .size:           4
        .value_kind:     hidden_block_count_y
      - .offset:         96
        .size:           4
        .value_kind:     hidden_block_count_z
      - .offset:         100
        .size:           2
        .value_kind:     hidden_group_size_x
      - .offset:         102
        .size:           2
        .value_kind:     hidden_group_size_y
      - .offset:         104
        .size:           2
        .value_kind:     hidden_group_size_z
      - .offset:         106
        .size:           2
        .value_kind:     hidden_remainder_x
      - .offset:         108
        .size:           2
        .value_kind:     hidden_remainder_y
      - .offset:         110
        .size:           2
        .value_kind:     hidden_remainder_z
      - .offset:         128
        .size:           8
        .value_kind:     hidden_global_offset_x
      - .offset:         136
        .size:           8
        .value_kind:     hidden_global_offset_y
      - .offset:         144
        .size:           8
        .value_kind:     hidden_global_offset_z
      - .offset:         152
        .size:           2
        .value_kind:     hidden_grid_dims
    .group_segment_fixed_size: 0
    .kernarg_segment_align: 8
    .kernarg_segment_size: 344
    .language:       OpenCL C
    .language_version:
      - 2
      - 0
    .max_flat_workgroup_size: 64
    .name:           _ZL36rocblas_hemvn_kernel_upper_block_sumILi64ElPKfPKPffEviT1_lS5_lT2_lT0_lPT3_i
    .private_segment_fixed_size: 0
    .sgpr_count:     30
    .sgpr_spill_count: 0
    .symbol:         _ZL36rocblas_hemvn_kernel_upper_block_sumILi64ElPKfPKPffEviT1_lS5_lT2_lT0_lPT3_i.kd
    .uniform_work_group_size: 1
    .uses_dynamic_stack: false
    .vgpr_count:     11
    .vgpr_spill_count: 0
    .wavefront_size: 32
  - .args:
      - .offset:         0
        .size:           4
        .value_kind:     by_value
      - .address_space:  global
        .offset:         8
        .size:           8
        .value_kind:     global_buffer
      - .offset:         16
        .size:           8
        .value_kind:     by_value
      - .address_space:  global
        .offset:         24
        .size:           8
        .value_kind:     global_buffer
      - .offset:         32
        .size:           8
        .value_kind:     by_value
      - .offset:         40
        .size:           4
        .value_kind:     by_value
      - .offset:         48
        .size:           8
        .value_kind:     by_value
      - .address_space:  global
        .offset:         56
        .size:           8
        .value_kind:     global_buffer
      - .offset:         64
        .size:           8
        .value_kind:     by_value
      - .offset:         72
        .size:           4
        .value_kind:     by_value
      - .offset:         80
        .size:           8
        .value_kind:     by_value
      - .address_space:  global
        .offset:         88
        .size:           8
        .value_kind:     global_buffer
      - .offset:         96
        .size:           8
        .value_kind:     by_value
      - .address_space:  global
        .offset:         104
        .size:           8
        .value_kind:     global_buffer
      - .offset:         112
        .size:           4
        .value_kind:     by_value
      - .offset:         120
        .size:           4
        .value_kind:     hidden_block_count_x
      - .offset:         124
        .size:           4
        .value_kind:     hidden_block_count_y
      - .offset:         128
        .size:           4
        .value_kind:     hidden_block_count_z
      - .offset:         132
        .size:           2
        .value_kind:     hidden_group_size_x
      - .offset:         134
        .size:           2
        .value_kind:     hidden_group_size_y
      - .offset:         136
        .size:           2
        .value_kind:     hidden_group_size_z
      - .offset:         138
        .size:           2
        .value_kind:     hidden_remainder_x
      - .offset:         140
        .size:           2
        .value_kind:     hidden_remainder_y
      - .offset:         142
        .size:           2
        .value_kind:     hidden_remainder_z
      - .offset:         160
        .size:           8
        .value_kind:     hidden_global_offset_x
      - .offset:         168
        .size:           8
        .value_kind:     hidden_global_offset_y
      - .offset:         176
        .size:           8
        .value_kind:     hidden_global_offset_z
      - .offset:         184
        .size:           2
        .value_kind:     hidden_grid_dims
    .group_segment_fixed_size: 4800
    .kernarg_segment_align: 8
    .kernarg_segment_size: 376
    .language:       OpenCL C
    .language_version:
      - 2
      - 0
    .max_flat_workgroup_size: 256
    .name:           _ZL26rocblas_hemvn_kernel_upperILb0ELi64ELi4ELi33ELi32ELi16EiPKfPKS1_PfEviT6_lT7_lT5_lS6_lS7_lS5_lT8_i
    .private_segment_fixed_size: 0
    .sgpr_count:     107
    .sgpr_spill_count: 4
    .symbol:         _ZL26rocblas_hemvn_kernel_upperILb0ELi64ELi4ELi33ELi32ELi16EiPKfPKS1_PfEviT6_lT7_lT5_lS6_lS7_lS5_lT8_i.kd
    .uniform_work_group_size: 1
    .uses_dynamic_stack: false
    .vgpr_count:     173
    .vgpr_spill_count: 0
    .wavefront_size: 32
  - .args:
      - .offset:         0
        .size:           4
        .value_kind:     by_value
      - .address_space:  global
        .offset:         8
        .size:           8
        .value_kind:     global_buffer
      - .offset:         16
        .size:           8
        .value_kind:     by_value
      - .address_space:  global
        .offset:         24
        .size:           8
        .value_kind:     global_buffer
      - .offset:         32
        .size:           8
        .value_kind:     by_value
      - .actual_access:  read_only
        .address_space:  global
        .offset:         40
        .size:           8
        .value_kind:     global_buffer
      - .offset:         48
        .size:           8
        .value_kind:     by_value
      - .offset:         56
        .size:           4
        .value_kind:     by_value
      - .offset:         64
        .size:           8
        .value_kind:     by_value
      - .address_space:  global
        .offset:         72
        .size:           8
        .value_kind:     global_buffer
      - .offset:         80
        .size:           4
        .value_kind:     by_value
      - .offset:         88
        .size:           4
        .value_kind:     hidden_block_count_x
      - .offset:         92
        .size:           4
        .value_kind:     hidden_block_count_y
      - .offset:         96
        .size:           4
        .value_kind:     hidden_block_count_z
      - .offset:         100
        .size:           2
        .value_kind:     hidden_group_size_x
      - .offset:         102
        .size:           2
        .value_kind:     hidden_group_size_y
      - .offset:         104
        .size:           2
        .value_kind:     hidden_group_size_z
      - .offset:         106
        .size:           2
        .value_kind:     hidden_remainder_x
      - .offset:         108
        .size:           2
        .value_kind:     hidden_remainder_y
      - .offset:         110
        .size:           2
        .value_kind:     hidden_remainder_z
      - .offset:         128
        .size:           8
        .value_kind:     hidden_global_offset_x
      - .offset:         136
        .size:           8
        .value_kind:     hidden_global_offset_y
      - .offset:         144
        .size:           8
        .value_kind:     hidden_global_offset_z
      - .offset:         152
        .size:           2
        .value_kind:     hidden_grid_dims
    .group_segment_fixed_size: 0
    .kernarg_segment_align: 8
    .kernarg_segment_size: 344
    .language:       OpenCL C
    .language_version:
      - 2
      - 0
    .max_flat_workgroup_size: 64
    .name:           _ZL36rocblas_hemvn_kernel_upper_block_sumILi64EiPKfPKPffEviT1_lS5_lT2_lT0_lPT3_i
    .private_segment_fixed_size: 0
    .sgpr_count:     30
    .sgpr_spill_count: 0
    .symbol:         _ZL36rocblas_hemvn_kernel_upper_block_sumILi64EiPKfPKPffEviT1_lS5_lT2_lT0_lPT3_i.kd
    .uniform_work_group_size: 1
    .uses_dynamic_stack: false
    .vgpr_count:     11
    .vgpr_spill_count: 0
    .wavefront_size: 32
  - .args:
      - .offset:         0
        .size:           4
        .value_kind:     by_value
      - .offset:         4
        .size:           4
        .value_kind:     by_value
      - .offset:         8
        .size:           8
        .value_kind:     by_value
      - .address_space:  global
        .offset:         16
        .size:           8
        .value_kind:     global_buffer
      - .offset:         24
        .size:           8
        .value_kind:     by_value
      - .offset:         32
        .size:           8
        .value_kind:     by_value
      - .offset:         40
        .size:           8
        .value_kind:     by_value
      - .address_space:  global
        .offset:         48
        .size:           8
        .value_kind:     global_buffer
      - .offset:         56
        .size:           8
        .value_kind:     by_value
      - .offset:         64
        .size:           8
        .value_kind:     by_value
      - .offset:         72
        .size:           8
        .value_kind:     by_value
      - .offset:         80
        .size:           4
        .value_kind:     by_value
      - .offset:         88
        .size:           8
        .value_kind:     by_value
      - .address_space:  global
        .offset:         96
        .size:           8
        .value_kind:     global_buffer
      - .offset:         104
        .size:           4
        .value_kind:     by_value
      - .offset:         112
        .size:           4
        .value_kind:     hidden_block_count_x
      - .offset:         116
        .size:           4
        .value_kind:     hidden_block_count_y
      - .offset:         120
        .size:           4
        .value_kind:     hidden_block_count_z
      - .offset:         124
        .size:           2
        .value_kind:     hidden_group_size_x
      - .offset:         126
        .size:           2
        .value_kind:     hidden_group_size_y
      - .offset:         128
        .size:           2
        .value_kind:     hidden_group_size_z
      - .offset:         130
        .size:           2
        .value_kind:     hidden_remainder_x
      - .offset:         132
        .size:           2
        .value_kind:     hidden_remainder_y
      - .offset:         134
        .size:           2
        .value_kind:     hidden_remainder_z
      - .offset:         152
        .size:           8
        .value_kind:     hidden_global_offset_x
      - .offset:         160
        .size:           8
        .value_kind:     hidden_global_offset_y
      - .offset:         168
        .size:           8
        .value_kind:     hidden_global_offset_z
      - .offset:         176
        .size:           2
        .value_kind:     hidden_grid_dims
    .group_segment_fixed_size: 4800
    .kernarg_segment_align: 8
    .kernarg_segment_size: 368
    .language:       OpenCL C
    .language_version:
      - 2
      - 0
    .max_flat_workgroup_size: 256
    .name:           _ZL26rocblas_hemvn_kernel_upperILb0ELi64ELi4ELi33ELi32ELi16ElfPKPKfPfEviT6_lT7_lT5_lS6_lS7_lS5_lT8_i
    .private_segment_fixed_size: 0
    .sgpr_count:     82
    .sgpr_spill_count: 0
    .symbol:         _ZL26rocblas_hemvn_kernel_upperILb0ELi64ELi4ELi33ELi32ELi16ElfPKPKfPfEviT6_lT7_lT5_lS6_lS7_lS5_lT8_i.kd
    .uniform_work_group_size: 1
    .uses_dynamic_stack: false
    .vgpr_count:     160
    .vgpr_spill_count: 0
    .wavefront_size: 32
  - .args:
      - .offset:         0
        .size:           4
        .value_kind:     by_value
      - .offset:         4
        .size:           4
        .value_kind:     by_value
      - .offset:         8
        .size:           8
        .value_kind:     by_value
      - .offset:         16
        .size:           4
        .value_kind:     by_value
      - .offset:         24
        .size:           8
        .value_kind:     by_value
      - .actual_access:  read_only
        .address_space:  global
        .offset:         32
        .size:           8
        .value_kind:     global_buffer
      - .offset:         40
        .size:           8
        .value_kind:     by_value
      - .offset:         48
        .size:           8
        .value_kind:     by_value
      - .offset:         56
        .size:           8
        .value_kind:     by_value
      - .address_space:  global
        .offset:         64
        .size:           8
        .value_kind:     global_buffer
      - .offset:         72
        .size:           4
        .value_kind:     by_value
      - .offset:         80
        .size:           4
        .value_kind:     hidden_block_count_x
      - .offset:         84
        .size:           4
        .value_kind:     hidden_block_count_y
      - .offset:         88
        .size:           4
        .value_kind:     hidden_block_count_z
      - .offset:         92
        .size:           2
        .value_kind:     hidden_group_size_x
      - .offset:         94
        .size:           2
        .value_kind:     hidden_group_size_y
      - .offset:         96
        .size:           2
        .value_kind:     hidden_group_size_z
      - .offset:         98
        .size:           2
        .value_kind:     hidden_remainder_x
      - .offset:         100
        .size:           2
        .value_kind:     hidden_remainder_y
      - .offset:         102
        .size:           2
        .value_kind:     hidden_remainder_z
      - .offset:         120
        .size:           8
        .value_kind:     hidden_global_offset_x
      - .offset:         128
        .size:           8
        .value_kind:     hidden_global_offset_y
      - .offset:         136
        .size:           8
        .value_kind:     hidden_global_offset_z
      - .offset:         144
        .size:           2
        .value_kind:     hidden_grid_dims
    .group_segment_fixed_size: 0
    .kernarg_segment_align: 8
    .kernarg_segment_size: 336
    .language:       OpenCL C
    .language_version:
      - 2
      - 0
    .max_flat_workgroup_size: 64
    .name:           _ZL36rocblas_hemvn_kernel_upper_block_sumILi64ElfPKPffEviT1_lS3_lT2_lT0_lPT3_i
    .private_segment_fixed_size: 0
    .sgpr_count:     30
    .sgpr_spill_count: 0
    .symbol:         _ZL36rocblas_hemvn_kernel_upper_block_sumILi64ElfPKPffEviT1_lS3_lT2_lT0_lPT3_i.kd
    .uniform_work_group_size: 1
    .uses_dynamic_stack: false
    .vgpr_count:     8
    .vgpr_spill_count: 0
    .wavefront_size: 32
  - .args:
      - .offset:         0
        .size:           4
        .value_kind:     by_value
      - .offset:         4
        .size:           4
        .value_kind:     by_value
      - .offset:         8
        .size:           8
        .value_kind:     by_value
      - .address_space:  global
        .offset:         16
        .size:           8
        .value_kind:     global_buffer
      - .offset:         24
        .size:           8
        .value_kind:     by_value
      - .offset:         32
        .size:           4
        .value_kind:     by_value
      - .offset:         40
        .size:           8
        .value_kind:     by_value
      - .address_space:  global
        .offset:         48
        .size:           8
        .value_kind:     global_buffer
      - .offset:         56
        .size:           8
        .value_kind:     by_value
      - .offset:         64
        .size:           4
        .value_kind:     by_value
      - .offset:         72
        .size:           8
        .value_kind:     by_value
      - .offset:         80
        .size:           4
        .value_kind:     by_value
      - .offset:         88
        .size:           8
        .value_kind:     by_value
      - .address_space:  global
        .offset:         96
        .size:           8
        .value_kind:     global_buffer
      - .offset:         104
        .size:           4
        .value_kind:     by_value
      - .offset:         112
        .size:           4
        .value_kind:     hidden_block_count_x
      - .offset:         116
        .size:           4
        .value_kind:     hidden_block_count_y
      - .offset:         120
        .size:           4
        .value_kind:     hidden_block_count_z
      - .offset:         124
        .size:           2
        .value_kind:     hidden_group_size_x
      - .offset:         126
        .size:           2
        .value_kind:     hidden_group_size_y
      - .offset:         128
        .size:           2
        .value_kind:     hidden_group_size_z
      - .offset:         130
        .size:           2
        .value_kind:     hidden_remainder_x
      - .offset:         132
        .size:           2
        .value_kind:     hidden_remainder_y
      - .offset:         134
        .size:           2
        .value_kind:     hidden_remainder_z
      - .offset:         152
        .size:           8
        .value_kind:     hidden_global_offset_x
      - .offset:         160
        .size:           8
        .value_kind:     hidden_global_offset_y
      - .offset:         168
        .size:           8
        .value_kind:     hidden_global_offset_z
      - .offset:         176
        .size:           2
        .value_kind:     hidden_grid_dims
    .group_segment_fixed_size: 4800
    .kernarg_segment_align: 8
    .kernarg_segment_size: 368
    .language:       OpenCL C
    .language_version:
      - 2
      - 0
    .max_flat_workgroup_size: 256
    .name:           _ZL26rocblas_hemvn_kernel_upperILb0ELi64ELi4ELi33ELi32ELi16EifPKPKfPfEviT6_lT7_lT5_lS6_lS7_lS5_lT8_i
    .private_segment_fixed_size: 0
    .sgpr_count:     106
    .sgpr_spill_count: 0
    .symbol:         _ZL26rocblas_hemvn_kernel_upperILb0ELi64ELi4ELi33ELi32ELi16EifPKPKfPfEviT6_lT7_lT5_lS6_lS7_lS5_lT8_i.kd
    .uniform_work_group_size: 1
    .uses_dynamic_stack: false
    .vgpr_count:     172
    .vgpr_spill_count: 0
    .wavefront_size: 32
  - .args:
      - .offset:         0
        .size:           4
        .value_kind:     by_value
      - .offset:         4
        .size:           4
        .value_kind:     by_value
      - .offset:         8
        .size:           8
        .value_kind:     by_value
      - .offset:         16
        .size:           4
        .value_kind:     by_value
      - .offset:         24
        .size:           8
        .value_kind:     by_value
      - .actual_access:  read_only
        .address_space:  global
        .offset:         32
        .size:           8
        .value_kind:     global_buffer
      - .offset:         40
        .size:           8
        .value_kind:     by_value
      - .offset:         48
        .size:           4
        .value_kind:     by_value
      - .offset:         56
        .size:           8
        .value_kind:     by_value
      - .address_space:  global
        .offset:         64
        .size:           8
        .value_kind:     global_buffer
      - .offset:         72
        .size:           4
        .value_kind:     by_value
      - .offset:         80
        .size:           4
        .value_kind:     hidden_block_count_x
      - .offset:         84
        .size:           4
        .value_kind:     hidden_block_count_y
      - .offset:         88
        .size:           4
        .value_kind:     hidden_block_count_z
      - .offset:         92
        .size:           2
        .value_kind:     hidden_group_size_x
      - .offset:         94
        .size:           2
        .value_kind:     hidden_group_size_y
      - .offset:         96
        .size:           2
        .value_kind:     hidden_group_size_z
      - .offset:         98
        .size:           2
        .value_kind:     hidden_remainder_x
      - .offset:         100
        .size:           2
        .value_kind:     hidden_remainder_y
      - .offset:         102
        .size:           2
        .value_kind:     hidden_remainder_z
      - .offset:         120
        .size:           8
        .value_kind:     hidden_global_offset_x
      - .offset:         128
        .size:           8
        .value_kind:     hidden_global_offset_y
      - .offset:         136
        .size:           8
        .value_kind:     hidden_global_offset_z
      - .offset:         144
        .size:           2
        .value_kind:     hidden_grid_dims
    .group_segment_fixed_size: 0
    .kernarg_segment_align: 8
    .kernarg_segment_size: 336
    .language:       OpenCL C
    .language_version:
      - 2
      - 0
    .max_flat_workgroup_size: 64
    .name:           _ZL36rocblas_hemvn_kernel_upper_block_sumILi64EifPKPffEviT1_lS3_lT2_lT0_lPT3_i
    .private_segment_fixed_size: 0
    .sgpr_count:     30
    .sgpr_spill_count: 0
    .symbol:         _ZL36rocblas_hemvn_kernel_upper_block_sumILi64EifPKPffEviT1_lS3_lT2_lT0_lPT3_i.kd
    .uniform_work_group_size: 1
    .uses_dynamic_stack: false
    .vgpr_count:     8
    .vgpr_spill_count: 0
    .wavefront_size: 32
  - .args:
      - .offset:         0
        .size:           1
        .value_kind:     by_value
      - .offset:         4
        .size:           4
        .value_kind:     by_value
      - .offset:         8
        .size:           8
        .value_kind:     by_value
      - .offset:         16
        .size:           8
        .value_kind:     by_value
      - .address_space:  global
        .offset:         24
        .size:           8
        .value_kind:     global_buffer
      - .offset:         32
        .size:           8
        .value_kind:     by_value
      - .offset:         40
        .size:           8
        .value_kind:     by_value
      - .offset:         48
        .size:           8
        .value_kind:     by_value
      - .address_space:  global
        .offset:         56
        .size:           8
        .value_kind:     global_buffer
      - .offset:         64
        .size:           8
        .value_kind:     by_value
      - .offset:         72
        .size:           8
        .value_kind:     by_value
      - .offset:         80
        .size:           8
        .value_kind:     by_value
      - .offset:         88
        .size:           8
        .value_kind:     by_value
      - .offset:         96
        .size:           8
        .value_kind:     by_value
      - .actual_access:  read_only
        .address_space:  global
        .offset:         104
        .size:           8
        .value_kind:     global_buffer
      - .offset:         112
        .size:           8
        .value_kind:     by_value
      - .offset:         120
        .size:           8
        .value_kind:     by_value
      - .offset:         128
        .size:           8
        .value_kind:     by_value
      - .offset:         136
        .size:           4
        .value_kind:     by_value
    .group_segment_fixed_size: 7296
    .kernarg_segment_align: 8
    .kernarg_segment_size: 140
    .language:       OpenCL C
    .language_version:
      - 2
      - 0
    .max_flat_workgroup_size: 128
    .name:           _ZL50rocblas_symv_kernel_lower_double_buffered_diagonalILi32ELi4E24rocblas_internal_val_ptrIfEPKPKfPKPfEvbiT1_lT2_lllSA_lllS9_lT3_llli
    .private_segment_fixed_size: 0
    .sgpr_count:     48
    .sgpr_spill_count: 0
    .symbol:         _ZL50rocblas_symv_kernel_lower_double_buffered_diagonalILi32ELi4E24rocblas_internal_val_ptrIfEPKPKfPKPfEvbiT1_lT2_lllSA_lllS9_lT3_llli.kd
    .uniform_work_group_size: 1
    .uses_dynamic_stack: false
    .vgpr_count:     42
    .vgpr_spill_count: 0
    .wavefront_size: 32
  - .args:
      - .offset:         0
        .size:           1
        .value_kind:     by_value
      - .offset:         4
        .size:           4
        .value_kind:     by_value
      - .offset:         8
        .size:           8
        .value_kind:     by_value
      - .offset:         16
        .size:           8
        .value_kind:     by_value
      - .address_space:  global
        .offset:         24
        .size:           8
        .value_kind:     global_buffer
      - .offset:         32
        .size:           8
        .value_kind:     by_value
      - .offset:         40
        .size:           8
        .value_kind:     by_value
      - .offset:         48
        .size:           8
        .value_kind:     by_value
      - .address_space:  global
        .offset:         56
        .size:           8
        .value_kind:     global_buffer
      - .offset:         64
        .size:           8
        .value_kind:     by_value
      - .offset:         72
        .size:           8
        .value_kind:     by_value
      - .offset:         80
        .size:           8
        .value_kind:     by_value
      - .actual_access:  read_only
        .address_space:  global
        .offset:         88
        .size:           8
        .value_kind:     global_buffer
      - .offset:         96
        .size:           8
        .value_kind:     by_value
      - .offset:         104
        .size:           8
        .value_kind:     by_value
      - .offset:         112
        .size:           8
        .value_kind:     by_value
      - .offset:         120
        .size:           4
        .value_kind:     by_value
      - .offset:         128
        .size:           4
        .value_kind:     hidden_block_count_x
      - .offset:         132
        .size:           4
        .value_kind:     hidden_block_count_y
      - .offset:         136
        .size:           4
        .value_kind:     hidden_block_count_z
      - .offset:         140
        .size:           2
        .value_kind:     hidden_group_size_x
      - .offset:         142
        .size:           2
        .value_kind:     hidden_group_size_y
      - .offset:         144
        .size:           2
        .value_kind:     hidden_group_size_z
      - .offset:         146
        .size:           2
        .value_kind:     hidden_remainder_x
      - .offset:         148
        .size:           2
        .value_kind:     hidden_remainder_y
      - .offset:         150
        .size:           2
        .value_kind:     hidden_remainder_z
      - .offset:         168
        .size:           8
        .value_kind:     hidden_global_offset_x
      - .offset:         176
        .size:           8
        .value_kind:     hidden_global_offset_y
      - .offset:         184
        .size:           8
        .value_kind:     hidden_global_offset_z
      - .offset:         192
        .size:           2
        .value_kind:     hidden_grid_dims
    .group_segment_fixed_size: 4224
    .kernarg_segment_align: 8
    .kernarg_segment_size: 384
    .language:       OpenCL C
    .language_version:
      - 2
      - 0
    .max_flat_workgroup_size: 128
    .name:           _ZL54rocblas_symv_kernel_lower_double_buffered_non_diagonalILi32ELi4ELi4E24rocblas_internal_val_ptrIfEPKPKfPKPfEvbiT2_lT3_lllSA_lllT4_llli
    .private_segment_fixed_size: 0
    .sgpr_count:     62
    .sgpr_spill_count: 0
    .symbol:         _ZL54rocblas_symv_kernel_lower_double_buffered_non_diagonalILi32ELi4ELi4E24rocblas_internal_val_ptrIfEPKPKfPKPfEvbiT2_lT3_lllSA_lllT4_llli.kd
    .uniform_work_group_size: 1
    .uses_dynamic_stack: false
    .vgpr_count:     82
    .vgpr_spill_count: 0
    .wavefront_size: 32
  - .args:
      - .offset:         0
        .size:           1
        .value_kind:     by_value
      - .offset:         4
        .size:           4
        .value_kind:     by_value
      - .offset:         8
        .size:           8
        .value_kind:     by_value
      - .offset:         16
        .size:           8
        .value_kind:     by_value
      - .address_space:  global
        .offset:         24
        .size:           8
        .value_kind:     global_buffer
      - .offset:         32
        .size:           8
        .value_kind:     by_value
      - .offset:         40
        .size:           8
        .value_kind:     by_value
      - .offset:         48
        .size:           8
        .value_kind:     by_value
      - .address_space:  global
        .offset:         56
        .size:           8
        .value_kind:     global_buffer
      - .offset:         64
        .size:           8
        .value_kind:     by_value
      - .offset:         72
        .size:           8
        .value_kind:     by_value
      - .offset:         80
        .size:           8
        .value_kind:     by_value
      - .offset:         88
        .size:           8
        .value_kind:     by_value
      - .offset:         96
        .size:           8
        .value_kind:     by_value
      - .actual_access:  read_only
        .address_space:  global
        .offset:         104
        .size:           8
        .value_kind:     global_buffer
      - .offset:         112
        .size:           8
        .value_kind:     by_value
      - .offset:         120
        .size:           8
        .value_kind:     by_value
      - .offset:         128
        .size:           8
        .value_kind:     by_value
      - .offset:         136
        .size:           4
        .value_kind:     by_value
      - .offset:         140
        .size:           4
        .value_kind:     by_value
      - .offset:         144
        .size:           4
        .value_kind:     hidden_block_count_x
      - .offset:         148
        .size:           4
        .value_kind:     hidden_block_count_y
      - .offset:         152
        .size:           4
        .value_kind:     hidden_block_count_z
      - .offset:         156
        .size:           2
        .value_kind:     hidden_group_size_x
      - .offset:         158
        .size:           2
        .value_kind:     hidden_group_size_y
      - .offset:         160
        .size:           2
        .value_kind:     hidden_group_size_z
      - .offset:         162
        .size:           2
        .value_kind:     hidden_remainder_x
      - .offset:         164
        .size:           2
        .value_kind:     hidden_remainder_y
      - .offset:         166
        .size:           2
        .value_kind:     hidden_remainder_z
      - .offset:         184
        .size:           8
        .value_kind:     hidden_global_offset_x
      - .offset:         192
        .size:           8
        .value_kind:     hidden_global_offset_y
      - .offset:         200
        .size:           8
        .value_kind:     hidden_global_offset_z
      - .offset:         208
        .size:           2
        .value_kind:     hidden_grid_dims
    .group_segment_fixed_size: 7296
    .kernarg_segment_align: 8
    .kernarg_segment_size: 400
    .language:       OpenCL C
    .language_version:
      - 2
      - 0
    .max_flat_workgroup_size: 128
    .name:           _ZL58rocblas_symv_kernel_lower_double_buffered_diagonal_genericILi32ELi4E24rocblas_internal_val_ptrIfEPKPKfPKPfEvbiT1_lT2_lllSA_lllS9_lT3_lllii
    .private_segment_fixed_size: 0
    .sgpr_count:     66
    .sgpr_spill_count: 0
    .symbol:         _ZL58rocblas_symv_kernel_lower_double_buffered_diagonal_genericILi32ELi4E24rocblas_internal_val_ptrIfEPKPKfPKPfEvbiT1_lT2_lllSA_lllS9_lT3_lllii.kd
    .uniform_work_group_size: 1
    .uses_dynamic_stack: false
    .vgpr_count:     51
    .vgpr_spill_count: 0
    .wavefront_size: 32
  - .args:
      - .offset:         0
        .size:           1
        .value_kind:     by_value
      - .offset:         4
        .size:           4
        .value_kind:     by_value
      - .offset:         8
        .size:           8
        .value_kind:     by_value
      - .offset:         16
        .size:           8
        .value_kind:     by_value
      - .address_space:  global
        .offset:         24
        .size:           8
        .value_kind:     global_buffer
      - .offset:         32
        .size:           8
        .value_kind:     by_value
      - .offset:         40
        .size:           8
        .value_kind:     by_value
      - .offset:         48
        .size:           8
        .value_kind:     by_value
      - .address_space:  global
        .offset:         56
        .size:           8
        .value_kind:     global_buffer
      - .offset:         64
        .size:           8
        .value_kind:     by_value
      - .offset:         72
        .size:           8
        .value_kind:     by_value
      - .offset:         80
        .size:           8
        .value_kind:     by_value
      - .actual_access:  read_only
        .address_space:  global
        .offset:         88
        .size:           8
        .value_kind:     global_buffer
      - .offset:         96
        .size:           8
        .value_kind:     by_value
      - .offset:         104
        .size:           8
        .value_kind:     by_value
      - .offset:         112
        .size:           8
        .value_kind:     by_value
      - .offset:         120
        .size:           4
        .value_kind:     by_value
      - .offset:         124
        .size:           4
        .value_kind:     by_value
      - .offset:         128
        .size:           4
        .value_kind:     hidden_block_count_x
      - .offset:         132
        .size:           4
        .value_kind:     hidden_block_count_y
      - .offset:         136
        .size:           4
        .value_kind:     hidden_block_count_z
      - .offset:         140
        .size:           2
        .value_kind:     hidden_group_size_x
      - .offset:         142
        .size:           2
        .value_kind:     hidden_group_size_y
      - .offset:         144
        .size:           2
        .value_kind:     hidden_group_size_z
      - .offset:         146
        .size:           2
        .value_kind:     hidden_remainder_x
      - .offset:         148
        .size:           2
        .value_kind:     hidden_remainder_y
      - .offset:         150
        .size:           2
        .value_kind:     hidden_remainder_z
      - .offset:         168
        .size:           8
        .value_kind:     hidden_global_offset_x
      - .offset:         176
        .size:           8
        .value_kind:     hidden_global_offset_y
      - .offset:         184
        .size:           8
        .value_kind:     hidden_global_offset_z
      - .offset:         192
        .size:           2
        .value_kind:     hidden_grid_dims
    .group_segment_fixed_size: 4224
    .kernarg_segment_align: 8
    .kernarg_segment_size: 384
    .language:       OpenCL C
    .language_version:
      - 2
      - 0
    .max_flat_workgroup_size: 128
    .name:           _ZL62rocblas_symv_kernel_lower_double_buffered_non_diagonal_genericILi32ELi4ELi4E24rocblas_internal_val_ptrIfEPKPKfPKPfEvbiT2_lT3_lllSA_lllT4_lllii
    .private_segment_fixed_size: 0
    .sgpr_count:     75
    .sgpr_spill_count: 0
    .symbol:         _ZL62rocblas_symv_kernel_lower_double_buffered_non_diagonal_genericILi32ELi4ELi4E24rocblas_internal_val_ptrIfEPKPKfPKPfEvbiT2_lT3_lllSA_lllT4_lllii.kd
    .uniform_work_group_size: 1
    .uses_dynamic_stack: false
    .vgpr_count:     80
    .vgpr_spill_count: 0
    .wavefront_size: 32
  - .args:
      - .offset:         0
        .size:           4
        .value_kind:     by_value
      - .address_space:  global
        .offset:         8
        .size:           8
        .value_kind:     global_buffer
      - .offset:         16
        .size:           8
        .value_kind:     by_value
      - .address_space:  global
        .offset:         24
        .size:           8
        .value_kind:     global_buffer
      - .offset:         32
        .size:           8
        .value_kind:     by_value
      - .offset:         40
        .size:           8
        .value_kind:     by_value
      - .offset:         48
        .size:           8
        .value_kind:     by_value
      - .address_space:  global
        .offset:         56
        .size:           8
        .value_kind:     global_buffer
      - .offset:         64
        .size:           8
        .value_kind:     by_value
      - .offset:         72
        .size:           8
        .value_kind:     by_value
      - .offset:         80
        .size:           8
        .value_kind:     by_value
      - .address_space:  global
        .offset:         88
        .size:           8
        .value_kind:     global_buffer
      - .offset:         96
        .size:           8
        .value_kind:     by_value
      - .address_space:  global
        .offset:         104
        .size:           8
        .value_kind:     global_buffer
      - .offset:         112
        .size:           4
        .value_kind:     by_value
      - .offset:         120
        .size:           4
        .value_kind:     hidden_block_count_x
      - .offset:         124
        .size:           4
        .value_kind:     hidden_block_count_y
      - .offset:         128
        .size:           4
        .value_kind:     hidden_block_count_z
      - .offset:         132
        .size:           2
        .value_kind:     hidden_group_size_x
      - .offset:         134
        .size:           2
        .value_kind:     hidden_group_size_y
      - .offset:         136
        .size:           2
        .value_kind:     hidden_group_size_z
      - .offset:         138
        .size:           2
        .value_kind:     hidden_remainder_x
      - .offset:         140
        .size:           2
        .value_kind:     hidden_remainder_y
      - .offset:         142
        .size:           2
        .value_kind:     hidden_remainder_z
      - .offset:         160
        .size:           8
        .value_kind:     hidden_global_offset_x
      - .offset:         168
        .size:           8
        .value_kind:     hidden_global_offset_y
      - .offset:         176
        .size:           8
        .value_kind:     hidden_global_offset_z
      - .offset:         184
        .size:           2
        .value_kind:     hidden_grid_dims
    .group_segment_fixed_size: 4800
    .kernarg_segment_align: 8
    .kernarg_segment_size: 376
    .language:       OpenCL C
    .language_version:
      - 2
      - 0
    .max_flat_workgroup_size: 256
    .name:           _ZL26rocblas_hemvn_kernel_lowerILb0ELi64ELi4ELi33ELi32ELi16ElPKfPKS1_PfEviT6_lT7_lT5_lS6_lS7_lS5_lT8_i
    .private_segment_fixed_size: 0
    .sgpr_count:     107
    .sgpr_spill_count: 2
    .symbol:         _ZL26rocblas_hemvn_kernel_lowerILb0ELi64ELi4ELi33ELi32ELi16ElPKfPKS1_PfEviT6_lT7_lT5_lS6_lS7_lS5_lT8_i.kd
    .uniform_work_group_size: 1
    .uses_dynamic_stack: false
    .vgpr_count:     91
    .vgpr_spill_count: 0
    .wavefront_size: 32
  - .args:
      - .offset:         0
        .size:           4
        .value_kind:     by_value
      - .address_space:  global
        .offset:         8
        .size:           8
        .value_kind:     global_buffer
      - .offset:         16
        .size:           8
        .value_kind:     by_value
      - .address_space:  global
        .offset:         24
        .size:           8
        .value_kind:     global_buffer
      - .offset:         32
        .size:           8
        .value_kind:     by_value
      - .actual_access:  read_only
        .address_space:  global
        .offset:         40
        .size:           8
        .value_kind:     global_buffer
      - .offset:         48
        .size:           8
        .value_kind:     by_value
      - .offset:         56
        .size:           8
        .value_kind:     by_value
      - .offset:         64
        .size:           8
        .value_kind:     by_value
      - .actual_access:  read_only
        .address_space:  global
        .offset:         72
        .size:           8
        .value_kind:     global_buffer
      - .offset:         80
        .size:           4
        .value_kind:     by_value
      - .offset:         88
        .size:           4
        .value_kind:     hidden_block_count_x
      - .offset:         92
        .size:           4
        .value_kind:     hidden_block_count_y
      - .offset:         96
        .size:           4
        .value_kind:     hidden_block_count_z
      - .offset:         100
        .size:           2
        .value_kind:     hidden_group_size_x
      - .offset:         102
        .size:           2
        .value_kind:     hidden_group_size_y
      - .offset:         104
        .size:           2
        .value_kind:     hidden_group_size_z
      - .offset:         106
        .size:           2
        .value_kind:     hidden_remainder_x
      - .offset:         108
        .size:           2
        .value_kind:     hidden_remainder_y
      - .offset:         110
        .size:           2
        .value_kind:     hidden_remainder_z
      - .offset:         128
        .size:           8
        .value_kind:     hidden_global_offset_x
      - .offset:         136
        .size:           8
        .value_kind:     hidden_global_offset_y
      - .offset:         144
        .size:           8
        .value_kind:     hidden_global_offset_z
      - .offset:         152
        .size:           2
        .value_kind:     hidden_grid_dims
    .group_segment_fixed_size: 0
    .kernarg_segment_align: 8
    .kernarg_segment_size: 344
    .language:       OpenCL C
    .language_version:
      - 2
      - 0
    .max_flat_workgroup_size: 64
    .name:           _ZL36rocblas_hemvn_kernel_lower_block_sumILi64ElPKfPKPffEviT1_lS5_lT2_lT0_lPT3_i
    .private_segment_fixed_size: 0
    .sgpr_count:     32
    .sgpr_spill_count: 0
    .symbol:         _ZL36rocblas_hemvn_kernel_lower_block_sumILi64ElPKfPKPffEviT1_lS5_lT2_lT0_lPT3_i.kd
    .uniform_work_group_size: 1
    .uses_dynamic_stack: false
    .vgpr_count:     11
    .vgpr_spill_count: 0
    .wavefront_size: 32
  - .args:
      - .offset:         0
        .size:           4
        .value_kind:     by_value
      - .address_space:  global
        .offset:         8
        .size:           8
        .value_kind:     global_buffer
      - .offset:         16
        .size:           8
        .value_kind:     by_value
      - .address_space:  global
        .offset:         24
        .size:           8
        .value_kind:     global_buffer
      - .offset:         32
        .size:           8
        .value_kind:     by_value
      - .offset:         40
        .size:           4
        .value_kind:     by_value
      - .offset:         48
        .size:           8
        .value_kind:     by_value
      - .address_space:  global
        .offset:         56
        .size:           8
        .value_kind:     global_buffer
      - .offset:         64
        .size:           8
        .value_kind:     by_value
      - .offset:         72
        .size:           4
        .value_kind:     by_value
      - .offset:         80
        .size:           8
        .value_kind:     by_value
      - .address_space:  global
        .offset:         88
        .size:           8
        .value_kind:     global_buffer
      - .offset:         96
        .size:           8
        .value_kind:     by_value
      - .address_space:  global
        .offset:         104
        .size:           8
        .value_kind:     global_buffer
      - .offset:         112
        .size:           4
        .value_kind:     by_value
      - .offset:         120
        .size:           4
        .value_kind:     hidden_block_count_x
      - .offset:         124
        .size:           4
        .value_kind:     hidden_block_count_y
      - .offset:         128
        .size:           4
        .value_kind:     hidden_block_count_z
      - .offset:         132
        .size:           2
        .value_kind:     hidden_group_size_x
      - .offset:         134
        .size:           2
        .value_kind:     hidden_group_size_y
      - .offset:         136
        .size:           2
        .value_kind:     hidden_group_size_z
      - .offset:         138
        .size:           2
        .value_kind:     hidden_remainder_x
      - .offset:         140
        .size:           2
        .value_kind:     hidden_remainder_y
      - .offset:         142
        .size:           2
        .value_kind:     hidden_remainder_z
      - .offset:         160
        .size:           8
        .value_kind:     hidden_global_offset_x
      - .offset:         168
        .size:           8
        .value_kind:     hidden_global_offset_y
      - .offset:         176
        .size:           8
        .value_kind:     hidden_global_offset_z
      - .offset:         184
        .size:           2
        .value_kind:     hidden_grid_dims
    .group_segment_fixed_size: 4800
    .kernarg_segment_align: 8
    .kernarg_segment_size: 376
    .language:       OpenCL C
    .language_version:
      - 2
      - 0
    .max_flat_workgroup_size: 256
    .name:           _ZL26rocblas_hemvn_kernel_lowerILb0ELi64ELi4ELi33ELi32ELi16EiPKfPKS1_PfEviT6_lT7_lT5_lS6_lS7_lS5_lT8_i
    .private_segment_fixed_size: 0
    .sgpr_count:     107
    .sgpr_spill_count: 5
    .symbol:         _ZL26rocblas_hemvn_kernel_lowerILb0ELi64ELi4ELi33ELi32ELi16EiPKfPKS1_PfEviT6_lT7_lT5_lS6_lS7_lS5_lT8_i.kd
    .uniform_work_group_size: 1
    .uses_dynamic_stack: false
    .vgpr_count:     93
    .vgpr_spill_count: 0
    .wavefront_size: 32
  - .args:
      - .offset:         0
        .size:           4
        .value_kind:     by_value
      - .address_space:  global
        .offset:         8
        .size:           8
        .value_kind:     global_buffer
      - .offset:         16
        .size:           8
        .value_kind:     by_value
      - .address_space:  global
        .offset:         24
        .size:           8
        .value_kind:     global_buffer
      - .offset:         32
        .size:           8
        .value_kind:     by_value
      - .actual_access:  read_only
        .address_space:  global
        .offset:         40
        .size:           8
        .value_kind:     global_buffer
      - .offset:         48
        .size:           8
        .value_kind:     by_value
      - .offset:         56
        .size:           4
        .value_kind:     by_value
      - .offset:         64
        .size:           8
        .value_kind:     by_value
      - .actual_access:  read_only
        .address_space:  global
        .offset:         72
        .size:           8
        .value_kind:     global_buffer
      - .offset:         80
        .size:           4
        .value_kind:     by_value
      - .offset:         88
        .size:           4
        .value_kind:     hidden_block_count_x
      - .offset:         92
        .size:           4
        .value_kind:     hidden_block_count_y
      - .offset:         96
        .size:           4
        .value_kind:     hidden_block_count_z
      - .offset:         100
        .size:           2
        .value_kind:     hidden_group_size_x
      - .offset:         102
        .size:           2
        .value_kind:     hidden_group_size_y
      - .offset:         104
        .size:           2
        .value_kind:     hidden_group_size_z
      - .offset:         106
        .size:           2
        .value_kind:     hidden_remainder_x
      - .offset:         108
        .size:           2
        .value_kind:     hidden_remainder_y
      - .offset:         110
        .size:           2
        .value_kind:     hidden_remainder_z
      - .offset:         128
        .size:           8
        .value_kind:     hidden_global_offset_x
      - .offset:         136
        .size:           8
        .value_kind:     hidden_global_offset_y
      - .offset:         144
        .size:           8
        .value_kind:     hidden_global_offset_z
      - .offset:         152
        .size:           2
        .value_kind:     hidden_grid_dims
    .group_segment_fixed_size: 0
    .kernarg_segment_align: 8
    .kernarg_segment_size: 344
    .language:       OpenCL C
    .language_version:
      - 2
      - 0
    .max_flat_workgroup_size: 64
    .name:           _ZL36rocblas_hemvn_kernel_lower_block_sumILi64EiPKfPKPffEviT1_lS5_lT2_lT0_lPT3_i
    .private_segment_fixed_size: 0
    .sgpr_count:     32
    .sgpr_spill_count: 0
    .symbol:         _ZL36rocblas_hemvn_kernel_lower_block_sumILi64EiPKfPKPffEviT1_lS5_lT2_lT0_lPT3_i.kd
    .uniform_work_group_size: 1
    .uses_dynamic_stack: false
    .vgpr_count:     11
    .vgpr_spill_count: 0
    .wavefront_size: 32
  - .args:
      - .offset:         0
        .size:           4
        .value_kind:     by_value
      - .offset:         4
        .size:           4
        .value_kind:     by_value
      - .offset:         8
        .size:           8
        .value_kind:     by_value
      - .address_space:  global
        .offset:         16
        .size:           8
        .value_kind:     global_buffer
      - .offset:         24
        .size:           8
        .value_kind:     by_value
      - .offset:         32
        .size:           8
        .value_kind:     by_value
      - .offset:         40
        .size:           8
        .value_kind:     by_value
      - .address_space:  global
        .offset:         48
        .size:           8
        .value_kind:     global_buffer
      - .offset:         56
        .size:           8
        .value_kind:     by_value
      - .offset:         64
        .size:           8
        .value_kind:     by_value
      - .offset:         72
        .size:           8
        .value_kind:     by_value
      - .offset:         80
        .size:           4
        .value_kind:     by_value
      - .offset:         88
        .size:           8
        .value_kind:     by_value
      - .address_space:  global
        .offset:         96
        .size:           8
        .value_kind:     global_buffer
      - .offset:         104
        .size:           4
        .value_kind:     by_value
      - .offset:         112
        .size:           4
        .value_kind:     hidden_block_count_x
      - .offset:         116
        .size:           4
        .value_kind:     hidden_block_count_y
      - .offset:         120
        .size:           4
        .value_kind:     hidden_block_count_z
      - .offset:         124
        .size:           2
        .value_kind:     hidden_group_size_x
      - .offset:         126
        .size:           2
        .value_kind:     hidden_group_size_y
      - .offset:         128
        .size:           2
        .value_kind:     hidden_group_size_z
      - .offset:         130
        .size:           2
        .value_kind:     hidden_remainder_x
      - .offset:         132
        .size:           2
        .value_kind:     hidden_remainder_y
      - .offset:         134
        .size:           2
        .value_kind:     hidden_remainder_z
      - .offset:         152
        .size:           8
        .value_kind:     hidden_global_offset_x
      - .offset:         160
        .size:           8
        .value_kind:     hidden_global_offset_y
      - .offset:         168
        .size:           8
        .value_kind:     hidden_global_offset_z
      - .offset:         176
        .size:           2
        .value_kind:     hidden_grid_dims
    .group_segment_fixed_size: 4800
    .kernarg_segment_align: 8
    .kernarg_segment_size: 368
    .language:       OpenCL C
    .language_version:
      - 2
      - 0
    .max_flat_workgroup_size: 256
    .name:           _ZL26rocblas_hemvn_kernel_lowerILb0ELi64ELi4ELi33ELi32ELi16ElfPKPKfPfEviT6_lT7_lT5_lS6_lS7_lS5_lT8_i
    .private_segment_fixed_size: 0
    .sgpr_count:     106
    .sgpr_spill_count: 0
    .symbol:         _ZL26rocblas_hemvn_kernel_lowerILb0ELi64ELi4ELi33ELi32ELi16ElfPKPKfPfEviT6_lT7_lT5_lS6_lS7_lS5_lT8_i.kd
    .uniform_work_group_size: 1
    .uses_dynamic_stack: false
    .vgpr_count:     90
    .vgpr_spill_count: 0
    .wavefront_size: 32
  - .args:
      - .offset:         0
        .size:           4
        .value_kind:     by_value
      - .offset:         4
        .size:           4
        .value_kind:     by_value
      - .offset:         8
        .size:           8
        .value_kind:     by_value
      - .offset:         16
        .size:           4
        .value_kind:     by_value
      - .offset:         24
        .size:           8
        .value_kind:     by_value
      - .actual_access:  read_only
        .address_space:  global
        .offset:         32
        .size:           8
        .value_kind:     global_buffer
      - .offset:         40
        .size:           8
        .value_kind:     by_value
      - .offset:         48
        .size:           8
        .value_kind:     by_value
      - .offset:         56
        .size:           8
        .value_kind:     by_value
      - .actual_access:  read_only
        .address_space:  global
        .offset:         64
        .size:           8
        .value_kind:     global_buffer
      - .offset:         72
        .size:           4
        .value_kind:     by_value
      - .offset:         80
        .size:           4
        .value_kind:     hidden_block_count_x
      - .offset:         84
        .size:           4
        .value_kind:     hidden_block_count_y
      - .offset:         88
        .size:           4
        .value_kind:     hidden_block_count_z
      - .offset:         92
        .size:           2
        .value_kind:     hidden_group_size_x
      - .offset:         94
        .size:           2
        .value_kind:     hidden_group_size_y
      - .offset:         96
        .size:           2
        .value_kind:     hidden_group_size_z
      - .offset:         98
        .size:           2
        .value_kind:     hidden_remainder_x
      - .offset:         100
        .size:           2
        .value_kind:     hidden_remainder_y
      - .offset:         102
        .size:           2
        .value_kind:     hidden_remainder_z
      - .offset:         120
        .size:           8
        .value_kind:     hidden_global_offset_x
      - .offset:         128
        .size:           8
        .value_kind:     hidden_global_offset_y
      - .offset:         136
        .size:           8
        .value_kind:     hidden_global_offset_z
      - .offset:         144
        .size:           2
        .value_kind:     hidden_grid_dims
    .group_segment_fixed_size: 0
    .kernarg_segment_align: 8
    .kernarg_segment_size: 336
    .language:       OpenCL C
    .language_version:
      - 2
      - 0
    .max_flat_workgroup_size: 64
    .name:           _ZL36rocblas_hemvn_kernel_lower_block_sumILi64ElfPKPffEviT1_lS3_lT2_lT0_lPT3_i
    .private_segment_fixed_size: 0
    .sgpr_count:     30
    .sgpr_spill_count: 0
    .symbol:         _ZL36rocblas_hemvn_kernel_lower_block_sumILi64ElfPKPffEviT1_lS3_lT2_lT0_lPT3_i.kd
    .uniform_work_group_size: 1
    .uses_dynamic_stack: false
    .vgpr_count:     8
    .vgpr_spill_count: 0
    .wavefront_size: 32
  - .args:
      - .offset:         0
        .size:           4
        .value_kind:     by_value
      - .offset:         4
        .size:           4
        .value_kind:     by_value
      - .offset:         8
        .size:           8
        .value_kind:     by_value
      - .address_space:  global
        .offset:         16
        .size:           8
        .value_kind:     global_buffer
      - .offset:         24
        .size:           8
        .value_kind:     by_value
      - .offset:         32
        .size:           4
        .value_kind:     by_value
      - .offset:         40
        .size:           8
        .value_kind:     by_value
      - .address_space:  global
        .offset:         48
        .size:           8
        .value_kind:     global_buffer
      - .offset:         56
        .size:           8
        .value_kind:     by_value
      - .offset:         64
        .size:           4
        .value_kind:     by_value
      - .offset:         72
        .size:           8
        .value_kind:     by_value
      - .offset:         80
        .size:           4
        .value_kind:     by_value
      - .offset:         88
        .size:           8
        .value_kind:     by_value
      - .address_space:  global
        .offset:         96
        .size:           8
        .value_kind:     global_buffer
      - .offset:         104
        .size:           4
        .value_kind:     by_value
      - .offset:         112
        .size:           4
        .value_kind:     hidden_block_count_x
      - .offset:         116
        .size:           4
        .value_kind:     hidden_block_count_y
      - .offset:         120
        .size:           4
        .value_kind:     hidden_block_count_z
      - .offset:         124
        .size:           2
        .value_kind:     hidden_group_size_x
      - .offset:         126
        .size:           2
        .value_kind:     hidden_group_size_y
      - .offset:         128
        .size:           2
        .value_kind:     hidden_group_size_z
      - .offset:         130
        .size:           2
        .value_kind:     hidden_remainder_x
      - .offset:         132
        .size:           2
        .value_kind:     hidden_remainder_y
      - .offset:         134
        .size:           2
        .value_kind:     hidden_remainder_z
      - .offset:         152
        .size:           8
        .value_kind:     hidden_global_offset_x
      - .offset:         160
        .size:           8
        .value_kind:     hidden_global_offset_y
      - .offset:         168
        .size:           8
        .value_kind:     hidden_global_offset_z
      - .offset:         176
        .size:           2
        .value_kind:     hidden_grid_dims
    .group_segment_fixed_size: 4800
    .kernarg_segment_align: 8
    .kernarg_segment_size: 368
    .language:       OpenCL C
    .language_version:
      - 2
      - 0
    .max_flat_workgroup_size: 256
    .name:           _ZL26rocblas_hemvn_kernel_lowerILb0ELi64ELi4ELi33ELi32ELi16EifPKPKfPfEviT6_lT7_lT5_lS6_lS7_lS5_lT8_i
    .private_segment_fixed_size: 0
    .sgpr_count:     107
    .sgpr_spill_count: 0
    .symbol:         _ZL26rocblas_hemvn_kernel_lowerILb0ELi64ELi4ELi33ELi32ELi16EifPKPKfPfEviT6_lT7_lT5_lS6_lS7_lS5_lT8_i.kd
    .uniform_work_group_size: 1
    .uses_dynamic_stack: false
    .vgpr_count:     92
    .vgpr_spill_count: 0
    .wavefront_size: 32
  - .args:
      - .offset:         0
        .size:           4
        .value_kind:     by_value
      - .offset:         4
        .size:           4
        .value_kind:     by_value
      - .offset:         8
        .size:           8
        .value_kind:     by_value
      - .offset:         16
        .size:           4
        .value_kind:     by_value
      - .offset:         24
        .size:           8
        .value_kind:     by_value
      - .actual_access:  read_only
        .address_space:  global
        .offset:         32
        .size:           8
        .value_kind:     global_buffer
      - .offset:         40
        .size:           8
        .value_kind:     by_value
      - .offset:         48
        .size:           4
        .value_kind:     by_value
      - .offset:         56
        .size:           8
        .value_kind:     by_value
      - .actual_access:  read_only
        .address_space:  global
        .offset:         64
        .size:           8
        .value_kind:     global_buffer
      - .offset:         72
        .size:           4
        .value_kind:     by_value
      - .offset:         80
        .size:           4
        .value_kind:     hidden_block_count_x
      - .offset:         84
        .size:           4
        .value_kind:     hidden_block_count_y
      - .offset:         88
        .size:           4
        .value_kind:     hidden_block_count_z
      - .offset:         92
        .size:           2
        .value_kind:     hidden_group_size_x
      - .offset:         94
        .size:           2
        .value_kind:     hidden_group_size_y
      - .offset:         96
        .size:           2
        .value_kind:     hidden_group_size_z
      - .offset:         98
        .size:           2
        .value_kind:     hidden_remainder_x
      - .offset:         100
        .size:           2
        .value_kind:     hidden_remainder_y
      - .offset:         102
        .size:           2
        .value_kind:     hidden_remainder_z
      - .offset:         120
        .size:           8
        .value_kind:     hidden_global_offset_x
      - .offset:         128
        .size:           8
        .value_kind:     hidden_global_offset_y
      - .offset:         136
        .size:           8
        .value_kind:     hidden_global_offset_z
      - .offset:         144
        .size:           2
        .value_kind:     hidden_grid_dims
    .group_segment_fixed_size: 0
    .kernarg_segment_align: 8
    .kernarg_segment_size: 336
    .language:       OpenCL C
    .language_version:
      - 2
      - 0
    .max_flat_workgroup_size: 64
    .name:           _ZL36rocblas_hemvn_kernel_lower_block_sumILi64EifPKPffEviT1_lS3_lT2_lT0_lPT3_i
    .private_segment_fixed_size: 0
    .sgpr_count:     30
    .sgpr_spill_count: 0
    .symbol:         _ZL36rocblas_hemvn_kernel_lower_block_sumILi64EifPKPffEviT1_lS3_lT2_lT0_lPT3_i.kd
    .uniform_work_group_size: 1
    .uses_dynamic_stack: false
    .vgpr_count:     8
    .vgpr_spill_count: 0
    .wavefront_size: 32
  - .args:
      - .offset:         0
        .size:           1
        .value_kind:     by_value
      - .offset:         4
        .size:           4
        .value_kind:     by_value
      - .offset:         8
        .size:           8
        .value_kind:     by_value
      - .offset:         16
        .size:           8
        .value_kind:     by_value
      - .address_space:  global
        .offset:         24
        .size:           8
        .value_kind:     global_buffer
      - .offset:         32
        .size:           8
        .value_kind:     by_value
      - .offset:         40
        .size:           8
        .value_kind:     by_value
      - .offset:         48
        .size:           8
        .value_kind:     by_value
      - .address_space:  global
        .offset:         56
        .size:           8
        .value_kind:     global_buffer
      - .offset:         64
        .size:           8
        .value_kind:     by_value
      - .offset:         72
        .size:           8
        .value_kind:     by_value
      - .offset:         80
        .size:           8
        .value_kind:     by_value
      - .offset:         88
        .size:           8
        .value_kind:     by_value
      - .offset:         96
        .size:           8
        .value_kind:     by_value
      - .actual_access:  read_only
        .address_space:  global
        .offset:         104
        .size:           8
        .value_kind:     global_buffer
      - .offset:         112
        .size:           8
        .value_kind:     by_value
      - .offset:         120
        .size:           8
        .value_kind:     by_value
      - .offset:         128
        .size:           8
        .value_kind:     by_value
      - .offset:         136
        .size:           4
        .value_kind:     by_value
    .group_segment_fixed_size: 12544
    .kernarg_segment_align: 8
    .kernarg_segment_size: 140
    .language:       OpenCL C
    .language_version:
      - 2
      - 0
    .max_flat_workgroup_size: 128
    .name:           _ZL50rocblas_symv_kernel_upper_double_buffered_diagonalILi32ELi4E24rocblas_internal_val_ptrIdEPKPKdPKPdEvbiT1_lT2_lllSA_lllS9_lT3_llli
    .private_segment_fixed_size: 0
    .sgpr_count:     50
    .sgpr_spill_count: 0
    .symbol:         _ZL50rocblas_symv_kernel_upper_double_buffered_diagonalILi32ELi4E24rocblas_internal_val_ptrIdEPKPKdPKPdEvbiT1_lT2_lllSA_lllS9_lT3_llli.kd
    .uniform_work_group_size: 1
    .uses_dynamic_stack: false
    .vgpr_count:     50
    .vgpr_spill_count: 0
    .wavefront_size: 32
  - .args:
      - .offset:         0
        .size:           1
        .value_kind:     by_value
      - .offset:         4
        .size:           4
        .value_kind:     by_value
      - .offset:         8
        .size:           8
        .value_kind:     by_value
      - .offset:         16
        .size:           8
        .value_kind:     by_value
      - .address_space:  global
        .offset:         24
        .size:           8
        .value_kind:     global_buffer
      - .offset:         32
        .size:           8
        .value_kind:     by_value
      - .offset:         40
        .size:           8
        .value_kind:     by_value
      - .offset:         48
        .size:           8
        .value_kind:     by_value
      - .address_space:  global
        .offset:         56
        .size:           8
        .value_kind:     global_buffer
      - .offset:         64
        .size:           8
        .value_kind:     by_value
      - .offset:         72
        .size:           8
        .value_kind:     by_value
      - .offset:         80
        .size:           8
        .value_kind:     by_value
      - .actual_access:  read_only
        .address_space:  global
        .offset:         88
        .size:           8
        .value_kind:     global_buffer
      - .offset:         96
        .size:           8
        .value_kind:     by_value
      - .offset:         104
        .size:           8
        .value_kind:     by_value
      - .offset:         112
        .size:           8
        .value_kind:     by_value
      - .offset:         120
        .size:           4
        .value_kind:     by_value
      - .offset:         128
        .size:           4
        .value_kind:     hidden_block_count_x
      - .offset:         132
        .size:           4
        .value_kind:     hidden_block_count_y
      - .offset:         136
        .size:           4
        .value_kind:     hidden_block_count_z
      - .offset:         140
        .size:           2
        .value_kind:     hidden_group_size_x
      - .offset:         142
        .size:           2
        .value_kind:     hidden_group_size_y
      - .offset:         144
        .size:           2
        .value_kind:     hidden_group_size_z
      - .offset:         146
        .size:           2
        .value_kind:     hidden_remainder_x
      - .offset:         148
        .size:           2
        .value_kind:     hidden_remainder_y
      - .offset:         150
        .size:           2
        .value_kind:     hidden_remainder_z
      - .offset:         168
        .size:           8
        .value_kind:     hidden_global_offset_x
      - .offset:         176
        .size:           8
        .value_kind:     hidden_global_offset_y
      - .offset:         184
        .size:           8
        .value_kind:     hidden_global_offset_z
      - .offset:         192
        .size:           2
        .value_kind:     hidden_grid_dims
    .group_segment_fixed_size: 7424
    .kernarg_segment_align: 8
    .kernarg_segment_size: 384
    .language:       OpenCL C
    .language_version:
      - 2
      - 0
    .max_flat_workgroup_size: 128
    .name:           _ZL54rocblas_symv_kernel_upper_double_buffered_non_diagonalILi32ELi4ELi4E24rocblas_internal_val_ptrIdEPKPKdPKPdEvbiT2_lT3_lllSA_lllT4_llli
    .private_segment_fixed_size: 0
    .sgpr_count:     59
    .sgpr_spill_count: 0
    .symbol:         _ZL54rocblas_symv_kernel_upper_double_buffered_non_diagonalILi32ELi4ELi4E24rocblas_internal_val_ptrIdEPKPKdPKPdEvbiT2_lT3_lllSA_lllT4_llli.kd
    .uniform_work_group_size: 1
    .uses_dynamic_stack: false
    .vgpr_count:     116
    .vgpr_spill_count: 0
    .wavefront_size: 32
  - .args:
      - .offset:         0
        .size:           1
        .value_kind:     by_value
      - .offset:         4
        .size:           4
        .value_kind:     by_value
      - .offset:         8
        .size:           8
        .value_kind:     by_value
      - .offset:         16
        .size:           8
        .value_kind:     by_value
      - .address_space:  global
        .offset:         24
        .size:           8
        .value_kind:     global_buffer
      - .offset:         32
        .size:           8
        .value_kind:     by_value
      - .offset:         40
        .size:           8
        .value_kind:     by_value
      - .offset:         48
        .size:           8
        .value_kind:     by_value
      - .address_space:  global
        .offset:         56
        .size:           8
        .value_kind:     global_buffer
      - .offset:         64
        .size:           8
        .value_kind:     by_value
      - .offset:         72
        .size:           8
        .value_kind:     by_value
      - .offset:         80
        .size:           8
        .value_kind:     by_value
      - .offset:         88
        .size:           8
        .value_kind:     by_value
      - .offset:         96
        .size:           8
        .value_kind:     by_value
      - .actual_access:  read_only
        .address_space:  global
        .offset:         104
        .size:           8
        .value_kind:     global_buffer
      - .offset:         112
        .size:           8
        .value_kind:     by_value
      - .offset:         120
        .size:           8
        .value_kind:     by_value
      - .offset:         128
        .size:           8
        .value_kind:     by_value
      - .offset:         136
        .size:           4
        .value_kind:     by_value
      - .offset:         140
        .size:           4
        .value_kind:     by_value
      - .offset:         144
        .size:           4
        .value_kind:     hidden_block_count_x
      - .offset:         148
        .size:           4
        .value_kind:     hidden_block_count_y
      - .offset:         152
        .size:           4
        .value_kind:     hidden_block_count_z
      - .offset:         156
        .size:           2
        .value_kind:     hidden_group_size_x
      - .offset:         158
        .size:           2
        .value_kind:     hidden_group_size_y
      - .offset:         160
        .size:           2
        .value_kind:     hidden_group_size_z
      - .offset:         162
        .size:           2
        .value_kind:     hidden_remainder_x
      - .offset:         164
        .size:           2
        .value_kind:     hidden_remainder_y
      - .offset:         166
        .size:           2
        .value_kind:     hidden_remainder_z
      - .offset:         184
        .size:           8
        .value_kind:     hidden_global_offset_x
      - .offset:         192
        .size:           8
        .value_kind:     hidden_global_offset_y
      - .offset:         200
        .size:           8
        .value_kind:     hidden_global_offset_z
      - .offset:         208
        .size:           2
        .value_kind:     hidden_grid_dims
    .group_segment_fixed_size: 16640
    .kernarg_segment_align: 8
    .kernarg_segment_size: 400
    .language:       OpenCL C
    .language_version:
      - 2
      - 0
    .max_flat_workgroup_size: 256
    .name:           _ZL58rocblas_symv_kernel_upper_double_buffered_diagonal_genericILi32ELi8E24rocblas_internal_val_ptrIdEPKPKdPKPdEvbiT1_lT2_lllSA_lllS9_lT3_lllii
    .private_segment_fixed_size: 0
    .sgpr_count:     54
    .sgpr_spill_count: 0
    .symbol:         _ZL58rocblas_symv_kernel_upper_double_buffered_diagonal_genericILi32ELi8E24rocblas_internal_val_ptrIdEPKPKdPKPdEvbiT1_lT2_lllSA_lllS9_lT3_lllii.kd
    .uniform_work_group_size: 1
    .uses_dynamic_stack: false
    .vgpr_count:     50
    .vgpr_spill_count: 0
    .wavefront_size: 32
  - .args:
      - .offset:         0
        .size:           1
        .value_kind:     by_value
      - .offset:         4
        .size:           4
        .value_kind:     by_value
      - .offset:         8
        .size:           8
        .value_kind:     by_value
      - .offset:         16
        .size:           8
        .value_kind:     by_value
      - .address_space:  global
        .offset:         24
        .size:           8
        .value_kind:     global_buffer
      - .offset:         32
        .size:           8
        .value_kind:     by_value
      - .offset:         40
        .size:           8
        .value_kind:     by_value
      - .offset:         48
        .size:           8
        .value_kind:     by_value
      - .address_space:  global
        .offset:         56
        .size:           8
        .value_kind:     global_buffer
      - .offset:         64
        .size:           8
        .value_kind:     by_value
      - .offset:         72
        .size:           8
        .value_kind:     by_value
      - .offset:         80
        .size:           8
        .value_kind:     by_value
      - .actual_access:  read_only
        .address_space:  global
        .offset:         88
        .size:           8
        .value_kind:     global_buffer
      - .offset:         96
        .size:           8
        .value_kind:     by_value
      - .offset:         104
        .size:           8
        .value_kind:     by_value
      - .offset:         112
        .size:           8
        .value_kind:     by_value
      - .offset:         120
        .size:           4
        .value_kind:     by_value
      - .offset:         124
        .size:           4
        .value_kind:     by_value
      - .offset:         128
        .size:           4
        .value_kind:     hidden_block_count_x
      - .offset:         132
        .size:           4
        .value_kind:     hidden_block_count_y
      - .offset:         136
        .size:           4
        .value_kind:     hidden_block_count_z
      - .offset:         140
        .size:           2
        .value_kind:     hidden_group_size_x
      - .offset:         142
        .size:           2
        .value_kind:     hidden_group_size_y
      - .offset:         144
        .size:           2
        .value_kind:     hidden_group_size_z
      - .offset:         146
        .size:           2
        .value_kind:     hidden_remainder_x
      - .offset:         148
        .size:           2
        .value_kind:     hidden_remainder_y
      - .offset:         150
        .size:           2
        .value_kind:     hidden_remainder_z
      - .offset:         168
        .size:           8
        .value_kind:     hidden_global_offset_x
      - .offset:         176
        .size:           8
        .value_kind:     hidden_global_offset_y
      - .offset:         184
        .size:           8
        .value_kind:     hidden_global_offset_z
      - .offset:         192
        .size:           2
        .value_kind:     hidden_grid_dims
    .group_segment_fixed_size: 10496
    .kernarg_segment_align: 8
    .kernarg_segment_size: 384
    .language:       OpenCL C
    .language_version:
      - 2
      - 0
    .max_flat_workgroup_size: 256
    .name:           _ZL62rocblas_symv_kernel_upper_double_buffered_non_diagonal_genericILi32ELi8ELi2ELi0E24rocblas_internal_val_ptrIdEPKPKdPKPdEvbiT3_lT4_lllSA_lllT5_lllii
    .private_segment_fixed_size: 0
    .sgpr_count:     61
    .sgpr_spill_count: 0
    .symbol:         _ZL62rocblas_symv_kernel_upper_double_buffered_non_diagonal_genericILi32ELi8ELi2ELi0E24rocblas_internal_val_ptrIdEPKPKdPKPdEvbiT3_lT4_lllSA_lllT5_lllii.kd
    .uniform_work_group_size: 1
    .uses_dynamic_stack: false
    .vgpr_count:     91
    .vgpr_spill_count: 0
    .wavefront_size: 32
  - .args:
      - .offset:         0
        .size:           1
        .value_kind:     by_value
      - .offset:         4
        .size:           4
        .value_kind:     by_value
      - .offset:         8
        .size:           8
        .value_kind:     by_value
      - .offset:         16
        .size:           8
        .value_kind:     by_value
      - .address_space:  global
        .offset:         24
        .size:           8
        .value_kind:     global_buffer
      - .offset:         32
        .size:           8
        .value_kind:     by_value
      - .offset:         40
        .size:           8
        .value_kind:     by_value
      - .offset:         48
        .size:           8
        .value_kind:     by_value
      - .address_space:  global
        .offset:         56
        .size:           8
        .value_kind:     global_buffer
      - .offset:         64
        .size:           8
        .value_kind:     by_value
      - .offset:         72
        .size:           8
        .value_kind:     by_value
      - .offset:         80
        .size:           8
        .value_kind:     by_value
      - .actual_access:  read_only
        .address_space:  global
        .offset:         88
        .size:           8
        .value_kind:     global_buffer
      - .offset:         96
        .size:           8
        .value_kind:     by_value
      - .offset:         104
        .size:           8
        .value_kind:     by_value
      - .offset:         112
        .size:           8
        .value_kind:     by_value
      - .offset:         120
        .size:           4
        .value_kind:     by_value
      - .offset:         124
        .size:           4
        .value_kind:     by_value
      - .offset:         128
        .size:           4
        .value_kind:     hidden_block_count_x
      - .offset:         132
        .size:           4
        .value_kind:     hidden_block_count_y
      - .offset:         136
        .size:           4
        .value_kind:     hidden_block_count_z
      - .offset:         140
        .size:           2
        .value_kind:     hidden_group_size_x
      - .offset:         142
        .size:           2
        .value_kind:     hidden_group_size_y
      - .offset:         144
        .size:           2
        .value_kind:     hidden_group_size_z
      - .offset:         146
        .size:           2
        .value_kind:     hidden_remainder_x
      - .offset:         148
        .size:           2
        .value_kind:     hidden_remainder_y
      - .offset:         150
        .size:           2
        .value_kind:     hidden_remainder_z
      - .offset:         168
        .size:           8
        .value_kind:     hidden_global_offset_x
      - .offset:         176
        .size:           8
        .value_kind:     hidden_global_offset_y
      - .offset:         184
        .size:           8
        .value_kind:     hidden_global_offset_z
      - .offset:         192
        .size:           2
        .value_kind:     hidden_grid_dims
    .group_segment_fixed_size: 10496
    .kernarg_segment_align: 8
    .kernarg_segment_size: 384
    .language:       OpenCL C
    .language_version:
      - 2
      - 0
    .max_flat_workgroup_size: 256
    .name:           _ZL62rocblas_symv_kernel_upper_double_buffered_non_diagonal_genericILi32ELi8ELi2ELi1E24rocblas_internal_val_ptrIdEPKPKdPKPdEvbiT3_lT4_lllSA_lllT5_lllii
    .private_segment_fixed_size: 0
    .sgpr_count:     61
    .sgpr_spill_count: 0
    .symbol:         _ZL62rocblas_symv_kernel_upper_double_buffered_non_diagonal_genericILi32ELi8ELi2ELi1E24rocblas_internal_val_ptrIdEPKPKdPKPdEvbiT3_lT4_lllSA_lllT5_lllii.kd
    .uniform_work_group_size: 1
    .uses_dynamic_stack: false
    .vgpr_count:     92
    .vgpr_spill_count: 0
    .wavefront_size: 32
  - .args:
      - .offset:         0
        .size:           4
        .value_kind:     by_value
      - .address_space:  global
        .offset:         8
        .size:           8
        .value_kind:     global_buffer
      - .offset:         16
        .size:           8
        .value_kind:     by_value
      - .address_space:  global
        .offset:         24
        .size:           8
        .value_kind:     global_buffer
      - .offset:         32
        .size:           8
        .value_kind:     by_value
      - .offset:         40
        .size:           8
        .value_kind:     by_value
      - .offset:         48
        .size:           8
        .value_kind:     by_value
      - .address_space:  global
        .offset:         56
        .size:           8
        .value_kind:     global_buffer
      - .offset:         64
        .size:           8
        .value_kind:     by_value
      - .offset:         72
        .size:           8
        .value_kind:     by_value
      - .offset:         80
        .size:           8
        .value_kind:     by_value
      - .address_space:  global
        .offset:         88
        .size:           8
        .value_kind:     global_buffer
      - .offset:         96
        .size:           8
        .value_kind:     by_value
      - .address_space:  global
        .offset:         104
        .size:           8
        .value_kind:     global_buffer
      - .offset:         112
        .size:           4
        .value_kind:     by_value
      - .offset:         120
        .size:           4
        .value_kind:     hidden_block_count_x
      - .offset:         124
        .size:           4
        .value_kind:     hidden_block_count_y
      - .offset:         128
        .size:           4
        .value_kind:     hidden_block_count_z
      - .offset:         132
        .size:           2
        .value_kind:     hidden_group_size_x
      - .offset:         134
        .size:           2
        .value_kind:     hidden_group_size_y
      - .offset:         136
        .size:           2
        .value_kind:     hidden_group_size_z
      - .offset:         138
        .size:           2
        .value_kind:     hidden_remainder_x
      - .offset:         140
        .size:           2
        .value_kind:     hidden_remainder_y
      - .offset:         142
        .size:           2
        .value_kind:     hidden_remainder_z
      - .offset:         160
        .size:           8
        .value_kind:     hidden_global_offset_x
      - .offset:         168
        .size:           8
        .value_kind:     hidden_global_offset_y
      - .offset:         176
        .size:           8
        .value_kind:     hidden_global_offset_z
      - .offset:         184
        .size:           2
        .value_kind:     hidden_grid_dims
    .group_segment_fixed_size: 9600
    .kernarg_segment_align: 8
    .kernarg_segment_size: 376
    .language:       OpenCL C
    .language_version:
      - 2
      - 0
    .max_flat_workgroup_size: 256
    .name:           _ZL26rocblas_hemvn_kernel_upperILb0ELi64ELi4ELi33ELi32ELi16ElPKdPKS1_PdEviT6_lT7_lT5_lS6_lS7_lS5_lT8_i
    .private_segment_fixed_size: 0
    .sgpr_count:     90
    .sgpr_spill_count: 0
    .symbol:         _ZL26rocblas_hemvn_kernel_upperILb0ELi64ELi4ELi33ELi32ELi16ElPKdPKS1_PdEviT6_lT7_lT5_lS6_lS7_lS5_lT8_i.kd
    .uniform_work_group_size: 1
    .uses_dynamic_stack: false
    .vgpr_count:     214
    .vgpr_spill_count: 0
    .wavefront_size: 32
  - .args:
      - .offset:         0
        .size:           4
        .value_kind:     by_value
      - .address_space:  global
        .offset:         8
        .size:           8
        .value_kind:     global_buffer
      - .offset:         16
        .size:           8
        .value_kind:     by_value
      - .address_space:  global
        .offset:         24
        .size:           8
        .value_kind:     global_buffer
      - .offset:         32
        .size:           8
        .value_kind:     by_value
      - .actual_access:  read_only
        .address_space:  global
        .offset:         40
        .size:           8
        .value_kind:     global_buffer
      - .offset:         48
        .size:           8
        .value_kind:     by_value
      - .offset:         56
        .size:           8
        .value_kind:     by_value
      - .offset:         64
        .size:           8
        .value_kind:     by_value
      - .address_space:  global
        .offset:         72
        .size:           8
        .value_kind:     global_buffer
      - .offset:         80
        .size:           4
        .value_kind:     by_value
      - .offset:         88
        .size:           4
        .value_kind:     hidden_block_count_x
      - .offset:         92
        .size:           4
        .value_kind:     hidden_block_count_y
      - .offset:         96
        .size:           4
        .value_kind:     hidden_block_count_z
      - .offset:         100
        .size:           2
        .value_kind:     hidden_group_size_x
      - .offset:         102
        .size:           2
        .value_kind:     hidden_group_size_y
      - .offset:         104
        .size:           2
        .value_kind:     hidden_group_size_z
      - .offset:         106
        .size:           2
        .value_kind:     hidden_remainder_x
      - .offset:         108
        .size:           2
        .value_kind:     hidden_remainder_y
      - .offset:         110
        .size:           2
        .value_kind:     hidden_remainder_z
      - .offset:         128
        .size:           8
        .value_kind:     hidden_global_offset_x
      - .offset:         136
        .size:           8
        .value_kind:     hidden_global_offset_y
      - .offset:         144
        .size:           8
        .value_kind:     hidden_global_offset_z
      - .offset:         152
        .size:           2
        .value_kind:     hidden_grid_dims
    .group_segment_fixed_size: 0
    .kernarg_segment_align: 8
    .kernarg_segment_size: 344
    .language:       OpenCL C
    .language_version:
      - 2
      - 0
    .max_flat_workgroup_size: 64
    .name:           _ZL36rocblas_hemvn_kernel_upper_block_sumILi64ElPKdPKPddEviT1_lS5_lT2_lT0_lPT3_i
    .private_segment_fixed_size: 0
    .sgpr_count:     30
    .sgpr_spill_count: 0
    .symbol:         _ZL36rocblas_hemvn_kernel_upper_block_sumILi64ElPKdPKPddEviT1_lS5_lT2_lT0_lPT3_i.kd
    .uniform_work_group_size: 1
    .uses_dynamic_stack: false
    .vgpr_count:     16
    .vgpr_spill_count: 0
    .wavefront_size: 32
  - .args:
      - .offset:         0
        .size:           4
        .value_kind:     by_value
      - .address_space:  global
        .offset:         8
        .size:           8
        .value_kind:     global_buffer
      - .offset:         16
        .size:           8
        .value_kind:     by_value
      - .address_space:  global
        .offset:         24
        .size:           8
        .value_kind:     global_buffer
      - .offset:         32
        .size:           8
        .value_kind:     by_value
      - .offset:         40
        .size:           4
        .value_kind:     by_value
      - .offset:         48
        .size:           8
        .value_kind:     by_value
      - .address_space:  global
        .offset:         56
        .size:           8
        .value_kind:     global_buffer
      - .offset:         64
        .size:           8
        .value_kind:     by_value
      - .offset:         72
        .size:           4
        .value_kind:     by_value
      - .offset:         80
        .size:           8
        .value_kind:     by_value
      - .address_space:  global
        .offset:         88
        .size:           8
        .value_kind:     global_buffer
      - .offset:         96
        .size:           8
        .value_kind:     by_value
      - .address_space:  global
        .offset:         104
        .size:           8
        .value_kind:     global_buffer
      - .offset:         112
        .size:           4
        .value_kind:     by_value
      - .offset:         120
        .size:           4
        .value_kind:     hidden_block_count_x
      - .offset:         124
        .size:           4
        .value_kind:     hidden_block_count_y
      - .offset:         128
        .size:           4
        .value_kind:     hidden_block_count_z
      - .offset:         132
        .size:           2
        .value_kind:     hidden_group_size_x
      - .offset:         134
        .size:           2
        .value_kind:     hidden_group_size_y
      - .offset:         136
        .size:           2
        .value_kind:     hidden_group_size_z
      - .offset:         138
        .size:           2
        .value_kind:     hidden_remainder_x
      - .offset:         140
        .size:           2
        .value_kind:     hidden_remainder_y
      - .offset:         142
        .size:           2
        .value_kind:     hidden_remainder_z
      - .offset:         160
        .size:           8
        .value_kind:     hidden_global_offset_x
      - .offset:         168
        .size:           8
        .value_kind:     hidden_global_offset_y
      - .offset:         176
        .size:           8
        .value_kind:     hidden_global_offset_z
      - .offset:         184
        .size:           2
        .value_kind:     hidden_grid_dims
    .group_segment_fixed_size: 9600
    .kernarg_segment_align: 8
    .kernarg_segment_size: 376
    .language:       OpenCL C
    .language_version:
      - 2
      - 0
    .max_flat_workgroup_size: 256
    .name:           _ZL26rocblas_hemvn_kernel_upperILb0ELi64ELi4ELi33ELi32ELi16EiPKdPKS1_PdEviT6_lT7_lT5_lS6_lS7_lS5_lT8_i
    .private_segment_fixed_size: 0
    .sgpr_count:     107
    .sgpr_spill_count: 4
    .symbol:         _ZL26rocblas_hemvn_kernel_upperILb0ELi64ELi4ELi33ELi32ELi16EiPKdPKS1_PdEviT6_lT7_lT5_lS6_lS7_lS5_lT8_i.kd
    .uniform_work_group_size: 1
    .uses_dynamic_stack: false
    .vgpr_count:     220
    .vgpr_spill_count: 0
    .wavefront_size: 32
  - .args:
      - .offset:         0
        .size:           4
        .value_kind:     by_value
      - .address_space:  global
        .offset:         8
        .size:           8
        .value_kind:     global_buffer
      - .offset:         16
        .size:           8
        .value_kind:     by_value
      - .address_space:  global
        .offset:         24
        .size:           8
        .value_kind:     global_buffer
      - .offset:         32
        .size:           8
        .value_kind:     by_value
      - .actual_access:  read_only
        .address_space:  global
        .offset:         40
        .size:           8
        .value_kind:     global_buffer
      - .offset:         48
        .size:           8
        .value_kind:     by_value
      - .offset:         56
        .size:           4
        .value_kind:     by_value
      - .offset:         64
        .size:           8
        .value_kind:     by_value
      - .address_space:  global
        .offset:         72
        .size:           8
        .value_kind:     global_buffer
      - .offset:         80
        .size:           4
        .value_kind:     by_value
      - .offset:         88
        .size:           4
        .value_kind:     hidden_block_count_x
      - .offset:         92
        .size:           4
        .value_kind:     hidden_block_count_y
      - .offset:         96
        .size:           4
        .value_kind:     hidden_block_count_z
      - .offset:         100
        .size:           2
        .value_kind:     hidden_group_size_x
      - .offset:         102
        .size:           2
        .value_kind:     hidden_group_size_y
      - .offset:         104
        .size:           2
        .value_kind:     hidden_group_size_z
      - .offset:         106
        .size:           2
        .value_kind:     hidden_remainder_x
      - .offset:         108
        .size:           2
        .value_kind:     hidden_remainder_y
      - .offset:         110
        .size:           2
        .value_kind:     hidden_remainder_z
      - .offset:         128
        .size:           8
        .value_kind:     hidden_global_offset_x
      - .offset:         136
        .size:           8
        .value_kind:     hidden_global_offset_y
      - .offset:         144
        .size:           8
        .value_kind:     hidden_global_offset_z
      - .offset:         152
        .size:           2
        .value_kind:     hidden_grid_dims
    .group_segment_fixed_size: 0
    .kernarg_segment_align: 8
    .kernarg_segment_size: 344
    .language:       OpenCL C
    .language_version:
      - 2
      - 0
    .max_flat_workgroup_size: 64
    .name:           _ZL36rocblas_hemvn_kernel_upper_block_sumILi64EiPKdPKPddEviT1_lS5_lT2_lT0_lPT3_i
    .private_segment_fixed_size: 0
    .sgpr_count:     30
    .sgpr_spill_count: 0
    .symbol:         _ZL36rocblas_hemvn_kernel_upper_block_sumILi64EiPKdPKPddEviT1_lS5_lT2_lT0_lPT3_i.kd
    .uniform_work_group_size: 1
    .uses_dynamic_stack: false
    .vgpr_count:     16
    .vgpr_spill_count: 0
    .wavefront_size: 32
  - .args:
      - .offset:         0
        .size:           4
        .value_kind:     by_value
      - .offset:         8
        .size:           8
        .value_kind:     by_value
      - .offset:         16
        .size:           8
        .value_kind:     by_value
      - .address_space:  global
        .offset:         24
        .size:           8
        .value_kind:     global_buffer
      - .offset:         32
        .size:           8
        .value_kind:     by_value
      - .offset:         40
        .size:           8
        .value_kind:     by_value
      - .offset:         48
        .size:           8
        .value_kind:     by_value
      - .address_space:  global
        .offset:         56
        .size:           8
        .value_kind:     global_buffer
      - .offset:         64
        .size:           8
        .value_kind:     by_value
      - .offset:         72
        .size:           8
        .value_kind:     by_value
      - .offset:         80
        .size:           8
        .value_kind:     by_value
      - .offset:         88
        .size:           8
        .value_kind:     by_value
      - .offset:         96
        .size:           8
        .value_kind:     by_value
      - .address_space:  global
        .offset:         104
        .size:           8
        .value_kind:     global_buffer
      - .offset:         112
        .size:           4
        .value_kind:     by_value
      - .offset:         120
        .size:           4
        .value_kind:     hidden_block_count_x
      - .offset:         124
        .size:           4
        .value_kind:     hidden_block_count_y
      - .offset:         128
        .size:           4
        .value_kind:     hidden_block_count_z
      - .offset:         132
        .size:           2
        .value_kind:     hidden_group_size_x
      - .offset:         134
        .size:           2
        .value_kind:     hidden_group_size_y
      - .offset:         136
        .size:           2
        .value_kind:     hidden_group_size_z
      - .offset:         138
        .size:           2
        .value_kind:     hidden_remainder_x
      - .offset:         140
        .size:           2
        .value_kind:     hidden_remainder_y
      - .offset:         142
        .size:           2
        .value_kind:     hidden_remainder_z
      - .offset:         160
        .size:           8
        .value_kind:     hidden_global_offset_x
      - .offset:         168
        .size:           8
        .value_kind:     hidden_global_offset_y
      - .offset:         176
        .size:           8
        .value_kind:     hidden_global_offset_z
      - .offset:         184
        .size:           2
        .value_kind:     hidden_grid_dims
    .group_segment_fixed_size: 9600
    .kernarg_segment_align: 8
    .kernarg_segment_size: 376
    .language:       OpenCL C
    .language_version:
      - 2
      - 0
    .max_flat_workgroup_size: 256
    .name:           _ZL26rocblas_hemvn_kernel_upperILb0ELi64ELi4ELi33ELi32ELi16EldPKPKdPdEviT6_lT7_lT5_lS6_lS7_lS5_lT8_i
    .private_segment_fixed_size: 0
    .sgpr_count:     84
    .sgpr_spill_count: 0
    .symbol:         _ZL26rocblas_hemvn_kernel_upperILb0ELi64ELi4ELi33ELi32ELi16EldPKPKdPdEviT6_lT7_lT5_lS6_lS7_lS5_lT8_i.kd
    .uniform_work_group_size: 1
    .uses_dynamic_stack: false
    .vgpr_count:     214
    .vgpr_spill_count: 0
    .wavefront_size: 32
  - .args:
      - .offset:         0
        .size:           4
        .value_kind:     by_value
      - .offset:         8
        .size:           8
        .value_kind:     by_value
      - .offset:         16
        .size:           8
        .value_kind:     by_value
      - .offset:         24
        .size:           8
        .value_kind:     by_value
      - .offset:         32
        .size:           8
        .value_kind:     by_value
      - .actual_access:  read_only
        .address_space:  global
        .offset:         40
        .size:           8
        .value_kind:     global_buffer
      - .offset:         48
        .size:           8
        .value_kind:     by_value
      - .offset:         56
        .size:           8
        .value_kind:     by_value
      - .offset:         64
        .size:           8
        .value_kind:     by_value
      - .address_space:  global
        .offset:         72
        .size:           8
        .value_kind:     global_buffer
      - .offset:         80
        .size:           4
        .value_kind:     by_value
      - .offset:         88
        .size:           4
        .value_kind:     hidden_block_count_x
      - .offset:         92
        .size:           4
        .value_kind:     hidden_block_count_y
      - .offset:         96
        .size:           4
        .value_kind:     hidden_block_count_z
      - .offset:         100
        .size:           2
        .value_kind:     hidden_group_size_x
      - .offset:         102
        .size:           2
        .value_kind:     hidden_group_size_y
      - .offset:         104
        .size:           2
        .value_kind:     hidden_group_size_z
      - .offset:         106
        .size:           2
        .value_kind:     hidden_remainder_x
      - .offset:         108
        .size:           2
        .value_kind:     hidden_remainder_y
      - .offset:         110
        .size:           2
        .value_kind:     hidden_remainder_z
      - .offset:         128
        .size:           8
        .value_kind:     hidden_global_offset_x
      - .offset:         136
        .size:           8
        .value_kind:     hidden_global_offset_y
      - .offset:         144
        .size:           8
        .value_kind:     hidden_global_offset_z
      - .offset:         152
        .size:           2
        .value_kind:     hidden_grid_dims
    .group_segment_fixed_size: 0
    .kernarg_segment_align: 8
    .kernarg_segment_size: 344
    .language:       OpenCL C
    .language_version:
      - 2
      - 0
    .max_flat_workgroup_size: 64
    .name:           _ZL36rocblas_hemvn_kernel_upper_block_sumILi64EldPKPddEviT1_lS3_lT2_lT0_lPT3_i
    .private_segment_fixed_size: 0
    .sgpr_count:     30
    .sgpr_spill_count: 0
    .symbol:         _ZL36rocblas_hemvn_kernel_upper_block_sumILi64EldPKPddEviT1_lS3_lT2_lT0_lPT3_i.kd
    .uniform_work_group_size: 1
    .uses_dynamic_stack: false
    .vgpr_count:     10
    .vgpr_spill_count: 0
    .wavefront_size: 32
  - .args:
      - .offset:         0
        .size:           4
        .value_kind:     by_value
      - .offset:         8
        .size:           8
        .value_kind:     by_value
      - .offset:         16
        .size:           8
        .value_kind:     by_value
      - .address_space:  global
        .offset:         24
        .size:           8
        .value_kind:     global_buffer
      - .offset:         32
        .size:           8
        .value_kind:     by_value
      - .offset:         40
        .size:           4
        .value_kind:     by_value
      - .offset:         48
        .size:           8
        .value_kind:     by_value
      - .address_space:  global
        .offset:         56
        .size:           8
        .value_kind:     global_buffer
      - .offset:         64
        .size:           8
        .value_kind:     by_value
      - .offset:         72
        .size:           4
        .value_kind:     by_value
      - .offset:         80
        .size:           8
        .value_kind:     by_value
      - .offset:         88
        .size:           8
        .value_kind:     by_value
      - .offset:         96
        .size:           8
        .value_kind:     by_value
      - .address_space:  global
        .offset:         104
        .size:           8
        .value_kind:     global_buffer
      - .offset:         112
        .size:           4
        .value_kind:     by_value
      - .offset:         120
        .size:           4
        .value_kind:     hidden_block_count_x
      - .offset:         124
        .size:           4
        .value_kind:     hidden_block_count_y
      - .offset:         128
        .size:           4
        .value_kind:     hidden_block_count_z
      - .offset:         132
        .size:           2
        .value_kind:     hidden_group_size_x
      - .offset:         134
        .size:           2
        .value_kind:     hidden_group_size_y
      - .offset:         136
        .size:           2
        .value_kind:     hidden_group_size_z
      - .offset:         138
        .size:           2
        .value_kind:     hidden_remainder_x
      - .offset:         140
        .size:           2
        .value_kind:     hidden_remainder_y
      - .offset:         142
        .size:           2
        .value_kind:     hidden_remainder_z
      - .offset:         160
        .size:           8
        .value_kind:     hidden_global_offset_x
      - .offset:         168
        .size:           8
        .value_kind:     hidden_global_offset_y
      - .offset:         176
        .size:           8
        .value_kind:     hidden_global_offset_z
      - .offset:         184
        .size:           2
        .value_kind:     hidden_grid_dims
    .group_segment_fixed_size: 9600
    .kernarg_segment_align: 8
    .kernarg_segment_size: 376
    .language:       OpenCL C
    .language_version:
      - 2
      - 0
    .max_flat_workgroup_size: 256
    .name:           _ZL26rocblas_hemvn_kernel_upperILb0ELi64ELi4ELi33ELi32ELi16EidPKPKdPdEviT6_lT7_lT5_lS6_lS7_lS5_lT8_i
    .private_segment_fixed_size: 0
    .sgpr_count:     107
    .sgpr_spill_count: 0
    .symbol:         _ZL26rocblas_hemvn_kernel_upperILb0ELi64ELi4ELi33ELi32ELi16EidPKPKdPdEviT6_lT7_lT5_lS6_lS7_lS5_lT8_i.kd
    .uniform_work_group_size: 1
    .uses_dynamic_stack: false
    .vgpr_count:     220
    .vgpr_spill_count: 0
    .wavefront_size: 32
  - .args:
      - .offset:         0
        .size:           4
        .value_kind:     by_value
      - .offset:         8
        .size:           8
        .value_kind:     by_value
      - .offset:         16
        .size:           8
        .value_kind:     by_value
      - .offset:         24
        .size:           8
        .value_kind:     by_value
      - .offset:         32
        .size:           8
        .value_kind:     by_value
      - .actual_access:  read_only
        .address_space:  global
        .offset:         40
        .size:           8
        .value_kind:     global_buffer
      - .offset:         48
        .size:           8
        .value_kind:     by_value
      - .offset:         56
        .size:           4
        .value_kind:     by_value
      - .offset:         64
        .size:           8
        .value_kind:     by_value
      - .address_space:  global
        .offset:         72
        .size:           8
        .value_kind:     global_buffer
      - .offset:         80
        .size:           4
        .value_kind:     by_value
      - .offset:         88
        .size:           4
        .value_kind:     hidden_block_count_x
      - .offset:         92
        .size:           4
        .value_kind:     hidden_block_count_y
      - .offset:         96
        .size:           4
        .value_kind:     hidden_block_count_z
      - .offset:         100
        .size:           2
        .value_kind:     hidden_group_size_x
      - .offset:         102
        .size:           2
        .value_kind:     hidden_group_size_y
      - .offset:         104
        .size:           2
        .value_kind:     hidden_group_size_z
      - .offset:         106
        .size:           2
        .value_kind:     hidden_remainder_x
      - .offset:         108
        .size:           2
        .value_kind:     hidden_remainder_y
      - .offset:         110
        .size:           2
        .value_kind:     hidden_remainder_z
      - .offset:         128
        .size:           8
        .value_kind:     hidden_global_offset_x
      - .offset:         136
        .size:           8
        .value_kind:     hidden_global_offset_y
      - .offset:         144
        .size:           8
        .value_kind:     hidden_global_offset_z
      - .offset:         152
        .size:           2
        .value_kind:     hidden_grid_dims
    .group_segment_fixed_size: 0
    .kernarg_segment_align: 8
    .kernarg_segment_size: 344
    .language:       OpenCL C
    .language_version:
      - 2
      - 0
    .max_flat_workgroup_size: 64
    .name:           _ZL36rocblas_hemvn_kernel_upper_block_sumILi64EidPKPddEviT1_lS3_lT2_lT0_lPT3_i
    .private_segment_fixed_size: 0
    .sgpr_count:     30
    .sgpr_spill_count: 0
    .symbol:         _ZL36rocblas_hemvn_kernel_upper_block_sumILi64EidPKPddEviT1_lS3_lT2_lT0_lPT3_i.kd
    .uniform_work_group_size: 1
    .uses_dynamic_stack: false
    .vgpr_count:     10
    .vgpr_spill_count: 0
    .wavefront_size: 32
  - .args:
      - .offset:         0
        .size:           1
        .value_kind:     by_value
      - .offset:         4
        .size:           4
        .value_kind:     by_value
      - .offset:         8
        .size:           8
        .value_kind:     by_value
      - .offset:         16
        .size:           8
        .value_kind:     by_value
      - .address_space:  global
        .offset:         24
        .size:           8
        .value_kind:     global_buffer
      - .offset:         32
        .size:           8
        .value_kind:     by_value
      - .offset:         40
        .size:           8
        .value_kind:     by_value
      - .offset:         48
        .size:           8
        .value_kind:     by_value
      - .address_space:  global
        .offset:         56
        .size:           8
        .value_kind:     global_buffer
      - .offset:         64
        .size:           8
        .value_kind:     by_value
      - .offset:         72
        .size:           8
        .value_kind:     by_value
      - .offset:         80
        .size:           8
        .value_kind:     by_value
      - .offset:         88
        .size:           8
        .value_kind:     by_value
      - .offset:         96
        .size:           8
        .value_kind:     by_value
      - .actual_access:  read_only
        .address_space:  global
        .offset:         104
        .size:           8
        .value_kind:     global_buffer
      - .offset:         112
        .size:           8
        .value_kind:     by_value
      - .offset:         120
        .size:           8
        .value_kind:     by_value
      - .offset:         128
        .size:           8
        .value_kind:     by_value
      - .offset:         136
        .size:           4
        .value_kind:     by_value
    .group_segment_fixed_size: 12544
    .kernarg_segment_align: 8
    .kernarg_segment_size: 140
    .language:       OpenCL C
    .language_version:
      - 2
      - 0
    .max_flat_workgroup_size: 128
    .name:           _ZL50rocblas_symv_kernel_lower_double_buffered_diagonalILi32ELi4E24rocblas_internal_val_ptrIdEPKPKdPKPdEvbiT1_lT2_lllSA_lllS9_lT3_llli
    .private_segment_fixed_size: 0
    .sgpr_count:     48
    .sgpr_spill_count: 0
    .symbol:         _ZL50rocblas_symv_kernel_lower_double_buffered_diagonalILi32ELi4E24rocblas_internal_val_ptrIdEPKPKdPKPdEvbiT1_lT2_lllSA_lllS9_lT3_llli.kd
    .uniform_work_group_size: 1
    .uses_dynamic_stack: false
    .vgpr_count:     48
    .vgpr_spill_count: 0
    .wavefront_size: 32
  - .args:
      - .offset:         0
        .size:           1
        .value_kind:     by_value
      - .offset:         4
        .size:           4
        .value_kind:     by_value
      - .offset:         8
        .size:           8
        .value_kind:     by_value
      - .offset:         16
        .size:           8
        .value_kind:     by_value
      - .address_space:  global
        .offset:         24
        .size:           8
        .value_kind:     global_buffer
      - .offset:         32
        .size:           8
        .value_kind:     by_value
      - .offset:         40
        .size:           8
        .value_kind:     by_value
      - .offset:         48
        .size:           8
        .value_kind:     by_value
      - .address_space:  global
        .offset:         56
        .size:           8
        .value_kind:     global_buffer
      - .offset:         64
        .size:           8
        .value_kind:     by_value
      - .offset:         72
        .size:           8
        .value_kind:     by_value
      - .offset:         80
        .size:           8
        .value_kind:     by_value
      - .actual_access:  read_only
        .address_space:  global
        .offset:         88
        .size:           8
        .value_kind:     global_buffer
      - .offset:         96
        .size:           8
        .value_kind:     by_value
      - .offset:         104
        .size:           8
        .value_kind:     by_value
      - .offset:         112
        .size:           8
        .value_kind:     by_value
      - .offset:         120
        .size:           4
        .value_kind:     by_value
      - .offset:         128
        .size:           4
        .value_kind:     hidden_block_count_x
      - .offset:         132
        .size:           4
        .value_kind:     hidden_block_count_y
      - .offset:         136
        .size:           4
        .value_kind:     hidden_block_count_z
      - .offset:         140
        .size:           2
        .value_kind:     hidden_group_size_x
      - .offset:         142
        .size:           2
        .value_kind:     hidden_group_size_y
      - .offset:         144
        .size:           2
        .value_kind:     hidden_group_size_z
      - .offset:         146
        .size:           2
        .value_kind:     hidden_remainder_x
      - .offset:         148
        .size:           2
        .value_kind:     hidden_remainder_y
      - .offset:         150
        .size:           2
        .value_kind:     hidden_remainder_z
      - .offset:         168
        .size:           8
        .value_kind:     hidden_global_offset_x
      - .offset:         176
        .size:           8
        .value_kind:     hidden_global_offset_y
      - .offset:         184
        .size:           8
        .value_kind:     hidden_global_offset_z
      - .offset:         192
        .size:           2
        .value_kind:     hidden_grid_dims
    .group_segment_fixed_size: 7424
    .kernarg_segment_align: 8
    .kernarg_segment_size: 384
    .language:       OpenCL C
    .language_version:
      - 2
      - 0
    .max_flat_workgroup_size: 128
    .name:           _ZL54rocblas_symv_kernel_lower_double_buffered_non_diagonalILi32ELi4ELi4E24rocblas_internal_val_ptrIdEPKPKdPKPdEvbiT2_lT3_lllSA_lllT4_llli
    .private_segment_fixed_size: 0
    .sgpr_count:     62
    .sgpr_spill_count: 0
    .symbol:         _ZL54rocblas_symv_kernel_lower_double_buffered_non_diagonalILi32ELi4ELi4E24rocblas_internal_val_ptrIdEPKPKdPKPdEvbiT2_lT3_lllSA_lllT4_llli.kd
    .uniform_work_group_size: 1
    .uses_dynamic_stack: false
    .vgpr_count:     102
    .vgpr_spill_count: 0
    .wavefront_size: 32
  - .args:
      - .offset:         0
        .size:           1
        .value_kind:     by_value
      - .offset:         4
        .size:           4
        .value_kind:     by_value
      - .offset:         8
        .size:           8
        .value_kind:     by_value
      - .offset:         16
        .size:           8
        .value_kind:     by_value
      - .address_space:  global
        .offset:         24
        .size:           8
        .value_kind:     global_buffer
      - .offset:         32
        .size:           8
        .value_kind:     by_value
      - .offset:         40
        .size:           8
        .value_kind:     by_value
      - .offset:         48
        .size:           8
        .value_kind:     by_value
      - .address_space:  global
        .offset:         56
        .size:           8
        .value_kind:     global_buffer
      - .offset:         64
        .size:           8
        .value_kind:     by_value
      - .offset:         72
        .size:           8
        .value_kind:     by_value
      - .offset:         80
        .size:           8
        .value_kind:     by_value
      - .offset:         88
        .size:           8
        .value_kind:     by_value
      - .offset:         96
        .size:           8
        .value_kind:     by_value
      - .actual_access:  read_only
        .address_space:  global
        .offset:         104
        .size:           8
        .value_kind:     global_buffer
      - .offset:         112
        .size:           8
        .value_kind:     by_value
      - .offset:         120
        .size:           8
        .value_kind:     by_value
      - .offset:         128
        .size:           8
        .value_kind:     by_value
      - .offset:         136
        .size:           4
        .value_kind:     by_value
      - .offset:         140
        .size:           4
        .value_kind:     by_value
      - .offset:         144
        .size:           4
        .value_kind:     hidden_block_count_x
      - .offset:         148
        .size:           4
        .value_kind:     hidden_block_count_y
      - .offset:         152
        .size:           4
        .value_kind:     hidden_block_count_z
      - .offset:         156
        .size:           2
        .value_kind:     hidden_group_size_x
      - .offset:         158
        .size:           2
        .value_kind:     hidden_group_size_y
      - .offset:         160
        .size:           2
        .value_kind:     hidden_group_size_z
      - .offset:         162
        .size:           2
        .value_kind:     hidden_remainder_x
      - .offset:         164
        .size:           2
        .value_kind:     hidden_remainder_y
      - .offset:         166
        .size:           2
        .value_kind:     hidden_remainder_z
      - .offset:         184
        .size:           8
        .value_kind:     hidden_global_offset_x
      - .offset:         192
        .size:           8
        .value_kind:     hidden_global_offset_y
      - .offset:         200
        .size:           8
        .value_kind:     hidden_global_offset_z
      - .offset:         208
        .size:           2
        .value_kind:     hidden_grid_dims
    .group_segment_fixed_size: 12544
    .kernarg_segment_align: 8
    .kernarg_segment_size: 400
    .language:       OpenCL C
    .language_version:
      - 2
      - 0
    .max_flat_workgroup_size: 128
    .name:           _ZL58rocblas_symv_kernel_lower_double_buffered_diagonal_genericILi32ELi4E24rocblas_internal_val_ptrIdEPKPKdPKPdEvbiT1_lT2_lllSA_lllS9_lT3_lllii
    .private_segment_fixed_size: 0
    .sgpr_count:     56
    .sgpr_spill_count: 0
    .symbol:         _ZL58rocblas_symv_kernel_lower_double_buffered_diagonal_genericILi32ELi4E24rocblas_internal_val_ptrIdEPKPKdPKPdEvbiT1_lT2_lllSA_lllS9_lT3_lllii.kd
    .uniform_work_group_size: 1
    .uses_dynamic_stack: false
    .vgpr_count:     70
    .vgpr_spill_count: 0
    .wavefront_size: 32
  - .args:
      - .offset:         0
        .size:           1
        .value_kind:     by_value
      - .offset:         4
        .size:           4
        .value_kind:     by_value
      - .offset:         8
        .size:           8
        .value_kind:     by_value
      - .offset:         16
        .size:           8
        .value_kind:     by_value
      - .address_space:  global
        .offset:         24
        .size:           8
        .value_kind:     global_buffer
      - .offset:         32
        .size:           8
        .value_kind:     by_value
      - .offset:         40
        .size:           8
        .value_kind:     by_value
      - .offset:         48
        .size:           8
        .value_kind:     by_value
      - .address_space:  global
        .offset:         56
        .size:           8
        .value_kind:     global_buffer
      - .offset:         64
        .size:           8
        .value_kind:     by_value
      - .offset:         72
        .size:           8
        .value_kind:     by_value
      - .offset:         80
        .size:           8
        .value_kind:     by_value
      - .actual_access:  read_only
        .address_space:  global
        .offset:         88
        .size:           8
        .value_kind:     global_buffer
      - .offset:         96
        .size:           8
        .value_kind:     by_value
      - .offset:         104
        .size:           8
        .value_kind:     by_value
      - .offset:         112
        .size:           8
        .value_kind:     by_value
      - .offset:         120
        .size:           4
        .value_kind:     by_value
      - .offset:         124
        .size:           4
        .value_kind:     by_value
      - .offset:         128
        .size:           4
        .value_kind:     hidden_block_count_x
      - .offset:         132
        .size:           4
        .value_kind:     hidden_block_count_y
      - .offset:         136
        .size:           4
        .value_kind:     hidden_block_count_z
      - .offset:         140
        .size:           2
        .value_kind:     hidden_group_size_x
      - .offset:         142
        .size:           2
        .value_kind:     hidden_group_size_y
      - .offset:         144
        .size:           2
        .value_kind:     hidden_group_size_z
      - .offset:         146
        .size:           2
        .value_kind:     hidden_remainder_x
      - .offset:         148
        .size:           2
        .value_kind:     hidden_remainder_y
      - .offset:         150
        .size:           2
        .value_kind:     hidden_remainder_z
      - .offset:         168
        .size:           8
        .value_kind:     hidden_global_offset_x
      - .offset:         176
        .size:           8
        .value_kind:     hidden_global_offset_y
      - .offset:         184
        .size:           8
        .value_kind:     hidden_global_offset_z
      - .offset:         192
        .size:           2
        .value_kind:     hidden_grid_dims
    .group_segment_fixed_size: 7424
    .kernarg_segment_align: 8
    .kernarg_segment_size: 384
    .language:       OpenCL C
    .language_version:
      - 2
      - 0
    .max_flat_workgroup_size: 128
    .name:           _ZL62rocblas_symv_kernel_lower_double_buffered_non_diagonal_genericILi32ELi4ELi4E24rocblas_internal_val_ptrIdEPKPKdPKPdEvbiT2_lT3_lllSA_lllT4_lllii
    .private_segment_fixed_size: 0
    .sgpr_count:     76
    .sgpr_spill_count: 0
    .symbol:         _ZL62rocblas_symv_kernel_lower_double_buffered_non_diagonal_genericILi32ELi4ELi4E24rocblas_internal_val_ptrIdEPKPKdPKPdEvbiT2_lT3_lllSA_lllT4_lllii.kd
    .uniform_work_group_size: 1
    .uses_dynamic_stack: false
    .vgpr_count:     102
    .vgpr_spill_count: 0
    .wavefront_size: 32
  - .args:
      - .offset:         0
        .size:           4
        .value_kind:     by_value
      - .address_space:  global
        .offset:         8
        .size:           8
        .value_kind:     global_buffer
      - .offset:         16
        .size:           8
        .value_kind:     by_value
      - .address_space:  global
        .offset:         24
        .size:           8
        .value_kind:     global_buffer
      - .offset:         32
        .size:           8
        .value_kind:     by_value
      - .offset:         40
        .size:           8
        .value_kind:     by_value
      - .offset:         48
        .size:           8
        .value_kind:     by_value
      - .address_space:  global
        .offset:         56
        .size:           8
        .value_kind:     global_buffer
      - .offset:         64
        .size:           8
        .value_kind:     by_value
      - .offset:         72
        .size:           8
        .value_kind:     by_value
      - .offset:         80
        .size:           8
        .value_kind:     by_value
      - .address_space:  global
        .offset:         88
        .size:           8
        .value_kind:     global_buffer
      - .offset:         96
        .size:           8
        .value_kind:     by_value
      - .address_space:  global
        .offset:         104
        .size:           8
        .value_kind:     global_buffer
      - .offset:         112
        .size:           4
        .value_kind:     by_value
      - .offset:         120
        .size:           4
        .value_kind:     hidden_block_count_x
      - .offset:         124
        .size:           4
        .value_kind:     hidden_block_count_y
      - .offset:         128
        .size:           4
        .value_kind:     hidden_block_count_z
      - .offset:         132
        .size:           2
        .value_kind:     hidden_group_size_x
      - .offset:         134
        .size:           2
        .value_kind:     hidden_group_size_y
      - .offset:         136
        .size:           2
        .value_kind:     hidden_group_size_z
      - .offset:         138
        .size:           2
        .value_kind:     hidden_remainder_x
      - .offset:         140
        .size:           2
        .value_kind:     hidden_remainder_y
      - .offset:         142
        .size:           2
        .value_kind:     hidden_remainder_z
      - .offset:         160
        .size:           8
        .value_kind:     hidden_global_offset_x
      - .offset:         168
        .size:           8
        .value_kind:     hidden_global_offset_y
      - .offset:         176
        .size:           8
        .value_kind:     hidden_global_offset_z
      - .offset:         184
        .size:           2
        .value_kind:     hidden_grid_dims
    .group_segment_fixed_size: 9600
    .kernarg_segment_align: 8
    .kernarg_segment_size: 376
    .language:       OpenCL C
    .language_version:
      - 2
      - 0
    .max_flat_workgroup_size: 256
    .name:           _ZL26rocblas_hemvn_kernel_lowerILb0ELi64ELi4ELi33ELi32ELi16ElPKdPKS1_PdEviT6_lT7_lT5_lS6_lS7_lS5_lT8_i
    .private_segment_fixed_size: 0
    .sgpr_count:     107
    .sgpr_spill_count: 3
    .symbol:         _ZL26rocblas_hemvn_kernel_lowerILb0ELi64ELi4ELi33ELi32ELi16ElPKdPKS1_PdEviT6_lT7_lT5_lS6_lS7_lS5_lT8_i.kd
    .uniform_work_group_size: 1
    .uses_dynamic_stack: false
    .vgpr_count:     125
    .vgpr_spill_count: 0
    .wavefront_size: 32
  - .args:
      - .offset:         0
        .size:           4
        .value_kind:     by_value
      - .address_space:  global
        .offset:         8
        .size:           8
        .value_kind:     global_buffer
      - .offset:         16
        .size:           8
        .value_kind:     by_value
      - .address_space:  global
        .offset:         24
        .size:           8
        .value_kind:     global_buffer
      - .offset:         32
        .size:           8
        .value_kind:     by_value
      - .actual_access:  read_only
        .address_space:  global
        .offset:         40
        .size:           8
        .value_kind:     global_buffer
      - .offset:         48
        .size:           8
        .value_kind:     by_value
      - .offset:         56
        .size:           8
        .value_kind:     by_value
      - .offset:         64
        .size:           8
        .value_kind:     by_value
      - .actual_access:  read_only
        .address_space:  global
        .offset:         72
        .size:           8
        .value_kind:     global_buffer
      - .offset:         80
        .size:           4
        .value_kind:     by_value
      - .offset:         88
        .size:           4
        .value_kind:     hidden_block_count_x
      - .offset:         92
        .size:           4
        .value_kind:     hidden_block_count_y
      - .offset:         96
        .size:           4
        .value_kind:     hidden_block_count_z
      - .offset:         100
        .size:           2
        .value_kind:     hidden_group_size_x
      - .offset:         102
        .size:           2
        .value_kind:     hidden_group_size_y
      - .offset:         104
        .size:           2
        .value_kind:     hidden_group_size_z
      - .offset:         106
        .size:           2
        .value_kind:     hidden_remainder_x
      - .offset:         108
        .size:           2
        .value_kind:     hidden_remainder_y
      - .offset:         110
        .size:           2
        .value_kind:     hidden_remainder_z
      - .offset:         128
        .size:           8
        .value_kind:     hidden_global_offset_x
      - .offset:         136
        .size:           8
        .value_kind:     hidden_global_offset_y
      - .offset:         144
        .size:           8
        .value_kind:     hidden_global_offset_z
      - .offset:         152
        .size:           2
        .value_kind:     hidden_grid_dims
    .group_segment_fixed_size: 0
    .kernarg_segment_align: 8
    .kernarg_segment_size: 344
    .language:       OpenCL C
    .language_version:
      - 2
      - 0
    .max_flat_workgroup_size: 64
    .name:           _ZL36rocblas_hemvn_kernel_lower_block_sumILi64ElPKdPKPddEviT1_lS5_lT2_lT0_lPT3_i
    .private_segment_fixed_size: 0
    .sgpr_count:     32
    .sgpr_spill_count: 0
    .symbol:         _ZL36rocblas_hemvn_kernel_lower_block_sumILi64ElPKdPKPddEviT1_lS5_lT2_lT0_lPT3_i.kd
    .uniform_work_group_size: 1
    .uses_dynamic_stack: false
    .vgpr_count:     16
    .vgpr_spill_count: 0
    .wavefront_size: 32
  - .args:
      - .offset:         0
        .size:           4
        .value_kind:     by_value
      - .address_space:  global
        .offset:         8
        .size:           8
        .value_kind:     global_buffer
      - .offset:         16
        .size:           8
        .value_kind:     by_value
      - .address_space:  global
        .offset:         24
        .size:           8
        .value_kind:     global_buffer
      - .offset:         32
        .size:           8
        .value_kind:     by_value
      - .offset:         40
        .size:           4
        .value_kind:     by_value
      - .offset:         48
        .size:           8
        .value_kind:     by_value
      - .address_space:  global
        .offset:         56
        .size:           8
        .value_kind:     global_buffer
      - .offset:         64
        .size:           8
        .value_kind:     by_value
      - .offset:         72
        .size:           4
        .value_kind:     by_value
      - .offset:         80
        .size:           8
        .value_kind:     by_value
      - .address_space:  global
        .offset:         88
        .size:           8
        .value_kind:     global_buffer
      - .offset:         96
        .size:           8
        .value_kind:     by_value
      - .address_space:  global
        .offset:         104
        .size:           8
        .value_kind:     global_buffer
      - .offset:         112
        .size:           4
        .value_kind:     by_value
      - .offset:         120
        .size:           4
        .value_kind:     hidden_block_count_x
      - .offset:         124
        .size:           4
        .value_kind:     hidden_block_count_y
      - .offset:         128
        .size:           4
        .value_kind:     hidden_block_count_z
      - .offset:         132
        .size:           2
        .value_kind:     hidden_group_size_x
      - .offset:         134
        .size:           2
        .value_kind:     hidden_group_size_y
      - .offset:         136
        .size:           2
        .value_kind:     hidden_group_size_z
      - .offset:         138
        .size:           2
        .value_kind:     hidden_remainder_x
      - .offset:         140
        .size:           2
        .value_kind:     hidden_remainder_y
      - .offset:         142
        .size:           2
        .value_kind:     hidden_remainder_z
      - .offset:         160
        .size:           8
        .value_kind:     hidden_global_offset_x
      - .offset:         168
        .size:           8
        .value_kind:     hidden_global_offset_y
      - .offset:         176
        .size:           8
        .value_kind:     hidden_global_offset_z
      - .offset:         184
        .size:           2
        .value_kind:     hidden_grid_dims
    .group_segment_fixed_size: 9600
    .kernarg_segment_align: 8
    .kernarg_segment_size: 376
    .language:       OpenCL C
    .language_version:
      - 2
      - 0
    .max_flat_workgroup_size: 256
    .name:           _ZL26rocblas_hemvn_kernel_lowerILb0ELi64ELi4ELi33ELi32ELi16EiPKdPKS1_PdEviT6_lT7_lT5_lS6_lS7_lS5_lT8_i
    .private_segment_fixed_size: 0
    .sgpr_count:     107
    .sgpr_spill_count: 5
    .symbol:         _ZL26rocblas_hemvn_kernel_lowerILb0ELi64ELi4ELi33ELi32ELi16EiPKdPKS1_PdEviT6_lT7_lT5_lS6_lS7_lS5_lT8_i.kd
    .uniform_work_group_size: 1
    .uses_dynamic_stack: false
    .vgpr_count:     128
    .vgpr_spill_count: 0
    .wavefront_size: 32
  - .args:
      - .offset:         0
        .size:           4
        .value_kind:     by_value
      - .address_space:  global
        .offset:         8
        .size:           8
        .value_kind:     global_buffer
      - .offset:         16
        .size:           8
        .value_kind:     by_value
      - .address_space:  global
        .offset:         24
        .size:           8
        .value_kind:     global_buffer
      - .offset:         32
        .size:           8
        .value_kind:     by_value
      - .actual_access:  read_only
        .address_space:  global
        .offset:         40
        .size:           8
        .value_kind:     global_buffer
      - .offset:         48
        .size:           8
        .value_kind:     by_value
      - .offset:         56
        .size:           4
        .value_kind:     by_value
      - .offset:         64
        .size:           8
        .value_kind:     by_value
      - .actual_access:  read_only
        .address_space:  global
        .offset:         72
        .size:           8
        .value_kind:     global_buffer
      - .offset:         80
        .size:           4
        .value_kind:     by_value
      - .offset:         88
        .size:           4
        .value_kind:     hidden_block_count_x
      - .offset:         92
        .size:           4
        .value_kind:     hidden_block_count_y
      - .offset:         96
        .size:           4
        .value_kind:     hidden_block_count_z
      - .offset:         100
        .size:           2
        .value_kind:     hidden_group_size_x
      - .offset:         102
        .size:           2
        .value_kind:     hidden_group_size_y
      - .offset:         104
        .size:           2
        .value_kind:     hidden_group_size_z
      - .offset:         106
        .size:           2
        .value_kind:     hidden_remainder_x
      - .offset:         108
        .size:           2
        .value_kind:     hidden_remainder_y
      - .offset:         110
        .size:           2
        .value_kind:     hidden_remainder_z
      - .offset:         128
        .size:           8
        .value_kind:     hidden_global_offset_x
      - .offset:         136
        .size:           8
        .value_kind:     hidden_global_offset_y
      - .offset:         144
        .size:           8
        .value_kind:     hidden_global_offset_z
      - .offset:         152
        .size:           2
        .value_kind:     hidden_grid_dims
    .group_segment_fixed_size: 0
    .kernarg_segment_align: 8
    .kernarg_segment_size: 344
    .language:       OpenCL C
    .language_version:
      - 2
      - 0
    .max_flat_workgroup_size: 64
    .name:           _ZL36rocblas_hemvn_kernel_lower_block_sumILi64EiPKdPKPddEviT1_lS5_lT2_lT0_lPT3_i
    .private_segment_fixed_size: 0
    .sgpr_count:     32
    .sgpr_spill_count: 0
    .symbol:         _ZL36rocblas_hemvn_kernel_lower_block_sumILi64EiPKdPKPddEviT1_lS5_lT2_lT0_lPT3_i.kd
    .uniform_work_group_size: 1
    .uses_dynamic_stack: false
    .vgpr_count:     16
    .vgpr_spill_count: 0
    .wavefront_size: 32
  - .args:
      - .offset:         0
        .size:           4
        .value_kind:     by_value
      - .offset:         8
        .size:           8
        .value_kind:     by_value
      - .offset:         16
        .size:           8
        .value_kind:     by_value
      - .address_space:  global
        .offset:         24
        .size:           8
        .value_kind:     global_buffer
      - .offset:         32
        .size:           8
        .value_kind:     by_value
      - .offset:         40
        .size:           8
        .value_kind:     by_value
      - .offset:         48
        .size:           8
        .value_kind:     by_value
      - .address_space:  global
        .offset:         56
        .size:           8
        .value_kind:     global_buffer
      - .offset:         64
        .size:           8
        .value_kind:     by_value
      - .offset:         72
        .size:           8
        .value_kind:     by_value
      - .offset:         80
        .size:           8
        .value_kind:     by_value
      - .offset:         88
        .size:           8
        .value_kind:     by_value
      - .offset:         96
        .size:           8
        .value_kind:     by_value
      - .address_space:  global
        .offset:         104
        .size:           8
        .value_kind:     global_buffer
      - .offset:         112
        .size:           4
        .value_kind:     by_value
      - .offset:         120
        .size:           4
        .value_kind:     hidden_block_count_x
      - .offset:         124
        .size:           4
        .value_kind:     hidden_block_count_y
      - .offset:         128
        .size:           4
        .value_kind:     hidden_block_count_z
      - .offset:         132
        .size:           2
        .value_kind:     hidden_group_size_x
      - .offset:         134
        .size:           2
        .value_kind:     hidden_group_size_y
      - .offset:         136
        .size:           2
        .value_kind:     hidden_group_size_z
      - .offset:         138
        .size:           2
        .value_kind:     hidden_remainder_x
      - .offset:         140
        .size:           2
        .value_kind:     hidden_remainder_y
      - .offset:         142
        .size:           2
        .value_kind:     hidden_remainder_z
      - .offset:         160
        .size:           8
        .value_kind:     hidden_global_offset_x
      - .offset:         168
        .size:           8
        .value_kind:     hidden_global_offset_y
      - .offset:         176
        .size:           8
        .value_kind:     hidden_global_offset_z
      - .offset:         184
        .size:           2
        .value_kind:     hidden_grid_dims
    .group_segment_fixed_size: 9600
    .kernarg_segment_align: 8
    .kernarg_segment_size: 376
    .language:       OpenCL C
    .language_version:
      - 2
      - 0
    .max_flat_workgroup_size: 256
    .name:           _ZL26rocblas_hemvn_kernel_lowerILb0ELi64ELi4ELi33ELi32ELi16EldPKPKdPdEviT6_lT7_lT5_lS6_lS7_lS5_lT8_i
    .private_segment_fixed_size: 0
    .sgpr_count:     106
    .sgpr_spill_count: 0
    .symbol:         _ZL26rocblas_hemvn_kernel_lowerILb0ELi64ELi4ELi33ELi32ELi16EldPKPKdPdEviT6_lT7_lT5_lS6_lS7_lS5_lT8_i.kd
    .uniform_work_group_size: 1
    .uses_dynamic_stack: false
    .vgpr_count:     138
    .vgpr_spill_count: 0
    .wavefront_size: 32
  - .args:
      - .offset:         0
        .size:           4
        .value_kind:     by_value
      - .offset:         8
        .size:           8
        .value_kind:     by_value
      - .offset:         16
        .size:           8
        .value_kind:     by_value
      - .offset:         24
        .size:           8
        .value_kind:     by_value
      - .offset:         32
        .size:           8
        .value_kind:     by_value
      - .actual_access:  read_only
        .address_space:  global
        .offset:         40
        .size:           8
        .value_kind:     global_buffer
      - .offset:         48
        .size:           8
        .value_kind:     by_value
      - .offset:         56
        .size:           8
        .value_kind:     by_value
      - .offset:         64
        .size:           8
        .value_kind:     by_value
      - .actual_access:  read_only
        .address_space:  global
        .offset:         72
        .size:           8
        .value_kind:     global_buffer
      - .offset:         80
        .size:           4
        .value_kind:     by_value
      - .offset:         88
        .size:           4
        .value_kind:     hidden_block_count_x
      - .offset:         92
        .size:           4
        .value_kind:     hidden_block_count_y
      - .offset:         96
        .size:           4
        .value_kind:     hidden_block_count_z
      - .offset:         100
        .size:           2
        .value_kind:     hidden_group_size_x
      - .offset:         102
        .size:           2
        .value_kind:     hidden_group_size_y
      - .offset:         104
        .size:           2
        .value_kind:     hidden_group_size_z
      - .offset:         106
        .size:           2
        .value_kind:     hidden_remainder_x
      - .offset:         108
        .size:           2
        .value_kind:     hidden_remainder_y
      - .offset:         110
        .size:           2
        .value_kind:     hidden_remainder_z
      - .offset:         128
        .size:           8
        .value_kind:     hidden_global_offset_x
      - .offset:         136
        .size:           8
        .value_kind:     hidden_global_offset_y
      - .offset:         144
        .size:           8
        .value_kind:     hidden_global_offset_z
      - .offset:         152
        .size:           2
        .value_kind:     hidden_grid_dims
    .group_segment_fixed_size: 0
    .kernarg_segment_align: 8
    .kernarg_segment_size: 344
    .language:       OpenCL C
    .language_version:
      - 2
      - 0
    .max_flat_workgroup_size: 64
    .name:           _ZL36rocblas_hemvn_kernel_lower_block_sumILi64EldPKPddEviT1_lS3_lT2_lT0_lPT3_i
    .private_segment_fixed_size: 0
    .sgpr_count:     32
    .sgpr_spill_count: 0
    .symbol:         _ZL36rocblas_hemvn_kernel_lower_block_sumILi64EldPKPddEviT1_lS3_lT2_lT0_lPT3_i.kd
    .uniform_work_group_size: 1
    .uses_dynamic_stack: false
    .vgpr_count:     10
    .vgpr_spill_count: 0
    .wavefront_size: 32
  - .args:
      - .offset:         0
        .size:           4
        .value_kind:     by_value
      - .offset:         8
        .size:           8
        .value_kind:     by_value
      - .offset:         16
        .size:           8
        .value_kind:     by_value
      - .address_space:  global
        .offset:         24
        .size:           8
        .value_kind:     global_buffer
      - .offset:         32
        .size:           8
        .value_kind:     by_value
      - .offset:         40
        .size:           4
        .value_kind:     by_value
      - .offset:         48
        .size:           8
        .value_kind:     by_value
      - .address_space:  global
        .offset:         56
        .size:           8
        .value_kind:     global_buffer
      - .offset:         64
        .size:           8
        .value_kind:     by_value
      - .offset:         72
        .size:           4
        .value_kind:     by_value
      - .offset:         80
        .size:           8
        .value_kind:     by_value
      - .offset:         88
        .size:           8
        .value_kind:     by_value
      - .offset:         96
        .size:           8
        .value_kind:     by_value
      - .address_space:  global
        .offset:         104
        .size:           8
        .value_kind:     global_buffer
      - .offset:         112
        .size:           4
        .value_kind:     by_value
      - .offset:         120
        .size:           4
        .value_kind:     hidden_block_count_x
      - .offset:         124
        .size:           4
        .value_kind:     hidden_block_count_y
      - .offset:         128
        .size:           4
        .value_kind:     hidden_block_count_z
      - .offset:         132
        .size:           2
        .value_kind:     hidden_group_size_x
      - .offset:         134
        .size:           2
        .value_kind:     hidden_group_size_y
      - .offset:         136
        .size:           2
        .value_kind:     hidden_group_size_z
      - .offset:         138
        .size:           2
        .value_kind:     hidden_remainder_x
      - .offset:         140
        .size:           2
        .value_kind:     hidden_remainder_y
      - .offset:         142
        .size:           2
        .value_kind:     hidden_remainder_z
      - .offset:         160
        .size:           8
        .value_kind:     hidden_global_offset_x
      - .offset:         168
        .size:           8
        .value_kind:     hidden_global_offset_y
      - .offset:         176
        .size:           8
        .value_kind:     hidden_global_offset_z
      - .offset:         184
        .size:           2
        .value_kind:     hidden_grid_dims
    .group_segment_fixed_size: 9600
    .kernarg_segment_align: 8
    .kernarg_segment_size: 376
    .language:       OpenCL C
    .language_version:
      - 2
      - 0
    .max_flat_workgroup_size: 256
    .name:           _ZL26rocblas_hemvn_kernel_lowerILb0ELi64ELi4ELi33ELi32ELi16EidPKPKdPdEviT6_lT7_lT5_lS6_lS7_lS5_lT8_i
    .private_segment_fixed_size: 0
    .sgpr_count:     107
    .sgpr_spill_count: 0
    .symbol:         _ZL26rocblas_hemvn_kernel_lowerILb0ELi64ELi4ELi33ELi32ELi16EidPKPKdPdEviT6_lT7_lT5_lS6_lS7_lS5_lT8_i.kd
    .uniform_work_group_size: 1
    .uses_dynamic_stack: false
    .vgpr_count:     142
    .vgpr_spill_count: 0
    .wavefront_size: 32
  - .args:
      - .offset:         0
        .size:           4
        .value_kind:     by_value
      - .offset:         8
        .size:           8
        .value_kind:     by_value
      - .offset:         16
        .size:           8
        .value_kind:     by_value
      - .offset:         24
        .size:           8
        .value_kind:     by_value
      - .offset:         32
        .size:           8
        .value_kind:     by_value
      - .actual_access:  read_only
        .address_space:  global
        .offset:         40
        .size:           8
        .value_kind:     global_buffer
      - .offset:         48
        .size:           8
        .value_kind:     by_value
      - .offset:         56
        .size:           4
        .value_kind:     by_value
      - .offset:         64
        .size:           8
        .value_kind:     by_value
      - .actual_access:  read_only
        .address_space:  global
        .offset:         72
        .size:           8
        .value_kind:     global_buffer
      - .offset:         80
        .size:           4
        .value_kind:     by_value
      - .offset:         88
        .size:           4
        .value_kind:     hidden_block_count_x
      - .offset:         92
        .size:           4
        .value_kind:     hidden_block_count_y
      - .offset:         96
        .size:           4
        .value_kind:     hidden_block_count_z
      - .offset:         100
        .size:           2
        .value_kind:     hidden_group_size_x
      - .offset:         102
        .size:           2
        .value_kind:     hidden_group_size_y
      - .offset:         104
        .size:           2
        .value_kind:     hidden_group_size_z
      - .offset:         106
        .size:           2
        .value_kind:     hidden_remainder_x
      - .offset:         108
        .size:           2
        .value_kind:     hidden_remainder_y
      - .offset:         110
        .size:           2
        .value_kind:     hidden_remainder_z
      - .offset:         128
        .size:           8
        .value_kind:     hidden_global_offset_x
      - .offset:         136
        .size:           8
        .value_kind:     hidden_global_offset_y
      - .offset:         144
        .size:           8
        .value_kind:     hidden_global_offset_z
      - .offset:         152
        .size:           2
        .value_kind:     hidden_grid_dims
    .group_segment_fixed_size: 0
    .kernarg_segment_align: 8
    .kernarg_segment_size: 344
    .language:       OpenCL C
    .language_version:
      - 2
      - 0
    .max_flat_workgroup_size: 64
    .name:           _ZL36rocblas_hemvn_kernel_lower_block_sumILi64EidPKPddEviT1_lS3_lT2_lT0_lPT3_i
    .private_segment_fixed_size: 0
    .sgpr_count:     32
    .sgpr_spill_count: 0
    .symbol:         _ZL36rocblas_hemvn_kernel_lower_block_sumILi64EidPKPddEviT1_lS3_lT2_lT0_lPT3_i.kd
    .uniform_work_group_size: 1
    .uses_dynamic_stack: false
    .vgpr_count:     10
    .vgpr_spill_count: 0
    .wavefront_size: 32
  - .args:
      - .offset:         0
        .size:           4
        .value_kind:     by_value
      - .address_space:  global
        .offset:         8
        .size:           8
        .value_kind:     global_buffer
      - .offset:         16
        .size:           8
        .value_kind:     by_value
      - .address_space:  global
        .offset:         24
        .size:           8
        .value_kind:     global_buffer
      - .offset:         32
        .size:           8
        .value_kind:     by_value
      - .offset:         40
        .size:           8
        .value_kind:     by_value
      - .offset:         48
        .size:           8
        .value_kind:     by_value
      - .address_space:  global
        .offset:         56
        .size:           8
        .value_kind:     global_buffer
      - .offset:         64
        .size:           8
        .value_kind:     by_value
      - .offset:         72
        .size:           8
        .value_kind:     by_value
      - .offset:         80
        .size:           8
        .value_kind:     by_value
      - .address_space:  global
        .offset:         88
        .size:           8
        .value_kind:     global_buffer
      - .offset:         96
        .size:           8
        .value_kind:     by_value
      - .address_space:  global
        .offset:         104
        .size:           8
        .value_kind:     global_buffer
      - .offset:         112
        .size:           4
        .value_kind:     by_value
      - .offset:         120
        .size:           4
        .value_kind:     hidden_block_count_x
      - .offset:         124
        .size:           4
        .value_kind:     hidden_block_count_y
      - .offset:         128
        .size:           4
        .value_kind:     hidden_block_count_z
      - .offset:         132
        .size:           2
        .value_kind:     hidden_group_size_x
      - .offset:         134
        .size:           2
        .value_kind:     hidden_group_size_y
      - .offset:         136
        .size:           2
        .value_kind:     hidden_group_size_z
      - .offset:         138
        .size:           2
        .value_kind:     hidden_remainder_x
      - .offset:         140
        .size:           2
        .value_kind:     hidden_remainder_y
      - .offset:         142
        .size:           2
        .value_kind:     hidden_remainder_z
      - .offset:         160
        .size:           8
        .value_kind:     hidden_global_offset_x
      - .offset:         168
        .size:           8
        .value_kind:     hidden_global_offset_y
      - .offset:         176
        .size:           8
        .value_kind:     hidden_global_offset_z
      - .offset:         184
        .size:           2
        .value_kind:     hidden_grid_dims
    .group_segment_fixed_size: 9600
    .kernarg_segment_align: 8
    .kernarg_segment_size: 376
    .language:       OpenCL C
    .language_version:
      - 2
      - 0
    .max_flat_workgroup_size: 256
    .name:           _ZL26rocblas_hemvn_kernel_upperILb0ELi64ELi4ELi33ELi32ELi16ElPK19rocblas_complex_numIfEPKS3_PS1_EviT6_lT7_lT5_lS8_lS9_lS7_lT8_i
    .private_segment_fixed_size: 0
    .sgpr_count:     88
    .sgpr_spill_count: 0
    .symbol:         _ZL26rocblas_hemvn_kernel_upperILb0ELi64ELi4ELi33ELi32ELi16ElPK19rocblas_complex_numIfEPKS3_PS1_EviT6_lT7_lT5_lS8_lS9_lS7_lT8_i.kd
    .uniform_work_group_size: 1
    .uses_dynamic_stack: false
    .vgpr_count:     222
    .vgpr_spill_count: 0
    .wavefront_size: 32
  - .args:
      - .offset:         0
        .size:           4
        .value_kind:     by_value
      - .address_space:  global
        .offset:         8
        .size:           8
        .value_kind:     global_buffer
      - .offset:         16
        .size:           8
        .value_kind:     by_value
      - .address_space:  global
        .offset:         24
        .size:           8
        .value_kind:     global_buffer
      - .offset:         32
        .size:           8
        .value_kind:     by_value
      - .offset:         40
        .size:           4
        .value_kind:     by_value
      - .offset:         48
        .size:           8
        .value_kind:     by_value
      - .address_space:  global
        .offset:         56
        .size:           8
        .value_kind:     global_buffer
      - .offset:         64
        .size:           8
        .value_kind:     by_value
      - .offset:         72
        .size:           4
        .value_kind:     by_value
      - .offset:         80
        .size:           8
        .value_kind:     by_value
      - .address_space:  global
        .offset:         88
        .size:           8
        .value_kind:     global_buffer
      - .offset:         96
        .size:           8
        .value_kind:     by_value
      - .address_space:  global
        .offset:         104
        .size:           8
        .value_kind:     global_buffer
      - .offset:         112
        .size:           4
        .value_kind:     by_value
      - .offset:         120
        .size:           4
        .value_kind:     hidden_block_count_x
      - .offset:         124
        .size:           4
        .value_kind:     hidden_block_count_y
      - .offset:         128
        .size:           4
        .value_kind:     hidden_block_count_z
      - .offset:         132
        .size:           2
        .value_kind:     hidden_group_size_x
      - .offset:         134
        .size:           2
        .value_kind:     hidden_group_size_y
      - .offset:         136
        .size:           2
        .value_kind:     hidden_group_size_z
      - .offset:         138
        .size:           2
        .value_kind:     hidden_remainder_x
      - .offset:         140
        .size:           2
        .value_kind:     hidden_remainder_y
      - .offset:         142
        .size:           2
        .value_kind:     hidden_remainder_z
      - .offset:         160
        .size:           8
        .value_kind:     hidden_global_offset_x
      - .offset:         168
        .size:           8
        .value_kind:     hidden_global_offset_y
      - .offset:         176
        .size:           8
        .value_kind:     hidden_global_offset_z
      - .offset:         184
        .size:           2
        .value_kind:     hidden_grid_dims
    .group_segment_fixed_size: 9600
    .kernarg_segment_align: 8
    .kernarg_segment_size: 376
    .language:       OpenCL C
    .language_version:
      - 2
      - 0
    .max_flat_workgroup_size: 256
    .name:           _ZL26rocblas_hemvn_kernel_upperILb0ELi64ELi4ELi33ELi32ELi16EiPK19rocblas_complex_numIfEPKS3_PS1_EviT6_lT7_lT5_lS8_lS9_lS7_lT8_i
    .private_segment_fixed_size: 0
    .sgpr_count:     96
    .sgpr_spill_count: 0
    .symbol:         _ZL26rocblas_hemvn_kernel_upperILb0ELi64ELi4ELi33ELi32ELi16EiPK19rocblas_complex_numIfEPKS3_PS1_EviT6_lT7_lT5_lS8_lS9_lS7_lT8_i.kd
    .uniform_work_group_size: 1
    .uses_dynamic_stack: false
    .vgpr_count:     240
    .vgpr_spill_count: 0
    .wavefront_size: 32
  - .args:
      - .offset:         0
        .size:           4
        .value_kind:     by_value
      - .offset:         4
        .size:           8
        .value_kind:     by_value
      - .offset:         16
        .size:           8
        .value_kind:     by_value
      - .address_space:  global
        .offset:         24
        .size:           8
        .value_kind:     global_buffer
      - .offset:         32
        .size:           8
        .value_kind:     by_value
      - .offset:         40
        .size:           8
        .value_kind:     by_value
      - .offset:         48
        .size:           8
        .value_kind:     by_value
      - .address_space:  global
        .offset:         56
        .size:           8
        .value_kind:     global_buffer
      - .offset:         64
        .size:           8
        .value_kind:     by_value
      - .offset:         72
        .size:           8
        .value_kind:     by_value
      - .offset:         80
        .size:           8
        .value_kind:     by_value
      - .offset:         88
        .size:           8
        .value_kind:     by_value
      - .offset:         96
        .size:           8
        .value_kind:     by_value
      - .address_space:  global
        .offset:         104
        .size:           8
        .value_kind:     global_buffer
      - .offset:         112
        .size:           4
        .value_kind:     by_value
      - .offset:         120
        .size:           4
        .value_kind:     hidden_block_count_x
      - .offset:         124
        .size:           4
        .value_kind:     hidden_block_count_y
      - .offset:         128
        .size:           4
        .value_kind:     hidden_block_count_z
      - .offset:         132
        .size:           2
        .value_kind:     hidden_group_size_x
      - .offset:         134
        .size:           2
        .value_kind:     hidden_group_size_y
      - .offset:         136
        .size:           2
        .value_kind:     hidden_group_size_z
      - .offset:         138
        .size:           2
        .value_kind:     hidden_remainder_x
      - .offset:         140
        .size:           2
        .value_kind:     hidden_remainder_y
      - .offset:         142
        .size:           2
        .value_kind:     hidden_remainder_z
      - .offset:         160
        .size:           8
        .value_kind:     hidden_global_offset_x
      - .offset:         168
        .size:           8
        .value_kind:     hidden_global_offset_y
      - .offset:         176
        .size:           8
        .value_kind:     hidden_global_offset_z
      - .offset:         184
        .size:           2
        .value_kind:     hidden_grid_dims
    .group_segment_fixed_size: 9600
    .kernarg_segment_align: 8
    .kernarg_segment_size: 376
    .language:       OpenCL C
    .language_version:
      - 2
      - 0
    .max_flat_workgroup_size: 256
    .name:           _ZL26rocblas_hemvn_kernel_upperILb0ELi64ELi4ELi33ELi32ELi16El19rocblas_complex_numIfEPKPKS1_PS1_EviT6_lT7_lT5_lS8_lS9_lS7_lT8_i
    .private_segment_fixed_size: 0
    .sgpr_count:     82
    .sgpr_spill_count: 0
    .symbol:         _ZL26rocblas_hemvn_kernel_upperILb0ELi64ELi4ELi33ELi32ELi16El19rocblas_complex_numIfEPKPKS1_PS1_EviT6_lT7_lT5_lS8_lS9_lS7_lT8_i.kd
    .uniform_work_group_size: 1
    .uses_dynamic_stack: false
    .vgpr_count:     222
    .vgpr_spill_count: 0
    .wavefront_size: 32
  - .args:
      - .offset:         0
        .size:           4
        .value_kind:     by_value
      - .offset:         4
        .size:           8
        .value_kind:     by_value
      - .offset:         16
        .size:           8
        .value_kind:     by_value
      - .address_space:  global
        .offset:         24
        .size:           8
        .value_kind:     global_buffer
      - .offset:         32
        .size:           8
        .value_kind:     by_value
      - .offset:         40
        .size:           4
        .value_kind:     by_value
      - .offset:         48
        .size:           8
        .value_kind:     by_value
      - .address_space:  global
        .offset:         56
        .size:           8
        .value_kind:     global_buffer
      - .offset:         64
        .size:           8
        .value_kind:     by_value
      - .offset:         72
        .size:           4
        .value_kind:     by_value
      - .offset:         80
        .size:           8
        .value_kind:     by_value
      - .offset:         88
        .size:           8
        .value_kind:     by_value
      - .offset:         96
        .size:           8
        .value_kind:     by_value
      - .address_space:  global
        .offset:         104
        .size:           8
        .value_kind:     global_buffer
      - .offset:         112
        .size:           4
        .value_kind:     by_value
      - .offset:         120
        .size:           4
        .value_kind:     hidden_block_count_x
      - .offset:         124
        .size:           4
        .value_kind:     hidden_block_count_y
      - .offset:         128
        .size:           4
        .value_kind:     hidden_block_count_z
      - .offset:         132
        .size:           2
        .value_kind:     hidden_group_size_x
      - .offset:         134
        .size:           2
        .value_kind:     hidden_group_size_y
      - .offset:         136
        .size:           2
        .value_kind:     hidden_group_size_z
      - .offset:         138
        .size:           2
        .value_kind:     hidden_remainder_x
      - .offset:         140
        .size:           2
        .value_kind:     hidden_remainder_y
      - .offset:         142
        .size:           2
        .value_kind:     hidden_remainder_z
      - .offset:         160
        .size:           8
        .value_kind:     hidden_global_offset_x
      - .offset:         168
        .size:           8
        .value_kind:     hidden_global_offset_y
      - .offset:         176
        .size:           8
        .value_kind:     hidden_global_offset_z
      - .offset:         184
        .size:           2
        .value_kind:     hidden_grid_dims
    .group_segment_fixed_size: 9600
    .kernarg_segment_align: 8
    .kernarg_segment_size: 376
    .language:       OpenCL C
    .language_version:
      - 2
      - 0
    .max_flat_workgroup_size: 256
    .name:           _ZL26rocblas_hemvn_kernel_upperILb0ELi64ELi4ELi33ELi32ELi16Ei19rocblas_complex_numIfEPKPKS1_PS1_EviT6_lT7_lT5_lS8_lS9_lS7_lT8_i
    .private_segment_fixed_size: 0
    .sgpr_count:     92
    .sgpr_spill_count: 0
    .symbol:         _ZL26rocblas_hemvn_kernel_upperILb0ELi64ELi4ELi33ELi32ELi16Ei19rocblas_complex_numIfEPKPKS1_PS1_EviT6_lT7_lT5_lS8_lS9_lS7_lT8_i.kd
    .uniform_work_group_size: 1
    .uses_dynamic_stack: false
    .vgpr_count:     242
    .vgpr_spill_count: 0
    .wavefront_size: 32
  - .args:
      - .offset:         0
        .size:           4
        .value_kind:     by_value
      - .address_space:  global
        .offset:         8
        .size:           8
        .value_kind:     global_buffer
      - .offset:         16
        .size:           8
        .value_kind:     by_value
      - .address_space:  global
        .offset:         24
        .size:           8
        .value_kind:     global_buffer
      - .offset:         32
        .size:           8
        .value_kind:     by_value
      - .offset:         40
        .size:           8
        .value_kind:     by_value
      - .offset:         48
        .size:           8
        .value_kind:     by_value
      - .address_space:  global
        .offset:         56
        .size:           8
        .value_kind:     global_buffer
      - .offset:         64
        .size:           8
        .value_kind:     by_value
      - .offset:         72
        .size:           8
        .value_kind:     by_value
      - .offset:         80
        .size:           8
        .value_kind:     by_value
      - .address_space:  global
        .offset:         88
        .size:           8
        .value_kind:     global_buffer
      - .offset:         96
        .size:           8
        .value_kind:     by_value
      - .address_space:  global
        .offset:         104
        .size:           8
        .value_kind:     global_buffer
      - .offset:         112
        .size:           4
        .value_kind:     by_value
      - .offset:         120
        .size:           4
        .value_kind:     hidden_block_count_x
      - .offset:         124
        .size:           4
        .value_kind:     hidden_block_count_y
      - .offset:         128
        .size:           4
        .value_kind:     hidden_block_count_z
      - .offset:         132
        .size:           2
        .value_kind:     hidden_group_size_x
      - .offset:         134
        .size:           2
        .value_kind:     hidden_group_size_y
      - .offset:         136
        .size:           2
        .value_kind:     hidden_group_size_z
      - .offset:         138
        .size:           2
        .value_kind:     hidden_remainder_x
      - .offset:         140
        .size:           2
        .value_kind:     hidden_remainder_y
      - .offset:         142
        .size:           2
        .value_kind:     hidden_remainder_z
      - .offset:         160
        .size:           8
        .value_kind:     hidden_global_offset_x
      - .offset:         168
        .size:           8
        .value_kind:     hidden_global_offset_y
      - .offset:         176
        .size:           8
        .value_kind:     hidden_global_offset_z
      - .offset:         184
        .size:           2
        .value_kind:     hidden_grid_dims
    .group_segment_fixed_size: 9600
    .kernarg_segment_align: 8
    .kernarg_segment_size: 376
    .language:       OpenCL C
    .language_version:
      - 2
      - 0
    .max_flat_workgroup_size: 256
    .name:           _ZL26rocblas_hemvn_kernel_lowerILb0ELi64ELi4ELi33ELi32ELi16ElPK19rocblas_complex_numIfEPKS3_PS1_EviT6_lT7_lT5_lS8_lS9_lS7_lT8_i
    .private_segment_fixed_size: 0
    .sgpr_count:     107
    .sgpr_spill_count: 3
    .symbol:         _ZL26rocblas_hemvn_kernel_lowerILb0ELi64ELi4ELi33ELi32ELi16ElPK19rocblas_complex_numIfEPKS3_PS1_EviT6_lT7_lT5_lS8_lS9_lS7_lT8_i.kd
    .uniform_work_group_size: 1
    .uses_dynamic_stack: false
    .vgpr_count:     127
    .vgpr_spill_count: 0
    .wavefront_size: 32
  - .args:
      - .offset:         0
        .size:           4
        .value_kind:     by_value
      - .address_space:  global
        .offset:         8
        .size:           8
        .value_kind:     global_buffer
      - .offset:         16
        .size:           8
        .value_kind:     by_value
      - .address_space:  global
        .offset:         24
        .size:           8
        .value_kind:     global_buffer
      - .offset:         32
        .size:           8
        .value_kind:     by_value
      - .offset:         40
        .size:           4
        .value_kind:     by_value
      - .offset:         48
        .size:           8
        .value_kind:     by_value
      - .address_space:  global
        .offset:         56
        .size:           8
        .value_kind:     global_buffer
      - .offset:         64
        .size:           8
        .value_kind:     by_value
      - .offset:         72
        .size:           4
        .value_kind:     by_value
      - .offset:         80
        .size:           8
        .value_kind:     by_value
      - .address_space:  global
        .offset:         88
        .size:           8
        .value_kind:     global_buffer
      - .offset:         96
        .size:           8
        .value_kind:     by_value
      - .address_space:  global
        .offset:         104
        .size:           8
        .value_kind:     global_buffer
      - .offset:         112
        .size:           4
        .value_kind:     by_value
      - .offset:         120
        .size:           4
        .value_kind:     hidden_block_count_x
      - .offset:         124
        .size:           4
        .value_kind:     hidden_block_count_y
      - .offset:         128
        .size:           4
        .value_kind:     hidden_block_count_z
      - .offset:         132
        .size:           2
        .value_kind:     hidden_group_size_x
      - .offset:         134
        .size:           2
        .value_kind:     hidden_group_size_y
      - .offset:         136
        .size:           2
        .value_kind:     hidden_group_size_z
      - .offset:         138
        .size:           2
        .value_kind:     hidden_remainder_x
      - .offset:         140
        .size:           2
        .value_kind:     hidden_remainder_y
      - .offset:         142
        .size:           2
        .value_kind:     hidden_remainder_z
      - .offset:         160
        .size:           8
        .value_kind:     hidden_global_offset_x
      - .offset:         168
        .size:           8
        .value_kind:     hidden_global_offset_y
      - .offset:         176
        .size:           8
        .value_kind:     hidden_global_offset_z
      - .offset:         184
        .size:           2
        .value_kind:     hidden_grid_dims
    .group_segment_fixed_size: 9600
    .kernarg_segment_align: 8
    .kernarg_segment_size: 376
    .language:       OpenCL C
    .language_version:
      - 2
      - 0
    .max_flat_workgroup_size: 256
    .name:           _ZL26rocblas_hemvn_kernel_lowerILb0ELi64ELi4ELi33ELi32ELi16EiPK19rocblas_complex_numIfEPKS3_PS1_EviT6_lT7_lT5_lS8_lS9_lS7_lT8_i
    .private_segment_fixed_size: 0
    .sgpr_count:     107
    .sgpr_spill_count: 4
    .symbol:         _ZL26rocblas_hemvn_kernel_lowerILb0ELi64ELi4ELi33ELi32ELi16EiPK19rocblas_complex_numIfEPKS3_PS1_EviT6_lT7_lT5_lS8_lS9_lS7_lT8_i.kd
    .uniform_work_group_size: 1
    .uses_dynamic_stack: false
    .vgpr_count:     137
    .vgpr_spill_count: 0
    .wavefront_size: 32
  - .args:
      - .offset:         0
        .size:           4
        .value_kind:     by_value
      - .offset:         4
        .size:           8
        .value_kind:     by_value
      - .offset:         16
        .size:           8
        .value_kind:     by_value
      - .address_space:  global
        .offset:         24
        .size:           8
        .value_kind:     global_buffer
      - .offset:         32
        .size:           8
        .value_kind:     by_value
      - .offset:         40
        .size:           8
        .value_kind:     by_value
      - .offset:         48
        .size:           8
        .value_kind:     by_value
      - .address_space:  global
        .offset:         56
        .size:           8
        .value_kind:     global_buffer
      - .offset:         64
        .size:           8
        .value_kind:     by_value
      - .offset:         72
        .size:           8
        .value_kind:     by_value
      - .offset:         80
        .size:           8
        .value_kind:     by_value
      - .offset:         88
        .size:           8
        .value_kind:     by_value
      - .offset:         96
        .size:           8
        .value_kind:     by_value
      - .address_space:  global
        .offset:         104
        .size:           8
        .value_kind:     global_buffer
      - .offset:         112
        .size:           4
        .value_kind:     by_value
      - .offset:         120
        .size:           4
        .value_kind:     hidden_block_count_x
      - .offset:         124
        .size:           4
        .value_kind:     hidden_block_count_y
      - .offset:         128
        .size:           4
        .value_kind:     hidden_block_count_z
      - .offset:         132
        .size:           2
        .value_kind:     hidden_group_size_x
      - .offset:         134
        .size:           2
        .value_kind:     hidden_group_size_y
      - .offset:         136
        .size:           2
        .value_kind:     hidden_group_size_z
      - .offset:         138
        .size:           2
        .value_kind:     hidden_remainder_x
      - .offset:         140
        .size:           2
        .value_kind:     hidden_remainder_y
      - .offset:         142
        .size:           2
        .value_kind:     hidden_remainder_z
      - .offset:         160
        .size:           8
        .value_kind:     hidden_global_offset_x
      - .offset:         168
        .size:           8
        .value_kind:     hidden_global_offset_y
      - .offset:         176
        .size:           8
        .value_kind:     hidden_global_offset_z
      - .offset:         184
        .size:           2
        .value_kind:     hidden_grid_dims
    .group_segment_fixed_size: 9600
    .kernarg_segment_align: 8
    .kernarg_segment_size: 376
    .language:       OpenCL C
    .language_version:
      - 2
      - 0
    .max_flat_workgroup_size: 256
    .name:           _ZL26rocblas_hemvn_kernel_lowerILb0ELi64ELi4ELi33ELi32ELi16El19rocblas_complex_numIfEPKPKS1_PS1_EviT6_lT7_lT5_lS8_lS9_lS7_lT8_i
    .private_segment_fixed_size: 0
    .sgpr_count:     106
    .sgpr_spill_count: 0
    .symbol:         _ZL26rocblas_hemvn_kernel_lowerILb0ELi64ELi4ELi33ELi32ELi16El19rocblas_complex_numIfEPKPKS1_PS1_EviT6_lT7_lT5_lS8_lS9_lS7_lT8_i.kd
    .uniform_work_group_size: 1
    .uses_dynamic_stack: false
    .vgpr_count:     140
    .vgpr_spill_count: 0
    .wavefront_size: 32
  - .args:
      - .offset:         0
        .size:           4
        .value_kind:     by_value
      - .offset:         4
        .size:           8
        .value_kind:     by_value
      - .offset:         16
        .size:           8
        .value_kind:     by_value
      - .address_space:  global
        .offset:         24
        .size:           8
        .value_kind:     global_buffer
      - .offset:         32
        .size:           8
        .value_kind:     by_value
      - .offset:         40
        .size:           4
        .value_kind:     by_value
      - .offset:         48
        .size:           8
        .value_kind:     by_value
      - .address_space:  global
        .offset:         56
        .size:           8
        .value_kind:     global_buffer
      - .offset:         64
        .size:           8
        .value_kind:     by_value
      - .offset:         72
        .size:           4
        .value_kind:     by_value
      - .offset:         80
        .size:           8
        .value_kind:     by_value
      - .offset:         88
        .size:           8
        .value_kind:     by_value
      - .offset:         96
        .size:           8
        .value_kind:     by_value
      - .address_space:  global
        .offset:         104
        .size:           8
        .value_kind:     global_buffer
      - .offset:         112
        .size:           4
        .value_kind:     by_value
      - .offset:         120
        .size:           4
        .value_kind:     hidden_block_count_x
      - .offset:         124
        .size:           4
        .value_kind:     hidden_block_count_y
      - .offset:         128
        .size:           4
        .value_kind:     hidden_block_count_z
      - .offset:         132
        .size:           2
        .value_kind:     hidden_group_size_x
      - .offset:         134
        .size:           2
        .value_kind:     hidden_group_size_y
      - .offset:         136
        .size:           2
        .value_kind:     hidden_group_size_z
      - .offset:         138
        .size:           2
        .value_kind:     hidden_remainder_x
      - .offset:         140
        .size:           2
        .value_kind:     hidden_remainder_y
      - .offset:         142
        .size:           2
        .value_kind:     hidden_remainder_z
      - .offset:         160
        .size:           8
        .value_kind:     hidden_global_offset_x
      - .offset:         168
        .size:           8
        .value_kind:     hidden_global_offset_y
      - .offset:         176
        .size:           8
        .value_kind:     hidden_global_offset_z
      - .offset:         184
        .size:           2
        .value_kind:     hidden_grid_dims
    .group_segment_fixed_size: 9600
    .kernarg_segment_align: 8
    .kernarg_segment_size: 376
    .language:       OpenCL C
    .language_version:
      - 2
      - 0
    .max_flat_workgroup_size: 256
    .name:           _ZL26rocblas_hemvn_kernel_lowerILb0ELi64ELi4ELi33ELi32ELi16Ei19rocblas_complex_numIfEPKPKS1_PS1_EviT6_lT7_lT5_lS8_lS9_lS7_lT8_i
    .private_segment_fixed_size: 0
    .sgpr_count:     107
    .sgpr_spill_count: 0
    .symbol:         _ZL26rocblas_hemvn_kernel_lowerILb0ELi64ELi4ELi33ELi32ELi16Ei19rocblas_complex_numIfEPKPKS1_PS1_EviT6_lT7_lT5_lS8_lS9_lS7_lT8_i.kd
    .uniform_work_group_size: 1
    .uses_dynamic_stack: false
    .vgpr_count:     126
    .vgpr_spill_count: 0
    .wavefront_size: 32
  - .args:
      - .offset:         0
        .size:           4
        .value_kind:     by_value
      - .address_space:  global
        .offset:         8
        .size:           8
        .value_kind:     global_buffer
      - .offset:         16
        .size:           8
        .value_kind:     by_value
      - .address_space:  global
        .offset:         24
        .size:           8
        .value_kind:     global_buffer
      - .offset:         32
        .size:           8
        .value_kind:     by_value
      - .offset:         40
        .size:           8
        .value_kind:     by_value
      - .offset:         48
        .size:           8
        .value_kind:     by_value
      - .address_space:  global
        .offset:         56
        .size:           8
        .value_kind:     global_buffer
      - .offset:         64
        .size:           8
        .value_kind:     by_value
      - .offset:         72
        .size:           8
        .value_kind:     by_value
      - .offset:         80
        .size:           8
        .value_kind:     by_value
      - .address_space:  global
        .offset:         88
        .size:           8
        .value_kind:     global_buffer
      - .offset:         96
        .size:           8
        .value_kind:     by_value
      - .address_space:  global
        .offset:         104
        .size:           8
        .value_kind:     global_buffer
      - .offset:         112
        .size:           4
        .value_kind:     by_value
      - .offset:         120
        .size:           4
        .value_kind:     hidden_block_count_x
      - .offset:         124
        .size:           4
        .value_kind:     hidden_block_count_y
      - .offset:         128
        .size:           4
        .value_kind:     hidden_block_count_z
      - .offset:         132
        .size:           2
        .value_kind:     hidden_group_size_x
      - .offset:         134
        .size:           2
        .value_kind:     hidden_group_size_y
      - .offset:         136
        .size:           2
        .value_kind:     hidden_group_size_z
      - .offset:         138
        .size:           2
        .value_kind:     hidden_remainder_x
      - .offset:         140
        .size:           2
        .value_kind:     hidden_remainder_y
      - .offset:         142
        .size:           2
        .value_kind:     hidden_remainder_z
      - .offset:         160
        .size:           8
        .value_kind:     hidden_global_offset_x
      - .offset:         168
        .size:           8
        .value_kind:     hidden_global_offset_y
      - .offset:         176
        .size:           8
        .value_kind:     hidden_global_offset_z
      - .offset:         184
        .size:           2
        .value_kind:     hidden_grid_dims
    .group_segment_fixed_size: 19200
    .kernarg_segment_align: 8
    .kernarg_segment_size: 376
    .language:       OpenCL C
    .language_version:
      - 2
      - 0
    .max_flat_workgroup_size: 256
    .name:           _ZL26rocblas_hemvn_kernel_upperILb0ELi64ELi4ELi33ELi32ELi16ElPK19rocblas_complex_numIdEPKS3_PS1_EviT6_lT7_lT5_lS8_lS9_lS7_lT8_i
    .private_segment_fixed_size: 0
    .sgpr_count:     88
    .sgpr_spill_count: 0
    .symbol:         _ZL26rocblas_hemvn_kernel_upperILb0ELi64ELi4ELi33ELi32ELi16ElPK19rocblas_complex_numIdEPKS3_PS1_EviT6_lT7_lT5_lS8_lS9_lS7_lT8_i.kd
    .uniform_work_group_size: 1
    .uses_dynamic_stack: false
    .vgpr_count:     326
    .vgpr_spill_count: 0
    .wavefront_size: 32
  - .args:
      - .offset:         0
        .size:           4
        .value_kind:     by_value
      - .address_space:  global
        .offset:         8
        .size:           8
        .value_kind:     global_buffer
      - .offset:         16
        .size:           8
        .value_kind:     by_value
      - .address_space:  global
        .offset:         24
        .size:           8
        .value_kind:     global_buffer
      - .offset:         32
        .size:           8
        .value_kind:     by_value
      - .offset:         40
        .size:           4
        .value_kind:     by_value
      - .offset:         48
        .size:           8
        .value_kind:     by_value
      - .address_space:  global
        .offset:         56
        .size:           8
        .value_kind:     global_buffer
      - .offset:         64
        .size:           8
        .value_kind:     by_value
      - .offset:         72
        .size:           4
        .value_kind:     by_value
      - .offset:         80
        .size:           8
        .value_kind:     by_value
      - .address_space:  global
        .offset:         88
        .size:           8
        .value_kind:     global_buffer
      - .offset:         96
        .size:           8
        .value_kind:     by_value
      - .address_space:  global
        .offset:         104
        .size:           8
        .value_kind:     global_buffer
      - .offset:         112
        .size:           4
        .value_kind:     by_value
      - .offset:         120
        .size:           4
        .value_kind:     hidden_block_count_x
      - .offset:         124
        .size:           4
        .value_kind:     hidden_block_count_y
      - .offset:         128
        .size:           4
        .value_kind:     hidden_block_count_z
      - .offset:         132
        .size:           2
        .value_kind:     hidden_group_size_x
      - .offset:         134
        .size:           2
        .value_kind:     hidden_group_size_y
      - .offset:         136
        .size:           2
        .value_kind:     hidden_group_size_z
      - .offset:         138
        .size:           2
        .value_kind:     hidden_remainder_x
      - .offset:         140
        .size:           2
        .value_kind:     hidden_remainder_y
      - .offset:         142
        .size:           2
        .value_kind:     hidden_remainder_z
      - .offset:         160
        .size:           8
        .value_kind:     hidden_global_offset_x
      - .offset:         168
        .size:           8
        .value_kind:     hidden_global_offset_y
      - .offset:         176
        .size:           8
        .value_kind:     hidden_global_offset_z
      - .offset:         184
        .size:           2
        .value_kind:     hidden_grid_dims
    .group_segment_fixed_size: 19200
    .kernarg_segment_align: 8
    .kernarg_segment_size: 376
    .language:       OpenCL C
    .language_version:
      - 2
      - 0
    .max_flat_workgroup_size: 256
    .name:           _ZL26rocblas_hemvn_kernel_upperILb0ELi64ELi4ELi33ELi32ELi16EiPK19rocblas_complex_numIdEPKS3_PS1_EviT6_lT7_lT5_lS8_lS9_lS7_lT8_i
    .private_segment_fixed_size: 0
    .sgpr_count:     102
    .sgpr_spill_count: 0
    .symbol:         _ZL26rocblas_hemvn_kernel_upperILb0ELi64ELi4ELi33ELi32ELi16EiPK19rocblas_complex_numIdEPKS3_PS1_EviT6_lT7_lT5_lS8_lS9_lS7_lT8_i.kd
    .uniform_work_group_size: 1
    .uses_dynamic_stack: false
    .vgpr_count:     311
    .vgpr_spill_count: 0
    .wavefront_size: 32
  - .args:
      - .offset:         0
        .size:           4
        .value_kind:     by_value
      - .offset:         8
        .size:           16
        .value_kind:     by_value
      - .offset:         24
        .size:           8
        .value_kind:     by_value
      - .address_space:  global
        .offset:         32
        .size:           8
        .value_kind:     global_buffer
      - .offset:         40
        .size:           8
        .value_kind:     by_value
      - .offset:         48
        .size:           8
        .value_kind:     by_value
      - .offset:         56
        .size:           8
        .value_kind:     by_value
      - .address_space:  global
        .offset:         64
        .size:           8
        .value_kind:     global_buffer
      - .offset:         72
        .size:           8
        .value_kind:     by_value
      - .offset:         80
        .size:           8
        .value_kind:     by_value
      - .offset:         88
        .size:           8
        .value_kind:     by_value
      - .offset:         96
        .size:           16
        .value_kind:     by_value
      - .offset:         112
        .size:           8
        .value_kind:     by_value
      - .address_space:  global
        .offset:         120
        .size:           8
        .value_kind:     global_buffer
      - .offset:         128
        .size:           4
        .value_kind:     by_value
      - .offset:         136
        .size:           4
        .value_kind:     hidden_block_count_x
      - .offset:         140
        .size:           4
        .value_kind:     hidden_block_count_y
      - .offset:         144
        .size:           4
        .value_kind:     hidden_block_count_z
      - .offset:         148
        .size:           2
        .value_kind:     hidden_group_size_x
      - .offset:         150
        .size:           2
        .value_kind:     hidden_group_size_y
      - .offset:         152
        .size:           2
        .value_kind:     hidden_group_size_z
      - .offset:         154
        .size:           2
        .value_kind:     hidden_remainder_x
      - .offset:         156
        .size:           2
        .value_kind:     hidden_remainder_y
      - .offset:         158
        .size:           2
        .value_kind:     hidden_remainder_z
      - .offset:         176
        .size:           8
        .value_kind:     hidden_global_offset_x
      - .offset:         184
        .size:           8
        .value_kind:     hidden_global_offset_y
      - .offset:         192
        .size:           8
        .value_kind:     hidden_global_offset_z
      - .offset:         200
        .size:           2
        .value_kind:     hidden_grid_dims
    .group_segment_fixed_size: 19200
    .kernarg_segment_align: 8
    .kernarg_segment_size: 392
    .language:       OpenCL C
    .language_version:
      - 2
      - 0
    .max_flat_workgroup_size: 256
    .name:           _ZL26rocblas_hemvn_kernel_upperILb0ELi64ELi4ELi33ELi32ELi16El19rocblas_complex_numIdEPKPKS1_PS1_EviT6_lT7_lT5_lS8_lS9_lS7_lT8_i
    .private_segment_fixed_size: 0
    .sgpr_count:     82
    .sgpr_spill_count: 0
    .symbol:         _ZL26rocblas_hemvn_kernel_upperILb0ELi64ELi4ELi33ELi32ELi16El19rocblas_complex_numIdEPKPKS1_PS1_EviT6_lT7_lT5_lS8_lS9_lS7_lT8_i.kd
    .uniform_work_group_size: 1
    .uses_dynamic_stack: false
    .vgpr_count:     326
    .vgpr_spill_count: 0
    .wavefront_size: 32
  - .args:
      - .offset:         0
        .size:           4
        .value_kind:     by_value
      - .offset:         8
        .size:           16
        .value_kind:     by_value
      - .offset:         24
        .size:           8
        .value_kind:     by_value
      - .address_space:  global
        .offset:         32
        .size:           8
        .value_kind:     global_buffer
      - .offset:         40
        .size:           8
        .value_kind:     by_value
      - .offset:         48
        .size:           4
        .value_kind:     by_value
      - .offset:         56
        .size:           8
        .value_kind:     by_value
      - .address_space:  global
        .offset:         64
        .size:           8
        .value_kind:     global_buffer
      - .offset:         72
        .size:           8
        .value_kind:     by_value
      - .offset:         80
        .size:           4
        .value_kind:     by_value
      - .offset:         88
        .size:           8
        .value_kind:     by_value
      - .offset:         96
        .size:           16
        .value_kind:     by_value
      - .offset:         112
        .size:           8
        .value_kind:     by_value
      - .address_space:  global
        .offset:         120
        .size:           8
        .value_kind:     global_buffer
      - .offset:         128
        .size:           4
        .value_kind:     by_value
      - .offset:         136
        .size:           4
        .value_kind:     hidden_block_count_x
      - .offset:         140
        .size:           4
        .value_kind:     hidden_block_count_y
      - .offset:         144
        .size:           4
        .value_kind:     hidden_block_count_z
      - .offset:         148
        .size:           2
        .value_kind:     hidden_group_size_x
      - .offset:         150
        .size:           2
        .value_kind:     hidden_group_size_y
      - .offset:         152
        .size:           2
        .value_kind:     hidden_group_size_z
      - .offset:         154
        .size:           2
        .value_kind:     hidden_remainder_x
      - .offset:         156
        .size:           2
        .value_kind:     hidden_remainder_y
      - .offset:         158
        .size:           2
        .value_kind:     hidden_remainder_z
      - .offset:         176
        .size:           8
        .value_kind:     hidden_global_offset_x
      - .offset:         184
        .size:           8
        .value_kind:     hidden_global_offset_y
      - .offset:         192
        .size:           8
        .value_kind:     hidden_global_offset_z
      - .offset:         200
        .size:           2
        .value_kind:     hidden_grid_dims
    .group_segment_fixed_size: 19200
    .kernarg_segment_align: 8
    .kernarg_segment_size: 392
    .language:       OpenCL C
    .language_version:
      - 2
      - 0
    .max_flat_workgroup_size: 256
    .name:           _ZL26rocblas_hemvn_kernel_upperILb0ELi64ELi4ELi33ELi32ELi16Ei19rocblas_complex_numIdEPKPKS1_PS1_EviT6_lT7_lT5_lS8_lS9_lS7_lT8_i
    .private_segment_fixed_size: 0
    .sgpr_count:     98
    .sgpr_spill_count: 0
    .symbol:         _ZL26rocblas_hemvn_kernel_upperILb0ELi64ELi4ELi33ELi32ELi16Ei19rocblas_complex_numIdEPKPKS1_PS1_EviT6_lT7_lT5_lS8_lS9_lS7_lT8_i.kd
    .uniform_work_group_size: 1
    .uses_dynamic_stack: false
    .vgpr_count:     311
    .vgpr_spill_count: 0
    .wavefront_size: 32
  - .args:
      - .offset:         0
        .size:           4
        .value_kind:     by_value
      - .address_space:  global
        .offset:         8
        .size:           8
        .value_kind:     global_buffer
      - .offset:         16
        .size:           8
        .value_kind:     by_value
      - .address_space:  global
        .offset:         24
        .size:           8
        .value_kind:     global_buffer
      - .offset:         32
        .size:           8
        .value_kind:     by_value
      - .offset:         40
        .size:           8
        .value_kind:     by_value
      - .offset:         48
        .size:           8
        .value_kind:     by_value
      - .address_space:  global
        .offset:         56
        .size:           8
        .value_kind:     global_buffer
      - .offset:         64
        .size:           8
        .value_kind:     by_value
      - .offset:         72
        .size:           8
        .value_kind:     by_value
      - .offset:         80
        .size:           8
        .value_kind:     by_value
      - .address_space:  global
        .offset:         88
        .size:           8
        .value_kind:     global_buffer
      - .offset:         96
        .size:           8
        .value_kind:     by_value
      - .address_space:  global
        .offset:         104
        .size:           8
        .value_kind:     global_buffer
      - .offset:         112
        .size:           4
        .value_kind:     by_value
      - .offset:         120
        .size:           4
        .value_kind:     hidden_block_count_x
      - .offset:         124
        .size:           4
        .value_kind:     hidden_block_count_y
      - .offset:         128
        .size:           4
        .value_kind:     hidden_block_count_z
      - .offset:         132
        .size:           2
        .value_kind:     hidden_group_size_x
      - .offset:         134
        .size:           2
        .value_kind:     hidden_group_size_y
      - .offset:         136
        .size:           2
        .value_kind:     hidden_group_size_z
      - .offset:         138
        .size:           2
        .value_kind:     hidden_remainder_x
      - .offset:         140
        .size:           2
        .value_kind:     hidden_remainder_y
      - .offset:         142
        .size:           2
        .value_kind:     hidden_remainder_z
      - .offset:         160
        .size:           8
        .value_kind:     hidden_global_offset_x
      - .offset:         168
        .size:           8
        .value_kind:     hidden_global_offset_y
      - .offset:         176
        .size:           8
        .value_kind:     hidden_global_offset_z
      - .offset:         184
        .size:           2
        .value_kind:     hidden_grid_dims
    .group_segment_fixed_size: 19200
    .kernarg_segment_align: 8
    .kernarg_segment_size: 376
    .language:       OpenCL C
    .language_version:
      - 2
      - 0
    .max_flat_workgroup_size: 256
    .name:           _ZL26rocblas_hemvn_kernel_lowerILb0ELi64ELi4ELi33ELi32ELi16ElPK19rocblas_complex_numIdEPKS3_PS1_EviT6_lT7_lT5_lS8_lS9_lS7_lT8_i
    .private_segment_fixed_size: 0
    .sgpr_count:     88
    .sgpr_spill_count: 0
    .symbol:         _ZL26rocblas_hemvn_kernel_lowerILb0ELi64ELi4ELi33ELi32ELi16ElPK19rocblas_complex_numIdEPKS3_PS1_EviT6_lT7_lT5_lS8_lS9_lS7_lT8_i.kd
    .uniform_work_group_size: 1
    .uses_dynamic_stack: false
    .vgpr_count:     248
    .vgpr_spill_count: 0
    .wavefront_size: 32
  - .args:
      - .offset:         0
        .size:           4
        .value_kind:     by_value
      - .address_space:  global
        .offset:         8
        .size:           8
        .value_kind:     global_buffer
      - .offset:         16
        .size:           8
        .value_kind:     by_value
      - .address_space:  global
        .offset:         24
        .size:           8
        .value_kind:     global_buffer
      - .offset:         32
        .size:           8
        .value_kind:     by_value
      - .offset:         40
        .size:           4
        .value_kind:     by_value
      - .offset:         48
        .size:           8
        .value_kind:     by_value
      - .address_space:  global
        .offset:         56
        .size:           8
        .value_kind:     global_buffer
      - .offset:         64
        .size:           8
        .value_kind:     by_value
      - .offset:         72
        .size:           4
        .value_kind:     by_value
      - .offset:         80
        .size:           8
        .value_kind:     by_value
      - .address_space:  global
        .offset:         88
        .size:           8
        .value_kind:     global_buffer
      - .offset:         96
        .size:           8
        .value_kind:     by_value
      - .address_space:  global
        .offset:         104
        .size:           8
        .value_kind:     global_buffer
      - .offset:         112
        .size:           4
        .value_kind:     by_value
      - .offset:         120
        .size:           4
        .value_kind:     hidden_block_count_x
      - .offset:         124
        .size:           4
        .value_kind:     hidden_block_count_y
      - .offset:         128
        .size:           4
        .value_kind:     hidden_block_count_z
      - .offset:         132
        .size:           2
        .value_kind:     hidden_group_size_x
      - .offset:         134
        .size:           2
        .value_kind:     hidden_group_size_y
      - .offset:         136
        .size:           2
        .value_kind:     hidden_group_size_z
      - .offset:         138
        .size:           2
        .value_kind:     hidden_remainder_x
      - .offset:         140
        .size:           2
        .value_kind:     hidden_remainder_y
      - .offset:         142
        .size:           2
        .value_kind:     hidden_remainder_z
      - .offset:         160
        .size:           8
        .value_kind:     hidden_global_offset_x
      - .offset:         168
        .size:           8
        .value_kind:     hidden_global_offset_y
      - .offset:         176
        .size:           8
        .value_kind:     hidden_global_offset_z
      - .offset:         184
        .size:           2
        .value_kind:     hidden_grid_dims
    .group_segment_fixed_size: 19200
    .kernarg_segment_align: 8
    .kernarg_segment_size: 376
    .language:       OpenCL C
    .language_version:
      - 2
      - 0
    .max_flat_workgroup_size: 256
    .name:           _ZL26rocblas_hemvn_kernel_lowerILb0ELi64ELi4ELi33ELi32ELi16EiPK19rocblas_complex_numIdEPKS3_PS1_EviT6_lT7_lT5_lS8_lS9_lS7_lT8_i
    .private_segment_fixed_size: 0
    .sgpr_count:     88
    .sgpr_spill_count: 0
    .symbol:         _ZL26rocblas_hemvn_kernel_lowerILb0ELi64ELi4ELi33ELi32ELi16EiPK19rocblas_complex_numIdEPKS3_PS1_EviT6_lT7_lT5_lS8_lS9_lS7_lT8_i.kd
    .uniform_work_group_size: 1
    .uses_dynamic_stack: false
    .vgpr_count:     250
    .vgpr_spill_count: 0
    .wavefront_size: 32
  - .args:
      - .offset:         0
        .size:           4
        .value_kind:     by_value
      - .offset:         8
        .size:           16
        .value_kind:     by_value
      - .offset:         24
        .size:           8
        .value_kind:     by_value
      - .address_space:  global
        .offset:         32
        .size:           8
        .value_kind:     global_buffer
      - .offset:         40
        .size:           8
        .value_kind:     by_value
      - .offset:         48
        .size:           8
        .value_kind:     by_value
      - .offset:         56
        .size:           8
        .value_kind:     by_value
      - .address_space:  global
        .offset:         64
        .size:           8
        .value_kind:     global_buffer
      - .offset:         72
        .size:           8
        .value_kind:     by_value
      - .offset:         80
        .size:           8
        .value_kind:     by_value
      - .offset:         88
        .size:           8
        .value_kind:     by_value
      - .offset:         96
        .size:           16
        .value_kind:     by_value
      - .offset:         112
        .size:           8
        .value_kind:     by_value
      - .address_space:  global
        .offset:         120
        .size:           8
        .value_kind:     global_buffer
      - .offset:         128
        .size:           4
        .value_kind:     by_value
      - .offset:         136
        .size:           4
        .value_kind:     hidden_block_count_x
      - .offset:         140
        .size:           4
        .value_kind:     hidden_block_count_y
      - .offset:         144
        .size:           4
        .value_kind:     hidden_block_count_z
      - .offset:         148
        .size:           2
        .value_kind:     hidden_group_size_x
      - .offset:         150
        .size:           2
        .value_kind:     hidden_group_size_y
      - .offset:         152
        .size:           2
        .value_kind:     hidden_group_size_z
      - .offset:         154
        .size:           2
        .value_kind:     hidden_remainder_x
      - .offset:         156
        .size:           2
        .value_kind:     hidden_remainder_y
      - .offset:         158
        .size:           2
        .value_kind:     hidden_remainder_z
      - .offset:         176
        .size:           8
        .value_kind:     hidden_global_offset_x
      - .offset:         184
        .size:           8
        .value_kind:     hidden_global_offset_y
      - .offset:         192
        .size:           8
        .value_kind:     hidden_global_offset_z
      - .offset:         200
        .size:           2
        .value_kind:     hidden_grid_dims
    .group_segment_fixed_size: 19200
    .kernarg_segment_align: 8
    .kernarg_segment_size: 392
    .language:       OpenCL C
    .language_version:
      - 2
      - 0
    .max_flat_workgroup_size: 256
    .name:           _ZL26rocblas_hemvn_kernel_lowerILb0ELi64ELi4ELi33ELi32ELi16El19rocblas_complex_numIdEPKPKS1_PS1_EviT6_lT7_lT5_lS8_lS9_lS7_lT8_i
    .private_segment_fixed_size: 0
    .sgpr_count:     82
    .sgpr_spill_count: 0
    .symbol:         _ZL26rocblas_hemvn_kernel_lowerILb0ELi64ELi4ELi33ELi32ELi16El19rocblas_complex_numIdEPKPKS1_PS1_EviT6_lT7_lT5_lS8_lS9_lS7_lT8_i.kd
    .uniform_work_group_size: 1
    .uses_dynamic_stack: false
    .vgpr_count:     248
    .vgpr_spill_count: 0
    .wavefront_size: 32
  - .args:
      - .offset:         0
        .size:           4
        .value_kind:     by_value
      - .offset:         8
        .size:           16
        .value_kind:     by_value
      - .offset:         24
        .size:           8
        .value_kind:     by_value
      - .address_space:  global
        .offset:         32
        .size:           8
        .value_kind:     global_buffer
      - .offset:         40
        .size:           8
        .value_kind:     by_value
      - .offset:         48
        .size:           4
        .value_kind:     by_value
      - .offset:         56
        .size:           8
        .value_kind:     by_value
      - .address_space:  global
        .offset:         64
        .size:           8
        .value_kind:     global_buffer
      - .offset:         72
        .size:           8
        .value_kind:     by_value
      - .offset:         80
        .size:           4
        .value_kind:     by_value
      - .offset:         88
        .size:           8
        .value_kind:     by_value
      - .offset:         96
        .size:           16
        .value_kind:     by_value
      - .offset:         112
        .size:           8
        .value_kind:     by_value
      - .address_space:  global
        .offset:         120
        .size:           8
        .value_kind:     global_buffer
      - .offset:         128
        .size:           4
        .value_kind:     by_value
      - .offset:         136
        .size:           4
        .value_kind:     hidden_block_count_x
      - .offset:         140
        .size:           4
        .value_kind:     hidden_block_count_y
      - .offset:         144
        .size:           4
        .value_kind:     hidden_block_count_z
      - .offset:         148
        .size:           2
        .value_kind:     hidden_group_size_x
      - .offset:         150
        .size:           2
        .value_kind:     hidden_group_size_y
      - .offset:         152
        .size:           2
        .value_kind:     hidden_group_size_z
      - .offset:         154
        .size:           2
        .value_kind:     hidden_remainder_x
      - .offset:         156
        .size:           2
        .value_kind:     hidden_remainder_y
      - .offset:         158
        .size:           2
        .value_kind:     hidden_remainder_z
      - .offset:         176
        .size:           8
        .value_kind:     hidden_global_offset_x
      - .offset:         184
        .size:           8
        .value_kind:     hidden_global_offset_y
      - .offset:         192
        .size:           8
        .value_kind:     hidden_global_offset_z
      - .offset:         200
        .size:           2
        .value_kind:     hidden_grid_dims
    .group_segment_fixed_size: 19200
    .kernarg_segment_align: 8
    .kernarg_segment_size: 392
    .language:       OpenCL C
    .language_version:
      - 2
      - 0
    .max_flat_workgroup_size: 256
    .name:           _ZL26rocblas_hemvn_kernel_lowerILb0ELi64ELi4ELi33ELi32ELi16Ei19rocblas_complex_numIdEPKPKS1_PS1_EviT6_lT7_lT5_lS8_lS9_lS7_lT8_i
    .private_segment_fixed_size: 0
    .sgpr_count:     82
    .sgpr_spill_count: 0
    .symbol:         _ZL26rocblas_hemvn_kernel_lowerILb0ELi64ELi4ELi33ELi32ELi16Ei19rocblas_complex_numIdEPKPKS1_PS1_EviT6_lT7_lT5_lS8_lS9_lS7_lT8_i.kd
    .uniform_work_group_size: 1
    .uses_dynamic_stack: false
    .vgpr_count:     250
    .vgpr_spill_count: 0
    .wavefront_size: 32
amdhsa.target:   amdgcn-amd-amdhsa--gfx1250
amdhsa.version:
  - 1
  - 2
...

	.end_amdgpu_metadata
